;; amdgpu-corpus repo=vllm-project/vllm kind=compiled arch=gfx90a opt=O3
	.text
	.amdgcn_target "amdgcn-amd-amdhsa--gfx90a"
	.amdhsa_code_object_version 6
	.section	.text._Z33per_token_group_quant_8bit_kernelIfaLb1ELb1EfEvPKT_PvPT3_iiifffii,"axG",@progbits,_Z33per_token_group_quant_8bit_kernelIfaLb1ELb1EfEvPKT_PvPT3_iiifffii,comdat
	.protected	_Z33per_token_group_quant_8bit_kernelIfaLb1ELb1EfEvPKT_PvPT3_iiifffii ; -- Begin function _Z33per_token_group_quant_8bit_kernelIfaLb1ELb1EfEvPKT_PvPT3_iiifffii
	.globl	_Z33per_token_group_quant_8bit_kernelIfaLb1ELb1EfEvPKT_PvPT3_iiifffii
	.p2align	8
	.type	_Z33per_token_group_quant_8bit_kernelIfaLb1ELb1EfEvPKT_PvPT3_iiifffii,@function
_Z33per_token_group_quant_8bit_kernelIfaLb1ELb1EfEvPKT_PvPT3_iiifffii: ; @_Z33per_token_group_quant_8bit_kernelIfaLb1ELb1EfEvPKT_PvPT3_iiifffii
; %bb.0:
	s_load_dword s20, s[4:5], 0x18
	s_load_dwordx2 s[0:1], s[4:5], 0x0
	s_load_dwordx4 s[8:11], s[4:5], 0x20
	s_load_dwordx2 s[2:3], s[4:5], 0x30
	v_lshrrev_b32_e32 v4, 4, v0
	s_waitcnt lgkmcnt(0)
	s_ashr_i32 s12, s20, 31
	v_and_b32_e32 v8, 15, v0
	s_mul_i32 s6, s6, s8
	v_add_co_u32_e32 v11, vcc, s6, v4
	v_addc_co_u32_e64 v12, s[6:7], 0, 0, vcc
	v_mul_lo_u32 v2, v12, s20
	v_mul_lo_u32 v3, v11, s12
	v_mad_u64_u32 v[0:1], s[6:7], v11, s20, 0
	v_add3_u32 v1, v1, v3, v2
	v_lshlrev_b64 v[2:3], 2, v[0:1]
	s_and_b32 s6, s20, 3
	v_mov_b32_e32 v6, s1
	v_add_co_u32_e32 v5, vcc, s0, v2
	s_cmp_eq_u32 s6, 0
	v_addc_co_u32_e32 v6, vcc, v6, v3, vcc
	v_mov_b32_e32 v15, 0
	v_and_b32_e32 v14, 15, v5
	s_cselect_b64 s[12:13], -1, 0
	s_cmp_lg_u32 s6, 0
	v_mul_lo_u32 v9, v4, s20
	v_cmp_ne_u64_e32 vcc, 0, v[14:15]
	s_cselect_b64 s[6:7], -1, 0
	v_lshl_add_u32 v10, v9, 2, 0
	s_or_b64 s[6:7], s[6:7], vcc
                                        ; implicit-def: $vgpr13
	s_and_saveexec_b64 s[14:15], s[6:7]
	s_xor_b64 s[6:7], exec, s[14:15]
	s_cbranch_execz .LBB0_12
; %bb.1:
	v_sub_u32_e32 v4, 0, v5
	v_bfe_u32 v4, v4, 2, 2
	v_min_i32_e32 v4, s20, v4
	v_cmp_gt_i32_e32 vcc, v4, v8
	v_mov_b32_e32 v13, s9
	s_and_saveexec_b64 s[14:15], vcc
	s_cbranch_execz .LBB0_3
; %bb.2:
	v_lshlrev_b32_e32 v7, 2, v8
	v_add_co_u32_e32 v14, vcc, v5, v7
	v_addc_co_u32_e32 v15, vcc, 0, v6, vcc
	global_load_dword v5, v[14:15], off
	v_max_f32_e64 v6, s9, s9
	v_add_u32_e32 v7, v10, v7
	s_waitcnt vmcnt(0)
	v_max_f32_e64 v13, |v5|, |v5|
	v_max_f32_e32 v13, v6, v13
	ds_write_b32 v7, v5
.LBB0_3:
	s_or_b64 exec, exec, s[14:15]
	v_sub_u32_e32 v14, s20, v4
	v_ashrrev_i32_e32 v6, 31, v14
	v_lshrrev_b32_e32 v6, 30, v6
	v_add_u32_e32 v6, v14, v6
	v_ashrrev_i32_e32 v5, 31, v4
	v_ashrrev_i32_e32 v15, 2, v6
	v_cmp_gt_i32_e32 vcc, v15, v8
	v_lshlrev_b32_e32 v16, 2, v4
	v_lshlrev_b64 v[4:5], 2, v[4:5]
	s_and_saveexec_b64 s[14:15], vcc
	s_cbranch_execz .LBB0_7
; %bb.4:
	v_lshlrev_b32_e32 v6, 4, v8
	v_lshl_add_u32 v7, v9, 2, v6
	v_add_co_u32_e32 v6, vcc, v2, v6
	v_add3_u32 v17, v7, v16, 0
	v_addc_co_u32_e32 v7, vcc, 0, v3, vcc
	v_add_co_u32_e32 v6, vcc, v6, v4
	v_addc_co_u32_e32 v7, vcc, v7, v5, vcc
	v_mov_b32_e32 v18, s1
	v_add_co_u32_e32 v6, vcc, s0, v6
	v_addc_co_u32_e32 v7, vcc, v7, v18, vcc
	v_add_co_u32_e32 v6, vcc, 8, v6
	v_addc_co_u32_e32 v7, vcc, 0, v7, vcc
	s_mov_b64 s[16:17], 0
	v_mov_b32_e32 v18, v8
.LBB0_5:                                ; =>This Inner Loop Header: Depth=1
	global_load_dwordx4 v[20:23], v[6:7], off offset:-8
	v_add_co_u32_e32 v6, vcc, 0x100, v6
	v_add_u32_e32 v18, 16, v18
	v_addc_co_u32_e32 v7, vcc, 0, v7, vcc
	v_cmp_ge_i32_e32 vcc, v18, v15
	s_or_b64 s[16:17], vcc, s[16:17]
	s_waitcnt vmcnt(0)
	v_max3_f32 v13, v13, |v20|, |v21|
	ds_write_b128 v17, v[20:23]
	v_add_u32_e32 v17, 0x100, v17
	v_max3_f32 v13, v13, |v22|, |v23|
	s_andn2_b64 exec, exec, s[16:17]
	s_cbranch_execnz .LBB0_5
; %bb.6:
	s_or_b64 exec, exec, s[16:17]
.LBB0_7:
	s_or_b64 exec, exec, s[14:15]
	v_lshl_add_u32 v6, v15, 2, v8
	v_cmp_lt_i32_e32 vcc, v6, v14
	s_and_saveexec_b64 s[14:15], vcc
	s_cbranch_execz .LBB0_11
; %bb.8:
	v_lshlrev_b32_e32 v7, 2, v9
	v_lshlrev_b32_e32 v15, 4, v15
	v_add3_u32 v7, v7, v15, v16
	v_lshlrev_b32_e32 v15, 2, v8
	v_add3_u32 v15, v7, v15, 0
	v_add_co_u32_e32 v4, vcc, v2, v4
	v_ashrrev_i32_e32 v7, 31, v6
	v_addc_co_u32_e32 v5, vcc, v3, v5, vcc
	v_lshlrev_b64 v[2:3], 2, v[6:7]
	v_add_co_u32_e32 v2, vcc, v4, v2
	v_addc_co_u32_e32 v3, vcc, v5, v3, vcc
	v_mov_b32_e32 v4, s1
	v_add_co_u32_e32 v2, vcc, s0, v2
	v_addc_co_u32_e32 v3, vcc, v4, v3, vcc
	s_mov_b64 s[16:17], 0
.LBB0_9:                                ; =>This Inner Loop Header: Depth=1
	global_load_dword v4, v[2:3], off
	v_add_co_u32_e32 v2, vcc, 64, v2
	v_add_u32_e32 v6, 16, v6
	v_addc_co_u32_e32 v3, vcc, 0, v3, vcc
	v_max_f32_e32 v5, v13, v13
	v_cmp_ge_i32_e32 vcc, v6, v14
	s_or_b64 s[16:17], vcc, s[16:17]
	s_waitcnt vmcnt(0)
	v_max_f32_e64 v7, |v4|, |v4|
	ds_write_b32 v15, v4
	v_add_u32_e32 v15, 64, v15
	v_max_f32_e32 v13, v5, v7
	s_andn2_b64 exec, exec, s[16:17]
	s_cbranch_execnz .LBB0_9
; %bb.10:
	s_or_b64 exec, exec, s[16:17]
.LBB0_11:
	s_or_b64 exec, exec, s[14:15]
                                        ; implicit-def: $vgpr2_vgpr3
.LBB0_12:
	s_andn2_saveexec_b64 s[6:7], s[6:7]
	s_cbranch_execz .LBB0_18
; %bb.13:
	s_ashr_i32 s8, s20, 2
	v_cmp_gt_i32_e32 vcc, s8, v8
	v_mov_b32_e32 v13, s9
	s_and_saveexec_b64 s[14:15], vcc
	s_cbranch_execz .LBB0_17
; %bb.14:
	v_lshlrev_b32_e32 v5, 4, v8
	v_add_co_u32_e32 v2, vcc, v2, v5
	v_lshlrev_b32_e32 v4, 2, v9
	v_addc_co_u32_e32 v3, vcc, 0, v3, vcc
	v_add3_u32 v4, v4, v5, 0
	v_mov_b32_e32 v5, s1
	v_add_co_u32_e32 v2, vcc, s0, v2
	v_addc_co_u32_e32 v3, vcc, v3, v5, vcc
	v_add_co_u32_e32 v2, vcc, 8, v2
	v_addc_co_u32_e32 v3, vcc, 0, v3, vcc
	s_mov_b64 s[0:1], 0
	v_mov_b32_e32 v13, s9
	v_mov_b32_e32 v5, v8
.LBB0_15:                               ; =>This Inner Loop Header: Depth=1
	global_load_dwordx4 v[14:17], v[2:3], off offset:-8
	v_add_co_u32_e32 v2, vcc, 0x100, v2
	v_add_u32_e32 v5, 16, v5
	v_addc_co_u32_e32 v3, vcc, 0, v3, vcc
	v_cmp_le_i32_e32 vcc, s8, v5
	s_or_b64 s[0:1], vcc, s[0:1]
	s_waitcnt vmcnt(0)
	v_max3_f32 v6, v13, |v14|, |v15|
	ds_write_b128 v4, v[14:17]
	v_add_u32_e32 v4, 0x100, v4
	v_max3_f32 v13, v6, |v16|, |v17|
	s_andn2_b64 exec, exec, s[0:1]
	s_cbranch_execnz .LBB0_15
; %bb.16:
	s_or_b64 exec, exec, s[0:1]
.LBB0_17:
	s_or_b64 exec, exec, s[14:15]
.LBB0_18:
	s_or_b64 exec, exec, s[6:7]
	v_mbcnt_lo_u32_b32 v2, -1, 0
	v_mbcnt_hi_u32_b32 v2, -1, v2
	v_and_b32_e32 v4, 0x70, v2
	v_xor_b32_e32 v3, 8, v2
	v_add_u32_e32 v4, 16, v4
	v_cmp_lt_i32_e32 vcc, v3, v4
	v_cndmask_b32_e32 v3, v2, v3, vcc
	v_lshlrev_b32_e32 v3, 2, v3
	ds_bpermute_b32 v3, v3, v13
	v_xor_b32_e32 v6, 4, v2
	v_max_f32_e32 v5, v13, v13
	v_cmp_lt_i32_e32 vcc, v6, v4
	s_load_dwordx2 s[6:7], s[4:5], 0x8
	s_waitcnt lgkmcnt(0)
	v_max_f32_e32 v3, v3, v3
	v_max_f32_e32 v3, v5, v3
	v_cndmask_b32_e32 v5, v2, v6, vcc
	v_lshlrev_b32_e32 v5, 2, v5
	ds_bpermute_b32 v5, v5, v3
	v_xor_b32_e32 v6, 2, v2
	v_cmp_lt_i32_e32 vcc, v6, v4
	s_waitcnt lgkmcnt(0)
	v_max_f32_e32 v5, v5, v5
	v_max_f32_e32 v3, v3, v5
	v_cndmask_b32_e32 v5, v2, v6, vcc
	v_lshlrev_b32_e32 v5, 2, v5
	ds_bpermute_b32 v5, v5, v3
	v_xor_b32_e32 v6, 1, v2
	v_cmp_lt_i32_e32 vcc, v6, v4
	v_cndmask_b32_e32 v2, v2, v6, vcc
	v_lshlrev_b32_e32 v2, 2, v2
	s_waitcnt lgkmcnt(0)
	v_max_f32_e32 v5, v5, v5
	v_max_f32_e32 v3, v3, v5
	ds_bpermute_b32 v2, v2, v3
	s_waitcnt lgkmcnt(0)
	v_max_f32_e32 v2, v2, v2
	v_max_f32_e32 v2, v3, v2
	v_div_scale_f32 v3, s[0:1], s11, s11, v2
	v_rcp_f32_e32 v4, v3
	v_div_scale_f32 v5, vcc, v2, s11, v2
	s_mov_b32 s0, 0x2edbe6ff
	v_fma_f32 v6, -v3, v4, 1.0
	v_fmac_f32_e32 v4, v6, v4
	v_mul_f32_e32 v6, v5, v4
	v_fma_f32 v7, -v3, v6, v5
	v_fmac_f32_e32 v6, v7, v4
	v_fma_f32 v3, -v3, v6, v5
	v_div_fmas_f32 v3, v3, v4, v6
	v_div_fixup_f32 v2, v3, s11, v2
	v_max_f32_e64 v2, |v2|, s0
	s_mov_b32 s0, 0x800000
	v_mov_b32_e32 v3, 0x4f800000
	v_cmp_gt_f32_e32 vcc, s0, v2
	v_cndmask_b32_e32 v3, 1.0, v3, vcc
	v_mul_f32_e32 v2, v2, v3
	v_log_f32_e32 v2, v2
	v_mov_b32_e32 v3, 0x42000000
	v_cndmask_b32_e32 v3, 0, v3, vcc
	s_mov_b32 s0, 0xc2fc0000
	v_sub_f32_e32 v2, v2, v3
	v_ceil_f32_e32 v2, v2
	v_mov_b32_e32 v3, 0x42800000
	v_cmp_gt_f32_e32 vcc, s0, v2
	v_cndmask_b32_e32 v3, 0, v3, vcc
	v_add_f32_e32 v2, v2, v3
	v_exp_f32_e32 v2, v2
	v_mov_b32_e32 v3, 0x1f800000
	v_cndmask_b32_e32 v3, 1.0, v3, vcc
	v_cmp_eq_u32_e32 vcc, 0, v8
	v_mul_f32_e32 v4, v2, v3
	s_and_saveexec_b64 s[8:9], vcc
	s_cbranch_execz .LBB0_24
; %bb.19:
	s_load_dwordx2 s[4:5], s[4:5], 0x10
	s_ashr_i32 s0, s2, 31
	v_or_b32_e32 v3, s0, v12
	v_mov_b32_e32 v2, 0
	v_cmp_ne_u64_e32 vcc, 0, v[2:3]
                                        ; implicit-def: $vgpr2_vgpr3
	s_and_saveexec_b64 s[14:15], vcc
	s_xor_b64 s[14:15], exec, s[14:15]
	s_cbranch_execz .LBB0_21
; %bb.20:
	s_add_u32 s18, s2, s0
	s_mov_b32 s16, s0
	s_mov_b32 s17, s0
	s_addc_u32 s19, s0, s0
	s_xor_b64 s[18:19], s[18:19], s[16:17]
	v_cvt_f32_u32_e32 v2, s18
	v_cvt_f32_u32_e32 v3, s19
	s_sub_u32 s0, 0, s18
	s_subb_u32 s1, 0, s19
	v_madmk_f32 v2, v3, 0x4f800000, v2
	v_rcp_f32_e32 v2, v2
	v_mul_f32_e32 v2, 0x5f7ffffc, v2
	v_mul_f32_e32 v3, 0x2f800000, v2
	v_trunc_f32_e32 v3, v3
	v_madmk_f32 v2, v3, 0xcf800000, v2
	v_cvt_u32_f32_e32 v3, v3
	v_cvt_u32_f32_e32 v2, v2
	v_mul_lo_u32 v5, s0, v3
	v_mul_hi_u32 v7, s0, v2
	v_mul_lo_u32 v6, s1, v2
	v_add_u32_e32 v5, v7, v5
	v_mul_lo_u32 v13, s0, v2
	v_add_u32_e32 v5, v5, v6
	v_mul_lo_u32 v7, v2, v5
	v_mul_hi_u32 v14, v2, v13
	v_mul_hi_u32 v6, v2, v5
	v_add_co_u32_e32 v7, vcc, v14, v7
	v_addc_co_u32_e32 v6, vcc, 0, v6, vcc
	v_mul_hi_u32 v15, v3, v13
	v_mul_lo_u32 v13, v3, v13
	v_add_co_u32_e32 v7, vcc, v7, v13
	v_mul_hi_u32 v14, v3, v5
	v_addc_co_u32_e32 v6, vcc, v6, v15, vcc
	v_addc_co_u32_e32 v7, vcc, 0, v14, vcc
	v_mul_lo_u32 v5, v3, v5
	v_add_co_u32_e32 v5, vcc, v6, v5
	v_addc_co_u32_e32 v6, vcc, 0, v7, vcc
	v_add_co_u32_e32 v2, vcc, v2, v5
	v_addc_co_u32_e32 v3, vcc, v3, v6, vcc
	v_mul_lo_u32 v5, s0, v3
	v_mul_hi_u32 v6, s0, v2
	v_add_u32_e32 v5, v6, v5
	v_mul_lo_u32 v6, s1, v2
	v_add_u32_e32 v5, v5, v6
	v_mul_lo_u32 v7, s0, v2
	v_mul_hi_u32 v13, v3, v7
	v_mul_lo_u32 v14, v3, v7
	v_mul_lo_u32 v16, v2, v5
	v_mul_hi_u32 v7, v2, v7
	v_mul_hi_u32 v15, v2, v5
	v_add_co_u32_e32 v7, vcc, v7, v16
	v_addc_co_u32_e32 v15, vcc, 0, v15, vcc
	v_add_co_u32_e32 v7, vcc, v7, v14
	v_mul_hi_u32 v6, v3, v5
	v_addc_co_u32_e32 v7, vcc, v15, v13, vcc
	v_addc_co_u32_e32 v6, vcc, 0, v6, vcc
	v_mul_lo_u32 v5, v3, v5
	v_add_co_u32_e32 v5, vcc, v7, v5
	v_addc_co_u32_e32 v6, vcc, 0, v6, vcc
	v_add_co_u32_e32 v5, vcc, v2, v5
	v_addc_co_u32_e32 v6, vcc, v3, v6, vcc
	v_mad_u64_u32 v[2:3], s[0:1], v11, v6, 0
	v_mul_hi_u32 v7, v11, v5
	v_add_co_u32_e32 v13, vcc, v7, v2
	v_addc_co_u32_e32 v14, vcc, 0, v3, vcc
	v_mad_u64_u32 v[2:3], s[0:1], v12, v6, 0
	v_mad_u64_u32 v[6:7], s[0:1], v12, v5, 0
	v_add_co_u32_e32 v5, vcc, v13, v6
	v_addc_co_u32_e32 v5, vcc, v14, v7, vcc
	v_addc_co_u32_e32 v3, vcc, 0, v3, vcc
	v_add_co_u32_e32 v5, vcc, v5, v2
	v_addc_co_u32_e32 v2, vcc, 0, v3, vcc
	v_mul_lo_u32 v6, s19, v5
	v_mul_lo_u32 v7, s18, v2
	v_mad_u64_u32 v[2:3], s[0:1], s18, v5, 0
	v_add3_u32 v3, v3, v7, v6
	v_sub_u32_e32 v6, v12, v3
	v_mov_b32_e32 v7, s19
	v_sub_co_u32_e32 v2, vcc, v11, v2
	v_subb_co_u32_e64 v6, s[0:1], v6, v7, vcc
	v_subrev_co_u32_e64 v7, s[0:1], s18, v2
	v_subbrev_co_u32_e64 v6, s[0:1], 0, v6, s[0:1]
	v_cmp_le_u32_e64 s[0:1], s19, v6
	v_subb_co_u32_e32 v3, vcc, v12, v3, vcc
	v_cndmask_b32_e64 v13, 0, -1, s[0:1]
	v_cmp_le_u32_e64 s[0:1], s18, v7
	v_cmp_le_u32_e32 vcc, s19, v3
	v_cndmask_b32_e64 v7, 0, -1, s[0:1]
	v_cmp_eq_u32_e64 s[0:1], s19, v6
	v_cndmask_b32_e64 v12, 0, -1, vcc
	v_cmp_le_u32_e32 vcc, s18, v2
	v_cndmask_b32_e64 v6, v13, v7, s[0:1]
	v_cndmask_b32_e64 v2, 0, -1, vcc
	v_cmp_eq_u32_e32 vcc, s19, v3
	v_add_co_u32_e64 v7, s[0:1], 2, v5
	v_add_co_u32_e64 v13, s[0:1], 1, v5
	v_cndmask_b32_e32 v2, v12, v2, vcc
	v_cmp_ne_u32_e32 vcc, 0, v6
	v_cndmask_b32_e32 v3, v13, v7, vcc
	v_cmp_ne_u32_e32 vcc, 0, v2
	v_cndmask_b32_e32 v2, v5, v3, vcc
	v_xor_b32_e32 v2, s16, v2
	v_subrev_co_u32_e32 v2, vcc, s16, v2
.LBB0_21:
	s_andn2_saveexec_b64 s[0:1], s[14:15]
	s_cbranch_execz .LBB0_23
; %bb.22:
	v_cvt_f32_u32_e32 v2, s2
	s_sub_i32 s14, 0, s2
	v_rcp_iflag_f32_e32 v2, v2
	v_mul_f32_e32 v2, 0x4f7ffffe, v2
	v_cvt_u32_f32_e32 v2, v2
	v_mul_lo_u32 v3, s14, v2
	v_mul_hi_u32 v3, v2, v3
	v_add_u32_e32 v2, v2, v3
	v_mul_hi_u32 v2, v11, v2
	v_mul_lo_u32 v3, v2, s2
	v_sub_u32_e32 v3, v11, v3
	v_add_u32_e32 v5, 1, v2
	v_subrev_u32_e32 v6, s2, v3
	v_cmp_le_u32_e32 vcc, s2, v3
	v_cndmask_b32_e32 v3, v3, v6, vcc
	v_cndmask_b32_e32 v2, v2, v5, vcc
	v_add_u32_e32 v5, 1, v2
	v_cmp_le_u32_e32 vcc, s2, v3
	v_cndmask_b32_e32 v2, v2, v5, vcc
.LBB0_23:
	s_or_b64 exec, exec, s[0:1]
	v_mul_lo_u32 v3, v2, s2
	v_sub_u32_e32 v3, v11, v3
	v_mad_u64_u32 v[2:3], s[0:1], v3, s3, v[2:3]
	v_ashrrev_i32_e32 v3, 31, v2
	v_lshlrev_b64 v[2:3], 2, v[2:3]
	s_waitcnt lgkmcnt(0)
	v_mov_b32_e32 v5, s5
	v_add_co_u32_e32 v2, vcc, s4, v2
	v_addc_co_u32_e32 v3, vcc, v5, v3, vcc
	global_store_dword v[2:3], v4, off
.LBB0_24:
	s_or_b64 exec, exec, s[8:9]
	v_and_b32_e32 v2, 15, v10
	v_mov_b32_e32 v3, 0
	v_cmp_ne_u64_e32 vcc, 0, v[2:3]
	s_xor_b64 s[0:1], s[12:13], -1
	s_or_b64 s[0:1], s[0:1], vcc
	s_barrier
	s_and_saveexec_b64 s[2:3], s[0:1]
	s_xor_b64 s[8:9], exec, s[2:3]
	s_cbranch_execz .LBB0_41
; %bb.25:
	v_mov_b32_e32 v2, s7
	v_add_co_u32_e32 v12, vcc, s6, v0
	v_addc_co_u32_e32 v13, vcc, v2, v1, vcc
	v_sub_u32_e32 v2, 0, v10
	v_bfe_u32 v2, v2, 2, 2
	v_min_i32_e32 v11, s20, v2
	v_cmp_gt_i32_e32 vcc, v11, v8
	s_and_saveexec_b64 s[0:1], vcc
	s_cbranch_execz .LBB0_27
; %bb.26:
	v_lshl_add_u32 v2, v8, 2, v10
	ds_read_b32 v2, v2
	v_max_f32_e64 v3, s10, s10
	v_max_f32_e64 v7, s11, s11
	s_waitcnt lgkmcnt(0)
	v_div_scale_f32 v5, s[2:3], v4, v4, v2
	v_rcp_f32_e32 v6, v5
	v_div_scale_f32 v10, vcc, v2, v4, v2
	v_fma_f32 v14, -v5, v6, 1.0
	v_fmac_f32_e32 v6, v14, v6
	v_mul_f32_e32 v14, v10, v6
	v_fma_f32 v15, -v5, v14, v10
	v_fmac_f32_e32 v14, v15, v6
	v_fma_f32 v5, -v5, v14, v10
	v_div_fmas_f32 v5, v5, v6, v14
	v_div_fixup_f32 v2, v5, v4, v2
	v_max_f32_e32 v2, v2, v3
	v_min_f32_e32 v2, v2, v7
	v_cvt_i32_f32_e32 v5, v2
	v_add_co_u32_e32 v2, vcc, v12, v8
	v_addc_co_u32_e32 v3, vcc, 0, v13, vcc
	global_store_byte v[2:3], v5, off
.LBB0_27:
	s_or_b64 exec, exec, s[0:1]
	v_sub_u32_e32 v5, s20, v11
	v_ashrrev_i32_e32 v2, 31, v5
	v_lshrrev_b32_e32 v2, 30, v2
	v_add_u32_e32 v2, v5, v2
	v_ashrrev_i32_e32 v14, 2, v2
	v_ashrrev_i32_e32 v15, 31, v11
	v_cmp_gt_i32_e32 vcc, v14, v8
	v_lshlrev_b32_e32 v10, 2, v11
	s_and_saveexec_b64 s[12:13], vcc
	s_cbranch_execz .LBB0_30
; %bb.28:
	v_lshlrev_b32_e32 v2, 4, v8
	v_lshl_add_u32 v2, v9, 2, v2
	v_lshlrev_b32_e32 v3, 2, v11
	v_add_co_u32_e32 v0, vcc, v11, v0
	v_add3_u32 v16, v2, v3, 0
	v_addc_co_u32_e32 v1, vcc, v15, v1, vcc
	v_lshlrev_b32_e32 v2, 2, v8
	v_add_co_u32_e32 v0, vcc, v0, v2
	v_addc_co_u32_e32 v1, vcc, 0, v1, vcc
	v_mov_b32_e32 v2, s7
	v_add_co_u32_e32 v6, vcc, s6, v0
	v_addc_co_u32_e32 v7, vcc, v2, v1, vcc
	s_mov_b64 s[14:15], 0
	v_max_f32_e64 v17, s10, s10
	v_max_f32_e64 v18, s11, s11
	v_mov_b32_e32 v19, 8
	v_mov_b32_e32 v20, v8
.LBB0_29:                               ; =>This Inner Loop Header: Depth=1
	ds_read_b128 v[0:3], v16
	v_add_u32_e32 v20, 16, v20
	v_cmp_ge_i32_e32 vcc, v20, v14
	s_or_b64 s[14:15], vcc, s[14:15]
	v_add_u32_e32 v16, 0x100, v16
	s_waitcnt lgkmcnt(0)
	v_div_scale_f32 v21, s[0:1], v4, v4, v0
	v_div_scale_f32 v23, s[0:1], v4, v4, v1
	v_rcp_f32_e32 v29, v21
	v_div_scale_f32 v25, s[2:3], v4, v4, v2
	v_rcp_f32_e32 v30, v23
	v_rcp_f32_e32 v31, v25
	v_div_scale_f32 v27, s[4:5], v4, v4, v3
	v_rcp_f32_e32 v32, v27
	v_fma_f32 v33, -v21, v29, 1.0
	v_div_scale_f32 v22, vcc, v0, v4, v0
	v_fma_f32 v34, -v23, v30, 1.0
	v_fmac_f32_e32 v29, v33, v29
	v_div_scale_f32 v24, s[0:1], v1, v4, v1
	v_fma_f32 v35, -v25, v31, 1.0
	v_fmac_f32_e32 v30, v34, v30
	v_mul_f32_e32 v33, v22, v29
	v_div_scale_f32 v26, s[2:3], v2, v4, v2
	v_fmac_f32_e32 v31, v35, v31
	v_mul_f32_e32 v34, v24, v30
	v_fma_f32 v37, -v21, v33, v22
	v_fma_f32 v36, -v27, v32, 1.0
	v_mul_f32_e32 v35, v26, v31
	v_fma_f32 v38, -v23, v34, v24
	v_fmac_f32_e32 v33, v37, v29
	v_div_scale_f32 v28, s[4:5], v3, v4, v3
	v_fmac_f32_e32 v32, v36, v32
	v_fma_f32 v39, -v25, v35, v26
	v_fmac_f32_e32 v34, v38, v30
	v_fma_f32 v21, -v21, v33, v22
	v_mul_f32_e32 v36, v28, v32
	v_fmac_f32_e32 v35, v39, v31
	v_fma_f32 v22, -v23, v34, v24
	v_div_fmas_f32 v21, v21, v29, v33
	s_mov_b64 vcc, s[0:1]
	v_fma_f32 v40, -v27, v36, v28
	v_fma_f32 v23, -v25, v35, v26
	v_div_fixup_f32 v0, v21, v4, v0
	v_div_fmas_f32 v21, v22, v30, v34
	s_mov_b64 vcc, s[2:3]
	v_fmac_f32_e32 v36, v40, v32
	v_div_fixup_f32 v1, v21, v4, v1
	v_div_fmas_f32 v21, v23, v31, v35
	v_fma_f32 v24, -v27, v36, v28
	v_div_fixup_f32 v2, v21, v4, v2
	s_mov_b64 vcc, s[4:5]
	v_div_fmas_f32 v21, v24, v32, v36
	v_max_f32_e32 v2, v2, v17
	v_div_fixup_f32 v3, v21, v4, v3
	v_min_f32_e32 v2, v2, v18
	v_max_f32_e32 v0, v0, v17
	v_max_f32_e32 v1, v1, v17
	v_max_f32_e32 v3, v3, v17
	v_cvt_i32_f32_e32 v2, v2
	v_min_f32_e32 v0, v0, v18
	v_min_f32_e32 v1, v1, v18
	;; [unrolled: 1-line block ×3, first 2 shown]
	v_cvt_i32_f32_e32 v0, v0
	v_cvt_i32_f32_e32 v1, v1
	;; [unrolled: 1-line block ×3, first 2 shown]
	v_and_b32_e32 v2, 0xff, v2
	v_lshlrev_b32_e32 v2, 16, v2
	v_and_b32_e32 v0, 0xff, v0
	v_lshlrev_b32_sdwa v1, v19, v1 dst_sel:DWORD dst_unused:UNUSED_PAD src0_sel:DWORD src1_sel:BYTE_0
	v_lshl_or_b32 v2, v3, 24, v2
	v_or3_b32 v0, v2, v1, v0
	global_store_dword v[6:7], v0, off
	v_add_co_u32_e32 v6, vcc, 64, v6
	v_addc_co_u32_e32 v7, vcc, 0, v7, vcc
	s_andn2_b64 exec, exec, s[14:15]
	s_cbranch_execnz .LBB0_29
.LBB0_30:
	s_or_b64 exec, exec, s[12:13]
	v_lshlrev_b32_e32 v3, 2, v14
	v_add_u32_e32 v0, v3, v8
	v_cmp_lt_i32_e32 vcc, v0, v5
	s_and_saveexec_b64 s[2:3], vcc
	s_cbranch_execz .LBB0_40
; %bb.31:
	v_add_u32_e32 v1, 16, v0
	v_max_i32_e32 v6, v1, v5
	v_add_co_u32_e32 v2, vcc, v12, v11
	v_xad_u32 v6, v8, -1, v6
	v_addc_co_u32_e32 v12, vcc, v13, v15, vcc
	v_sub_u32_e32 v3, v6, v3
	v_cmp_lt_u32_e32 vcc, 15, v3
	s_mov_b64 s[0:1], 0
                                        ; implicit-def: $vgpr13
	s_and_saveexec_b64 s[4:5], vcc
	s_xor_b64 s[4:5], exec, s[4:5]
	s_cbranch_execnz .LBB0_34
; %bb.32:
	s_andn2_saveexec_b64 s[4:5], s[4:5]
	s_cbranch_execnz .LBB0_37
.LBB0_33:
	s_or_b64 exec, exec, s[4:5]
	s_and_b64 exec, exec, s[0:1]
	s_cbranch_execnz .LBB0_38
	s_branch .LBB0_40
.LBB0_34:
	v_lshrrev_b32_e32 v3, 4, v3
	v_add_u32_e32 v15, 1, v3
	v_lshlrev_b32_e32 v13, 2, v9
	v_lshlrev_b32_e32 v6, 4, v14
	;; [unrolled: 1-line block ×3, first 2 shown]
	v_and_b32_e32 v16, 0x1ffffffe, v15
	s_mov_b32 s0, s10
	s_mov_b32 s1, s10
	;; [unrolled: 1-line block ×4, first 2 shown]
	v_add3_u32 v6, v13, v6, v10
	v_lshlrev_b32_e32 v7, 2, v8
	v_mov_b32_e32 v3, v4
	v_add3_u32 v8, v6, v7, 0
	s_mov_b64 s[12:13], 0
	v_max_f32_e64 v9, s1, s1
	v_max_f32_e64 v11, s0, s0
	;; [unrolled: 1-line block ×4, first 2 shown]
	v_mov_b32_e32 v18, v16
	v_pk_mov_b32 v[6:7], v[0:1], v[0:1] op_sel:[0,1]
.LBB0_35:                               ; =>This Inner Loop Header: Depth=1
	ds_read2_b32 v[22:23], v8 offset1:16
	v_ashrrev_i32_e32 v19, 31, v6
	v_add_co_u32_e32 v24, vcc, v2, v6
	v_mov_b32_e32 v20, v7
	v_addc_co_u32_e32 v25, vcc, v12, v19, vcc
	v_ashrrev_i32_e32 v1, 31, v7
	v_add_co_u32_e32 v20, vcc, v2, v20
	v_addc_co_u32_e32 v21, vcc, v12, v1, vcc
	s_waitcnt lgkmcnt(0)
	v_div_scale_f32 v1, s[0:1], v4, v4, v22
	v_div_scale_f32 v26, s[0:1], v3, v3, v23
	v_rcp_f32_e32 v28, v1
	v_rcp_f32_e32 v29, v26
	v_div_scale_f32 v19, vcc, v22, v4, v22
	v_fma_f32 v30, -v1, v28, 1.0
	v_fma_f32 v31, -v26, v29, 1.0
	v_fmac_f32_e32 v28, v30, v28
	v_div_scale_f32 v27, s[0:1], v23, v3, v23
	v_fmac_f32_e32 v29, v31, v29
	v_mul_f32_e32 v30, v19, v28
	v_mul_f32_e32 v31, v27, v29
	v_fma_f32 v32, -v1, v30, v19
	v_fma_f32 v33, -v26, v31, v27
	v_fmac_f32_e32 v30, v32, v28
	v_fmac_f32_e32 v31, v33, v29
	v_fma_f32 v1, -v1, v30, v19
	v_fma_f32 v19, -v26, v31, v27
	v_div_fmas_f32 v1, v1, v28, v30
	s_mov_b64 vcc, s[0:1]
	v_div_fixup_f32 v1, v1, v4, v22
	v_div_fmas_f32 v19, v19, v29, v31
	v_div_fixup_f32 v19, v19, v3, v23
	v_max_f32_e32 v1, v1, v11
	v_max_f32_e32 v19, v19, v9
	v_min_f32_e32 v1, v1, v14
	v_min_f32_e32 v19, v19, v17
	v_cvt_i32_f32_e32 v1, v1
	v_add_u32_e32 v18, -2, v18
	v_cvt_i32_f32_e32 v19, v19
	v_cmp_eq_u32_e32 vcc, 0, v18
	v_add_u32_e32 v7, 32, v7
	v_add_u32_e32 v6, 32, v6
	;; [unrolled: 1-line block ×3, first 2 shown]
	s_or_b64 s[12:13], vcc, s[12:13]
	global_store_byte v[24:25], v1, off
	global_store_byte v[20:21], v19, off
	s_andn2_b64 exec, exec, s[12:13]
	s_cbranch_execnz .LBB0_35
; %bb.36:
	s_or_b64 exec, exec, s[12:13]
	v_cmp_ne_u32_e32 vcc, v15, v16
	v_lshl_add_u32 v0, v16, 4, v0
	s_and_b64 s[0:1], vcc, exec
                                        ; implicit-def: $vgpr9
	s_andn2_saveexec_b64 s[4:5], s[4:5]
	s_cbranch_execz .LBB0_33
.LBB0_37:
	v_lshlrev_b32_e32 v13, 2, v9
	s_or_b64 s[0:1], s[0:1], exec
	s_or_b64 exec, exec, s[4:5]
	s_and_b64 exec, exec, s[0:1]
	s_cbranch_execz .LBB0_40
.LBB0_38:
	v_lshl_add_u32 v1, v0, 2, v13
	v_add3_u32 v3, v1, v10, 0
	v_ashrrev_i32_e32 v1, 31, v0
	s_mov_b64 s[4:5], 0
	v_max_f32_e64 v6, s10, s10
	v_max_f32_e64 v7, s11, s11
.LBB0_39:                               ; =>This Inner Loop Header: Depth=1
	ds_read_b32 v10, v3
	v_add_co_u32_e32 v8, vcc, v2, v0
	v_addc_co_u32_e32 v9, vcc, v12, v1, vcc
	s_waitcnt lgkmcnt(0)
	v_div_scale_f32 v11, s[12:13], v4, v4, v10
	v_rcp_f32_e32 v13, v11
	v_div_scale_f32 v14, vcc, v10, v4, v10
	v_add_co_u32_e64 v0, s[0:1], 16, v0
	v_fma_f32 v15, -v11, v13, 1.0
	v_fmac_f32_e32 v13, v15, v13
	v_mul_f32_e32 v15, v14, v13
	v_fma_f32 v16, -v11, v15, v14
	v_fmac_f32_e32 v15, v16, v13
	v_fma_f32 v11, -v11, v15, v14
	v_div_fmas_f32 v11, v11, v13, v15
	v_div_fixup_f32 v10, v11, v4, v10
	v_max_f32_e32 v10, v10, v6
	v_min_f32_e32 v10, v10, v7
	v_cvt_i32_f32_e32 v10, v10
	v_addc_co_u32_e64 v1, vcc, 0, v1, s[0:1]
	v_cmp_ge_i32_e32 vcc, v0, v5
	v_add_u32_e32 v3, 64, v3
	s_or_b64 s[4:5], vcc, s[4:5]
	global_store_byte v[8:9], v10, off
	s_andn2_b64 exec, exec, s[4:5]
	s_cbranch_execnz .LBB0_39
.LBB0_40:
	s_or_b64 exec, exec, s[2:3]
                                        ; implicit-def: $vgpr8
                                        ; implicit-def: $vgpr4
                                        ; implicit-def: $vgpr9
                                        ; implicit-def: $vgpr0_vgpr1
.LBB0_41:
	s_andn2_saveexec_b64 s[0:1], s[8:9]
	s_cbranch_execz .LBB0_45
; %bb.42:
	s_ashr_i32 s8, s20, 2
	v_cmp_gt_i32_e32 vcc, s8, v8
	s_and_saveexec_b64 s[0:1], vcc
	s_cbranch_execz .LBB0_45
; %bb.43:
	v_lshlrev_b32_e32 v2, 2, v9
	v_lshlrev_b32_e32 v3, 4, v8
	v_add3_u32 v5, v2, v3, 0
	v_lshlrev_b32_e32 v2, 2, v8
	v_add_co_u32_e32 v0, vcc, v0, v2
	v_addc_co_u32_e32 v1, vcc, 0, v1, vcc
	v_mov_b32_e32 v2, s7
	v_add_co_u32_e32 v6, vcc, s6, v0
	v_addc_co_u32_e32 v7, vcc, v2, v1, vcc
	s_mov_b64 s[6:7], 0
	v_max_f32_e64 v9, s10, s10
	v_max_f32_e64 v10, s11, s11
	v_mov_b32_e32 v11, 8
.LBB0_44:                               ; =>This Inner Loop Header: Depth=1
	ds_read_b128 v[0:3], v5
	v_add_u32_e32 v8, 16, v8
	v_cmp_le_i32_e32 vcc, s8, v8
	s_or_b64 s[6:7], vcc, s[6:7]
	v_add_u32_e32 v5, 0x100, v5
	s_waitcnt lgkmcnt(0)
	v_div_scale_f32 v12, s[0:1], v4, v4, v0
	v_div_scale_f32 v14, s[0:1], v4, v4, v1
	v_rcp_f32_e32 v20, v12
	v_div_scale_f32 v16, s[2:3], v4, v4, v2
	v_rcp_f32_e32 v21, v14
	v_rcp_f32_e32 v22, v16
	v_div_scale_f32 v18, s[4:5], v4, v4, v3
	v_rcp_f32_e32 v23, v18
	v_fma_f32 v24, -v12, v20, 1.0
	v_div_scale_f32 v13, vcc, v0, v4, v0
	v_fma_f32 v25, -v14, v21, 1.0
	v_fmac_f32_e32 v20, v24, v20
	v_div_scale_f32 v15, s[0:1], v1, v4, v1
	v_fma_f32 v26, -v16, v22, 1.0
	v_fmac_f32_e32 v21, v25, v21
	v_mul_f32_e32 v24, v13, v20
	v_div_scale_f32 v17, s[2:3], v2, v4, v2
	v_fmac_f32_e32 v22, v26, v22
	v_mul_f32_e32 v25, v15, v21
	v_fma_f32 v28, -v12, v24, v13
	v_fma_f32 v27, -v18, v23, 1.0
	v_mul_f32_e32 v26, v17, v22
	v_fma_f32 v29, -v14, v25, v15
	v_fmac_f32_e32 v24, v28, v20
	v_div_scale_f32 v19, s[4:5], v3, v4, v3
	v_fmac_f32_e32 v23, v27, v23
	v_fma_f32 v30, -v16, v26, v17
	v_fmac_f32_e32 v25, v29, v21
	v_fma_f32 v12, -v12, v24, v13
	v_mul_f32_e32 v27, v19, v23
	v_fmac_f32_e32 v26, v30, v22
	v_fma_f32 v13, -v14, v25, v15
	v_div_fmas_f32 v12, v12, v20, v24
	s_mov_b64 vcc, s[0:1]
	v_fma_f32 v31, -v18, v27, v19
	v_fma_f32 v14, -v16, v26, v17
	v_div_fixup_f32 v0, v12, v4, v0
	v_div_fmas_f32 v12, v13, v21, v25
	s_mov_b64 vcc, s[2:3]
	v_fmac_f32_e32 v27, v31, v23
	v_div_fixup_f32 v1, v12, v4, v1
	v_div_fmas_f32 v12, v14, v22, v26
	v_fma_f32 v15, -v18, v27, v19
	v_div_fixup_f32 v2, v12, v4, v2
	s_mov_b64 vcc, s[4:5]
	v_div_fmas_f32 v12, v15, v23, v27
	v_max_f32_e32 v2, v2, v9
	v_div_fixup_f32 v3, v12, v4, v3
	v_min_f32_e32 v2, v2, v10
	v_max_f32_e32 v0, v0, v9
	v_max_f32_e32 v1, v1, v9
	;; [unrolled: 1-line block ×3, first 2 shown]
	v_cvt_i32_f32_e32 v2, v2
	v_min_f32_e32 v0, v0, v10
	v_min_f32_e32 v1, v1, v10
	;; [unrolled: 1-line block ×3, first 2 shown]
	v_cvt_i32_f32_e32 v0, v0
	v_cvt_i32_f32_e32 v1, v1
	;; [unrolled: 1-line block ×3, first 2 shown]
	v_and_b32_e32 v2, 0xff, v2
	v_lshlrev_b32_e32 v2, 16, v2
	v_and_b32_e32 v0, 0xff, v0
	v_lshlrev_b32_sdwa v1, v11, v1 dst_sel:DWORD dst_unused:UNUSED_PAD src0_sel:DWORD src1_sel:BYTE_0
	v_lshl_or_b32 v2, v3, 24, v2
	v_or3_b32 v0, v2, v1, v0
	global_store_dword v[6:7], v0, off
	v_add_co_u32_e32 v6, vcc, 64, v6
	v_addc_co_u32_e32 v7, vcc, 0, v7, vcc
	s_andn2_b64 exec, exec, s[6:7]
	s_cbranch_execnz .LBB0_44
.LBB0_45:
	s_endpgm
	.section	.rodata,"a",@progbits
	.p2align	6, 0x0
	.amdhsa_kernel _Z33per_token_group_quant_8bit_kernelIfaLb1ELb1EfEvPKT_PvPT3_iiifffii
		.amdhsa_group_segment_fixed_size 0
		.amdhsa_private_segment_fixed_size 0
		.amdhsa_kernarg_size 56
		.amdhsa_user_sgpr_count 6
		.amdhsa_user_sgpr_private_segment_buffer 1
		.amdhsa_user_sgpr_dispatch_ptr 0
		.amdhsa_user_sgpr_queue_ptr 0
		.amdhsa_user_sgpr_kernarg_segment_ptr 1
		.amdhsa_user_sgpr_dispatch_id 0
		.amdhsa_user_sgpr_flat_scratch_init 0
		.amdhsa_user_sgpr_kernarg_preload_length 0
		.amdhsa_user_sgpr_kernarg_preload_offset 0
		.amdhsa_user_sgpr_private_segment_size 0
		.amdhsa_uses_dynamic_stack 0
		.amdhsa_system_sgpr_private_segment_wavefront_offset 0
		.amdhsa_system_sgpr_workgroup_id_x 1
		.amdhsa_system_sgpr_workgroup_id_y 0
		.amdhsa_system_sgpr_workgroup_id_z 0
		.amdhsa_system_sgpr_workgroup_info 0
		.amdhsa_system_vgpr_workitem_id 0
		.amdhsa_next_free_vgpr 41
		.amdhsa_next_free_sgpr 21
		.amdhsa_accum_offset 44
		.amdhsa_reserve_vcc 1
		.amdhsa_reserve_flat_scratch 0
		.amdhsa_float_round_mode_32 0
		.amdhsa_float_round_mode_16_64 0
		.amdhsa_float_denorm_mode_32 3
		.amdhsa_float_denorm_mode_16_64 3
		.amdhsa_dx10_clamp 1
		.amdhsa_ieee_mode 1
		.amdhsa_fp16_overflow 0
		.amdhsa_tg_split 0
		.amdhsa_exception_fp_ieee_invalid_op 0
		.amdhsa_exception_fp_denorm_src 0
		.amdhsa_exception_fp_ieee_div_zero 0
		.amdhsa_exception_fp_ieee_overflow 0
		.amdhsa_exception_fp_ieee_underflow 0
		.amdhsa_exception_fp_ieee_inexact 0
		.amdhsa_exception_int_div_zero 0
	.end_amdhsa_kernel
	.section	.text._Z33per_token_group_quant_8bit_kernelIfaLb1ELb1EfEvPKT_PvPT3_iiifffii,"axG",@progbits,_Z33per_token_group_quant_8bit_kernelIfaLb1ELb1EfEvPKT_PvPT3_iiifffii,comdat
.Lfunc_end0:
	.size	_Z33per_token_group_quant_8bit_kernelIfaLb1ELb1EfEvPKT_PvPT3_iiifffii, .Lfunc_end0-_Z33per_token_group_quant_8bit_kernelIfaLb1ELb1EfEvPKT_PvPT3_iiifffii
                                        ; -- End function
	.section	.AMDGPU.csdata,"",@progbits
; Kernel info:
; codeLenInByte = 4048
; NumSgprs: 25
; NumVgprs: 41
; NumAgprs: 0
; TotalNumVgprs: 41
; ScratchSize: 0
; MemoryBound: 0
; FloatMode: 240
; IeeeMode: 1
; LDSByteSize: 0 bytes/workgroup (compile time only)
; SGPRBlocks: 3
; VGPRBlocks: 5
; NumSGPRsForWavesPerEU: 25
; NumVGPRsForWavesPerEU: 41
; AccumOffset: 44
; Occupancy: 8
; WaveLimiterHint : 0
; COMPUTE_PGM_RSRC2:SCRATCH_EN: 0
; COMPUTE_PGM_RSRC2:USER_SGPR: 6
; COMPUTE_PGM_RSRC2:TRAP_HANDLER: 0
; COMPUTE_PGM_RSRC2:TGID_X_EN: 1
; COMPUTE_PGM_RSRC2:TGID_Y_EN: 0
; COMPUTE_PGM_RSRC2:TGID_Z_EN: 0
; COMPUTE_PGM_RSRC2:TIDIG_COMP_CNT: 0
; COMPUTE_PGM_RSRC3_GFX90A:ACCUM_OFFSET: 10
; COMPUTE_PGM_RSRC3_GFX90A:TG_SPLIT: 0
	.section	.text._Z33per_token_group_quant_8bit_kernelIfaLb1ELb0EfEvPKT_PvPT3_iiifffii,"axG",@progbits,_Z33per_token_group_quant_8bit_kernelIfaLb1ELb0EfEvPKT_PvPT3_iiifffii,comdat
	.protected	_Z33per_token_group_quant_8bit_kernelIfaLb1ELb0EfEvPKT_PvPT3_iiifffii ; -- Begin function _Z33per_token_group_quant_8bit_kernelIfaLb1ELb0EfEvPKT_PvPT3_iiifffii
	.globl	_Z33per_token_group_quant_8bit_kernelIfaLb1ELb0EfEvPKT_PvPT3_iiifffii
	.p2align	8
	.type	_Z33per_token_group_quant_8bit_kernelIfaLb1ELb0EfEvPKT_PvPT3_iiifffii,@function
_Z33per_token_group_quant_8bit_kernelIfaLb1ELb0EfEvPKT_PvPT3_iiifffii: ; @_Z33per_token_group_quant_8bit_kernelIfaLb1ELb0EfEvPKT_PvPT3_iiifffii
; %bb.0:
	s_load_dword s20, s[4:5], 0x18
	s_load_dwordx2 s[0:1], s[4:5], 0x0
	s_load_dwordx4 s[8:11], s[4:5], 0x20
	s_load_dwordx2 s[2:3], s[4:5], 0x30
	v_lshrrev_b32_e32 v4, 4, v0
	s_waitcnt lgkmcnt(0)
	s_ashr_i32 s12, s20, 31
	v_and_b32_e32 v8, 15, v0
	s_mul_i32 s6, s6, s8
	v_add_co_u32_e32 v11, vcc, s6, v4
	v_addc_co_u32_e64 v12, s[6:7], 0, 0, vcc
	v_mul_lo_u32 v2, v12, s20
	v_mul_lo_u32 v3, v11, s12
	v_mad_u64_u32 v[0:1], s[6:7], v11, s20, 0
	v_add3_u32 v1, v1, v3, v2
	v_lshlrev_b64 v[2:3], 2, v[0:1]
	s_and_b32 s6, s20, 3
	v_mov_b32_e32 v6, s1
	v_add_co_u32_e32 v5, vcc, s0, v2
	s_cmp_eq_u32 s6, 0
	v_addc_co_u32_e32 v6, vcc, v6, v3, vcc
	v_mov_b32_e32 v15, 0
	v_and_b32_e32 v14, 15, v5
	s_cselect_b64 s[12:13], -1, 0
	s_cmp_lg_u32 s6, 0
	v_mul_lo_u32 v9, v4, s20
	v_cmp_ne_u64_e32 vcc, 0, v[14:15]
	s_cselect_b64 s[6:7], -1, 0
	v_lshl_add_u32 v10, v9, 2, 0
	s_or_b64 s[6:7], s[6:7], vcc
                                        ; implicit-def: $vgpr13
	s_and_saveexec_b64 s[14:15], s[6:7]
	s_xor_b64 s[6:7], exec, s[14:15]
	s_cbranch_execz .LBB1_12
; %bb.1:
	v_sub_u32_e32 v4, 0, v5
	v_bfe_u32 v4, v4, 2, 2
	v_min_i32_e32 v4, s20, v4
	v_cmp_gt_i32_e32 vcc, v4, v8
	v_mov_b32_e32 v13, s9
	s_and_saveexec_b64 s[14:15], vcc
	s_cbranch_execz .LBB1_3
; %bb.2:
	v_lshlrev_b32_e32 v7, 2, v8
	v_add_co_u32_e32 v14, vcc, v5, v7
	v_addc_co_u32_e32 v15, vcc, 0, v6, vcc
	global_load_dword v5, v[14:15], off
	v_max_f32_e64 v6, s9, s9
	v_add_u32_e32 v7, v10, v7
	s_waitcnt vmcnt(0)
	v_max_f32_e64 v13, |v5|, |v5|
	v_max_f32_e32 v13, v6, v13
	ds_write_b32 v7, v5
.LBB1_3:
	s_or_b64 exec, exec, s[14:15]
	v_sub_u32_e32 v14, s20, v4
	v_ashrrev_i32_e32 v6, 31, v14
	v_lshrrev_b32_e32 v6, 30, v6
	v_add_u32_e32 v6, v14, v6
	v_ashrrev_i32_e32 v5, 31, v4
	v_ashrrev_i32_e32 v15, 2, v6
	v_cmp_gt_i32_e32 vcc, v15, v8
	v_lshlrev_b32_e32 v16, 2, v4
	v_lshlrev_b64 v[4:5], 2, v[4:5]
	s_and_saveexec_b64 s[14:15], vcc
	s_cbranch_execz .LBB1_7
; %bb.4:
	v_lshlrev_b32_e32 v6, 4, v8
	v_lshl_add_u32 v7, v9, 2, v6
	v_add_co_u32_e32 v6, vcc, v2, v6
	v_add3_u32 v17, v7, v16, 0
	v_addc_co_u32_e32 v7, vcc, 0, v3, vcc
	v_add_co_u32_e32 v6, vcc, v6, v4
	v_addc_co_u32_e32 v7, vcc, v7, v5, vcc
	v_mov_b32_e32 v18, s1
	v_add_co_u32_e32 v6, vcc, s0, v6
	v_addc_co_u32_e32 v7, vcc, v7, v18, vcc
	v_add_co_u32_e32 v6, vcc, 8, v6
	v_addc_co_u32_e32 v7, vcc, 0, v7, vcc
	s_mov_b64 s[16:17], 0
	v_mov_b32_e32 v18, v8
.LBB1_5:                                ; =>This Inner Loop Header: Depth=1
	global_load_dwordx4 v[20:23], v[6:7], off offset:-8
	v_add_co_u32_e32 v6, vcc, 0x100, v6
	v_add_u32_e32 v18, 16, v18
	v_addc_co_u32_e32 v7, vcc, 0, v7, vcc
	v_cmp_ge_i32_e32 vcc, v18, v15
	s_or_b64 s[16:17], vcc, s[16:17]
	s_waitcnt vmcnt(0)
	v_max3_f32 v13, v13, |v20|, |v21|
	ds_write_b128 v17, v[20:23]
	v_add_u32_e32 v17, 0x100, v17
	v_max3_f32 v13, v13, |v22|, |v23|
	s_andn2_b64 exec, exec, s[16:17]
	s_cbranch_execnz .LBB1_5
; %bb.6:
	s_or_b64 exec, exec, s[16:17]
.LBB1_7:
	s_or_b64 exec, exec, s[14:15]
	v_lshl_add_u32 v6, v15, 2, v8
	v_cmp_lt_i32_e32 vcc, v6, v14
	s_and_saveexec_b64 s[14:15], vcc
	s_cbranch_execz .LBB1_11
; %bb.8:
	v_lshlrev_b32_e32 v7, 2, v9
	v_lshlrev_b32_e32 v15, 4, v15
	v_add3_u32 v7, v7, v15, v16
	v_lshlrev_b32_e32 v15, 2, v8
	v_add3_u32 v15, v7, v15, 0
	v_add_co_u32_e32 v4, vcc, v2, v4
	v_ashrrev_i32_e32 v7, 31, v6
	v_addc_co_u32_e32 v5, vcc, v3, v5, vcc
	v_lshlrev_b64 v[2:3], 2, v[6:7]
	v_add_co_u32_e32 v2, vcc, v4, v2
	v_addc_co_u32_e32 v3, vcc, v5, v3, vcc
	v_mov_b32_e32 v4, s1
	v_add_co_u32_e32 v2, vcc, s0, v2
	v_addc_co_u32_e32 v3, vcc, v4, v3, vcc
	s_mov_b64 s[16:17], 0
.LBB1_9:                                ; =>This Inner Loop Header: Depth=1
	global_load_dword v4, v[2:3], off
	v_add_co_u32_e32 v2, vcc, 64, v2
	v_add_u32_e32 v6, 16, v6
	v_addc_co_u32_e32 v3, vcc, 0, v3, vcc
	v_max_f32_e32 v5, v13, v13
	v_cmp_ge_i32_e32 vcc, v6, v14
	s_or_b64 s[16:17], vcc, s[16:17]
	s_waitcnt vmcnt(0)
	v_max_f32_e64 v7, |v4|, |v4|
	ds_write_b32 v15, v4
	v_add_u32_e32 v15, 64, v15
	v_max_f32_e32 v13, v5, v7
	s_andn2_b64 exec, exec, s[16:17]
	s_cbranch_execnz .LBB1_9
; %bb.10:
	s_or_b64 exec, exec, s[16:17]
.LBB1_11:
	s_or_b64 exec, exec, s[14:15]
                                        ; implicit-def: $vgpr2_vgpr3
.LBB1_12:
	s_andn2_saveexec_b64 s[6:7], s[6:7]
	s_cbranch_execz .LBB1_18
; %bb.13:
	s_ashr_i32 s8, s20, 2
	v_cmp_gt_i32_e32 vcc, s8, v8
	v_mov_b32_e32 v13, s9
	s_and_saveexec_b64 s[14:15], vcc
	s_cbranch_execz .LBB1_17
; %bb.14:
	v_lshlrev_b32_e32 v5, 4, v8
	v_add_co_u32_e32 v2, vcc, v2, v5
	v_lshlrev_b32_e32 v4, 2, v9
	v_addc_co_u32_e32 v3, vcc, 0, v3, vcc
	v_add3_u32 v4, v4, v5, 0
	v_mov_b32_e32 v5, s1
	v_add_co_u32_e32 v2, vcc, s0, v2
	v_addc_co_u32_e32 v3, vcc, v3, v5, vcc
	v_add_co_u32_e32 v2, vcc, 8, v2
	v_addc_co_u32_e32 v3, vcc, 0, v3, vcc
	s_mov_b64 s[0:1], 0
	v_mov_b32_e32 v13, s9
	v_mov_b32_e32 v5, v8
.LBB1_15:                               ; =>This Inner Loop Header: Depth=1
	global_load_dwordx4 v[14:17], v[2:3], off offset:-8
	v_add_co_u32_e32 v2, vcc, 0x100, v2
	v_add_u32_e32 v5, 16, v5
	v_addc_co_u32_e32 v3, vcc, 0, v3, vcc
	v_cmp_le_i32_e32 vcc, s8, v5
	s_or_b64 s[0:1], vcc, s[0:1]
	s_waitcnt vmcnt(0)
	v_max3_f32 v6, v13, |v14|, |v15|
	ds_write_b128 v4, v[14:17]
	v_add_u32_e32 v4, 0x100, v4
	v_max3_f32 v13, v6, |v16|, |v17|
	s_andn2_b64 exec, exec, s[0:1]
	s_cbranch_execnz .LBB1_15
; %bb.16:
	s_or_b64 exec, exec, s[0:1]
.LBB1_17:
	s_or_b64 exec, exec, s[14:15]
.LBB1_18:
	s_or_b64 exec, exec, s[6:7]
	v_mbcnt_lo_u32_b32 v2, -1, 0
	v_mbcnt_hi_u32_b32 v2, -1, v2
	v_and_b32_e32 v4, 0x70, v2
	v_xor_b32_e32 v3, 8, v2
	v_add_u32_e32 v4, 16, v4
	v_cmp_lt_i32_e32 vcc, v3, v4
	v_cndmask_b32_e32 v3, v2, v3, vcc
	v_lshlrev_b32_e32 v3, 2, v3
	ds_bpermute_b32 v3, v3, v13
	v_xor_b32_e32 v6, 4, v2
	v_max_f32_e32 v5, v13, v13
	v_cmp_lt_i32_e32 vcc, v6, v4
	s_load_dwordx2 s[6:7], s[4:5], 0x8
	s_waitcnt lgkmcnt(0)
	v_max_f32_e32 v3, v3, v3
	v_max_f32_e32 v3, v5, v3
	v_cndmask_b32_e32 v5, v2, v6, vcc
	v_lshlrev_b32_e32 v5, 2, v5
	ds_bpermute_b32 v5, v5, v3
	v_xor_b32_e32 v6, 2, v2
	v_cmp_lt_i32_e32 vcc, v6, v4
	s_waitcnt lgkmcnt(0)
	v_max_f32_e32 v5, v5, v5
	v_max_f32_e32 v3, v3, v5
	v_cndmask_b32_e32 v5, v2, v6, vcc
	v_lshlrev_b32_e32 v5, 2, v5
	ds_bpermute_b32 v5, v5, v3
	v_xor_b32_e32 v6, 1, v2
	v_cmp_lt_i32_e32 vcc, v6, v4
	v_cndmask_b32_e32 v2, v2, v6, vcc
	v_lshlrev_b32_e32 v2, 2, v2
	s_waitcnt lgkmcnt(0)
	v_max_f32_e32 v5, v5, v5
	v_max_f32_e32 v3, v3, v5
	ds_bpermute_b32 v2, v2, v3
	s_waitcnt lgkmcnt(0)
	v_max_f32_e32 v2, v2, v2
	v_max_f32_e32 v2, v3, v2
	v_div_scale_f32 v3, s[0:1], s11, s11, v2
	v_rcp_f32_e32 v4, v3
	v_div_scale_f32 v5, vcc, v2, s11, v2
	v_fma_f32 v6, -v3, v4, 1.0
	v_fmac_f32_e32 v4, v6, v4
	v_mul_f32_e32 v6, v5, v4
	v_fma_f32 v7, -v3, v6, v5
	v_fmac_f32_e32 v6, v7, v4
	v_fma_f32 v3, -v3, v6, v5
	v_div_fmas_f32 v3, v3, v4, v6
	v_div_fixup_f32 v4, v3, s11, v2
	v_cmp_eq_u32_e32 vcc, 0, v8
	s_and_saveexec_b64 s[8:9], vcc
	s_cbranch_execz .LBB1_24
; %bb.19:
	s_load_dwordx2 s[4:5], s[4:5], 0x10
	s_ashr_i32 s0, s2, 31
	v_or_b32_e32 v3, s0, v12
	v_mov_b32_e32 v2, 0
	v_cmp_ne_u64_e32 vcc, 0, v[2:3]
                                        ; implicit-def: $vgpr2_vgpr3
	s_and_saveexec_b64 s[14:15], vcc
	s_xor_b64 s[14:15], exec, s[14:15]
	s_cbranch_execz .LBB1_21
; %bb.20:
	s_add_u32 s18, s2, s0
	s_mov_b32 s16, s0
	s_mov_b32 s17, s0
	s_addc_u32 s19, s0, s0
	s_xor_b64 s[18:19], s[18:19], s[16:17]
	v_cvt_f32_u32_e32 v2, s18
	v_cvt_f32_u32_e32 v3, s19
	s_sub_u32 s0, 0, s18
	s_subb_u32 s1, 0, s19
	v_madmk_f32 v2, v3, 0x4f800000, v2
	v_rcp_f32_e32 v2, v2
	v_mul_f32_e32 v2, 0x5f7ffffc, v2
	v_mul_f32_e32 v3, 0x2f800000, v2
	v_trunc_f32_e32 v3, v3
	v_madmk_f32 v2, v3, 0xcf800000, v2
	v_cvt_u32_f32_e32 v3, v3
	v_cvt_u32_f32_e32 v2, v2
	v_mul_lo_u32 v5, s0, v3
	v_mul_hi_u32 v7, s0, v2
	v_mul_lo_u32 v6, s1, v2
	v_add_u32_e32 v5, v7, v5
	v_mul_lo_u32 v13, s0, v2
	v_add_u32_e32 v5, v5, v6
	v_mul_lo_u32 v7, v2, v5
	v_mul_hi_u32 v14, v2, v13
	v_mul_hi_u32 v6, v2, v5
	v_add_co_u32_e32 v7, vcc, v14, v7
	v_addc_co_u32_e32 v6, vcc, 0, v6, vcc
	v_mul_hi_u32 v15, v3, v13
	v_mul_lo_u32 v13, v3, v13
	v_add_co_u32_e32 v7, vcc, v7, v13
	v_mul_hi_u32 v14, v3, v5
	v_addc_co_u32_e32 v6, vcc, v6, v15, vcc
	v_addc_co_u32_e32 v7, vcc, 0, v14, vcc
	v_mul_lo_u32 v5, v3, v5
	v_add_co_u32_e32 v5, vcc, v6, v5
	v_addc_co_u32_e32 v6, vcc, 0, v7, vcc
	v_add_co_u32_e32 v2, vcc, v2, v5
	v_addc_co_u32_e32 v3, vcc, v3, v6, vcc
	v_mul_lo_u32 v5, s0, v3
	v_mul_hi_u32 v6, s0, v2
	v_add_u32_e32 v5, v6, v5
	v_mul_lo_u32 v6, s1, v2
	v_add_u32_e32 v5, v5, v6
	v_mul_lo_u32 v7, s0, v2
	v_mul_hi_u32 v13, v3, v7
	v_mul_lo_u32 v14, v3, v7
	v_mul_lo_u32 v16, v2, v5
	v_mul_hi_u32 v7, v2, v7
	v_mul_hi_u32 v15, v2, v5
	v_add_co_u32_e32 v7, vcc, v7, v16
	v_addc_co_u32_e32 v15, vcc, 0, v15, vcc
	v_add_co_u32_e32 v7, vcc, v7, v14
	v_mul_hi_u32 v6, v3, v5
	v_addc_co_u32_e32 v7, vcc, v15, v13, vcc
	v_addc_co_u32_e32 v6, vcc, 0, v6, vcc
	v_mul_lo_u32 v5, v3, v5
	v_add_co_u32_e32 v5, vcc, v7, v5
	v_addc_co_u32_e32 v6, vcc, 0, v6, vcc
	v_add_co_u32_e32 v5, vcc, v2, v5
	v_addc_co_u32_e32 v6, vcc, v3, v6, vcc
	v_mad_u64_u32 v[2:3], s[0:1], v11, v6, 0
	v_mul_hi_u32 v7, v11, v5
	v_add_co_u32_e32 v13, vcc, v7, v2
	v_addc_co_u32_e32 v14, vcc, 0, v3, vcc
	v_mad_u64_u32 v[2:3], s[0:1], v12, v6, 0
	v_mad_u64_u32 v[6:7], s[0:1], v12, v5, 0
	v_add_co_u32_e32 v5, vcc, v13, v6
	v_addc_co_u32_e32 v5, vcc, v14, v7, vcc
	v_addc_co_u32_e32 v3, vcc, 0, v3, vcc
	v_add_co_u32_e32 v5, vcc, v5, v2
	v_addc_co_u32_e32 v2, vcc, 0, v3, vcc
	v_mul_lo_u32 v6, s19, v5
	v_mul_lo_u32 v7, s18, v2
	v_mad_u64_u32 v[2:3], s[0:1], s18, v5, 0
	v_add3_u32 v3, v3, v7, v6
	v_sub_u32_e32 v6, v12, v3
	v_mov_b32_e32 v7, s19
	v_sub_co_u32_e32 v2, vcc, v11, v2
	v_subb_co_u32_e64 v6, s[0:1], v6, v7, vcc
	v_subrev_co_u32_e64 v7, s[0:1], s18, v2
	v_subbrev_co_u32_e64 v6, s[0:1], 0, v6, s[0:1]
	v_cmp_le_u32_e64 s[0:1], s19, v6
	v_subb_co_u32_e32 v3, vcc, v12, v3, vcc
	v_cndmask_b32_e64 v13, 0, -1, s[0:1]
	v_cmp_le_u32_e64 s[0:1], s18, v7
	v_cmp_le_u32_e32 vcc, s19, v3
	v_cndmask_b32_e64 v7, 0, -1, s[0:1]
	v_cmp_eq_u32_e64 s[0:1], s19, v6
	v_cndmask_b32_e64 v12, 0, -1, vcc
	v_cmp_le_u32_e32 vcc, s18, v2
	v_cndmask_b32_e64 v6, v13, v7, s[0:1]
	v_cndmask_b32_e64 v2, 0, -1, vcc
	v_cmp_eq_u32_e32 vcc, s19, v3
	v_add_co_u32_e64 v7, s[0:1], 2, v5
	v_add_co_u32_e64 v13, s[0:1], 1, v5
	v_cndmask_b32_e32 v2, v12, v2, vcc
	v_cmp_ne_u32_e32 vcc, 0, v6
	v_cndmask_b32_e32 v3, v13, v7, vcc
	v_cmp_ne_u32_e32 vcc, 0, v2
	v_cndmask_b32_e32 v2, v5, v3, vcc
	v_xor_b32_e32 v2, s16, v2
	v_subrev_co_u32_e32 v2, vcc, s16, v2
.LBB1_21:
	s_andn2_saveexec_b64 s[0:1], s[14:15]
	s_cbranch_execz .LBB1_23
; %bb.22:
	v_cvt_f32_u32_e32 v2, s2
	s_sub_i32 s14, 0, s2
	v_rcp_iflag_f32_e32 v2, v2
	v_mul_f32_e32 v2, 0x4f7ffffe, v2
	v_cvt_u32_f32_e32 v2, v2
	v_mul_lo_u32 v3, s14, v2
	v_mul_hi_u32 v3, v2, v3
	v_add_u32_e32 v2, v2, v3
	v_mul_hi_u32 v2, v11, v2
	v_mul_lo_u32 v3, v2, s2
	v_sub_u32_e32 v3, v11, v3
	v_add_u32_e32 v5, 1, v2
	v_subrev_u32_e32 v6, s2, v3
	v_cmp_le_u32_e32 vcc, s2, v3
	v_cndmask_b32_e32 v3, v3, v6, vcc
	v_cndmask_b32_e32 v2, v2, v5, vcc
	v_add_u32_e32 v5, 1, v2
	v_cmp_le_u32_e32 vcc, s2, v3
	v_cndmask_b32_e32 v2, v2, v5, vcc
.LBB1_23:
	s_or_b64 exec, exec, s[0:1]
	v_mul_lo_u32 v3, v2, s2
	v_sub_u32_e32 v3, v11, v3
	v_mad_u64_u32 v[2:3], s[0:1], v3, s3, v[2:3]
	v_ashrrev_i32_e32 v3, 31, v2
	v_lshlrev_b64 v[2:3], 2, v[2:3]
	s_waitcnt lgkmcnt(0)
	v_mov_b32_e32 v5, s5
	v_add_co_u32_e32 v2, vcc, s4, v2
	v_addc_co_u32_e32 v3, vcc, v5, v3, vcc
	global_store_dword v[2:3], v4, off
.LBB1_24:
	s_or_b64 exec, exec, s[8:9]
	v_and_b32_e32 v2, 15, v10
	v_mov_b32_e32 v3, 0
	v_cmp_ne_u64_e32 vcc, 0, v[2:3]
	s_xor_b64 s[0:1], s[12:13], -1
	s_or_b64 s[0:1], s[0:1], vcc
	s_barrier
	s_and_saveexec_b64 s[2:3], s[0:1]
	s_xor_b64 s[8:9], exec, s[2:3]
	s_cbranch_execz .LBB1_41
; %bb.25:
	v_mov_b32_e32 v2, s7
	v_add_co_u32_e32 v12, vcc, s6, v0
	v_addc_co_u32_e32 v13, vcc, v2, v1, vcc
	v_sub_u32_e32 v2, 0, v10
	v_bfe_u32 v2, v2, 2, 2
	v_min_i32_e32 v11, s20, v2
	v_cmp_gt_i32_e32 vcc, v11, v8
	s_and_saveexec_b64 s[0:1], vcc
	s_cbranch_execz .LBB1_27
; %bb.26:
	v_lshl_add_u32 v2, v8, 2, v10
	ds_read_b32 v2, v2
	v_max_f32_e64 v3, s10, s10
	v_max_f32_e64 v7, s11, s11
	s_waitcnt lgkmcnt(0)
	v_div_scale_f32 v5, s[2:3], v4, v4, v2
	v_rcp_f32_e32 v6, v5
	v_div_scale_f32 v10, vcc, v2, v4, v2
	v_fma_f32 v14, -v5, v6, 1.0
	v_fmac_f32_e32 v6, v14, v6
	v_mul_f32_e32 v14, v10, v6
	v_fma_f32 v15, -v5, v14, v10
	v_fmac_f32_e32 v14, v15, v6
	v_fma_f32 v5, -v5, v14, v10
	v_div_fmas_f32 v5, v5, v6, v14
	v_div_fixup_f32 v2, v5, v4, v2
	v_max_f32_e32 v2, v2, v3
	v_min_f32_e32 v2, v2, v7
	v_cvt_i32_f32_e32 v5, v2
	v_add_co_u32_e32 v2, vcc, v12, v8
	v_addc_co_u32_e32 v3, vcc, 0, v13, vcc
	global_store_byte v[2:3], v5, off
.LBB1_27:
	s_or_b64 exec, exec, s[0:1]
	v_sub_u32_e32 v5, s20, v11
	v_ashrrev_i32_e32 v2, 31, v5
	v_lshrrev_b32_e32 v2, 30, v2
	v_add_u32_e32 v2, v5, v2
	v_ashrrev_i32_e32 v14, 2, v2
	v_ashrrev_i32_e32 v15, 31, v11
	v_cmp_gt_i32_e32 vcc, v14, v8
	v_lshlrev_b32_e32 v10, 2, v11
	s_and_saveexec_b64 s[12:13], vcc
	s_cbranch_execz .LBB1_30
; %bb.28:
	v_lshlrev_b32_e32 v2, 4, v8
	v_lshl_add_u32 v2, v9, 2, v2
	v_lshlrev_b32_e32 v3, 2, v11
	v_add_co_u32_e32 v0, vcc, v11, v0
	v_add3_u32 v16, v2, v3, 0
	v_addc_co_u32_e32 v1, vcc, v15, v1, vcc
	v_lshlrev_b32_e32 v2, 2, v8
	v_add_co_u32_e32 v0, vcc, v0, v2
	v_addc_co_u32_e32 v1, vcc, 0, v1, vcc
	v_mov_b32_e32 v2, s7
	v_add_co_u32_e32 v6, vcc, s6, v0
	v_addc_co_u32_e32 v7, vcc, v2, v1, vcc
	s_mov_b64 s[14:15], 0
	v_max_f32_e64 v17, s10, s10
	v_max_f32_e64 v18, s11, s11
	v_mov_b32_e32 v19, 8
	v_mov_b32_e32 v20, v8
.LBB1_29:                               ; =>This Inner Loop Header: Depth=1
	ds_read_b128 v[0:3], v16
	v_add_u32_e32 v20, 16, v20
	v_cmp_ge_i32_e32 vcc, v20, v14
	s_or_b64 s[14:15], vcc, s[14:15]
	v_add_u32_e32 v16, 0x100, v16
	s_waitcnt lgkmcnt(0)
	v_div_scale_f32 v21, s[0:1], v4, v4, v0
	v_div_scale_f32 v23, s[0:1], v4, v4, v1
	v_rcp_f32_e32 v29, v21
	v_div_scale_f32 v25, s[2:3], v4, v4, v2
	v_rcp_f32_e32 v30, v23
	v_rcp_f32_e32 v31, v25
	v_div_scale_f32 v27, s[4:5], v4, v4, v3
	v_rcp_f32_e32 v32, v27
	v_fma_f32 v33, -v21, v29, 1.0
	v_div_scale_f32 v22, vcc, v0, v4, v0
	v_fma_f32 v34, -v23, v30, 1.0
	v_fmac_f32_e32 v29, v33, v29
	v_div_scale_f32 v24, s[0:1], v1, v4, v1
	v_fma_f32 v35, -v25, v31, 1.0
	v_fmac_f32_e32 v30, v34, v30
	v_mul_f32_e32 v33, v22, v29
	v_div_scale_f32 v26, s[2:3], v2, v4, v2
	v_fmac_f32_e32 v31, v35, v31
	v_mul_f32_e32 v34, v24, v30
	v_fma_f32 v37, -v21, v33, v22
	v_fma_f32 v36, -v27, v32, 1.0
	v_mul_f32_e32 v35, v26, v31
	v_fma_f32 v38, -v23, v34, v24
	v_fmac_f32_e32 v33, v37, v29
	v_div_scale_f32 v28, s[4:5], v3, v4, v3
	v_fmac_f32_e32 v32, v36, v32
	v_fma_f32 v39, -v25, v35, v26
	v_fmac_f32_e32 v34, v38, v30
	v_fma_f32 v21, -v21, v33, v22
	v_mul_f32_e32 v36, v28, v32
	v_fmac_f32_e32 v35, v39, v31
	v_fma_f32 v22, -v23, v34, v24
	v_div_fmas_f32 v21, v21, v29, v33
	s_mov_b64 vcc, s[0:1]
	v_fma_f32 v40, -v27, v36, v28
	v_fma_f32 v23, -v25, v35, v26
	v_div_fixup_f32 v0, v21, v4, v0
	v_div_fmas_f32 v21, v22, v30, v34
	s_mov_b64 vcc, s[2:3]
	v_fmac_f32_e32 v36, v40, v32
	v_div_fixup_f32 v1, v21, v4, v1
	v_div_fmas_f32 v21, v23, v31, v35
	v_fma_f32 v24, -v27, v36, v28
	v_div_fixup_f32 v2, v21, v4, v2
	s_mov_b64 vcc, s[4:5]
	v_div_fmas_f32 v21, v24, v32, v36
	v_max_f32_e32 v2, v2, v17
	v_div_fixup_f32 v3, v21, v4, v3
	v_min_f32_e32 v2, v2, v18
	v_max_f32_e32 v0, v0, v17
	v_max_f32_e32 v1, v1, v17
	;; [unrolled: 1-line block ×3, first 2 shown]
	v_cvt_i32_f32_e32 v2, v2
	v_min_f32_e32 v0, v0, v18
	v_min_f32_e32 v1, v1, v18
	;; [unrolled: 1-line block ×3, first 2 shown]
	v_cvt_i32_f32_e32 v0, v0
	v_cvt_i32_f32_e32 v1, v1
	;; [unrolled: 1-line block ×3, first 2 shown]
	v_and_b32_e32 v2, 0xff, v2
	v_lshlrev_b32_e32 v2, 16, v2
	v_and_b32_e32 v0, 0xff, v0
	v_lshlrev_b32_sdwa v1, v19, v1 dst_sel:DWORD dst_unused:UNUSED_PAD src0_sel:DWORD src1_sel:BYTE_0
	v_lshl_or_b32 v2, v3, 24, v2
	v_or3_b32 v0, v2, v1, v0
	global_store_dword v[6:7], v0, off
	v_add_co_u32_e32 v6, vcc, 64, v6
	v_addc_co_u32_e32 v7, vcc, 0, v7, vcc
	s_andn2_b64 exec, exec, s[14:15]
	s_cbranch_execnz .LBB1_29
.LBB1_30:
	s_or_b64 exec, exec, s[12:13]
	v_lshlrev_b32_e32 v3, 2, v14
	v_add_u32_e32 v0, v3, v8
	v_cmp_lt_i32_e32 vcc, v0, v5
	s_and_saveexec_b64 s[2:3], vcc
	s_cbranch_execz .LBB1_40
; %bb.31:
	v_add_u32_e32 v1, 16, v0
	v_max_i32_e32 v6, v1, v5
	v_add_co_u32_e32 v2, vcc, v12, v11
	v_xad_u32 v6, v8, -1, v6
	v_addc_co_u32_e32 v12, vcc, v13, v15, vcc
	v_sub_u32_e32 v3, v6, v3
	v_cmp_lt_u32_e32 vcc, 15, v3
	s_mov_b64 s[0:1], 0
                                        ; implicit-def: $vgpr13
	s_and_saveexec_b64 s[4:5], vcc
	s_xor_b64 s[4:5], exec, s[4:5]
	s_cbranch_execnz .LBB1_34
; %bb.32:
	s_andn2_saveexec_b64 s[4:5], s[4:5]
	s_cbranch_execnz .LBB1_37
.LBB1_33:
	s_or_b64 exec, exec, s[4:5]
	s_and_b64 exec, exec, s[0:1]
	s_cbranch_execnz .LBB1_38
	s_branch .LBB1_40
.LBB1_34:
	v_lshrrev_b32_e32 v3, 4, v3
	v_add_u32_e32 v15, 1, v3
	v_lshlrev_b32_e32 v13, 2, v9
	v_lshlrev_b32_e32 v6, 4, v14
	;; [unrolled: 1-line block ×3, first 2 shown]
	v_and_b32_e32 v16, 0x1ffffffe, v15
	s_mov_b32 s0, s10
	s_mov_b32 s1, s10
	;; [unrolled: 1-line block ×4, first 2 shown]
	v_add3_u32 v6, v13, v6, v10
	v_lshlrev_b32_e32 v7, 2, v8
	v_mov_b32_e32 v3, v4
	v_add3_u32 v8, v6, v7, 0
	s_mov_b64 s[12:13], 0
	v_max_f32_e64 v9, s1, s1
	v_max_f32_e64 v11, s0, s0
	;; [unrolled: 1-line block ×4, first 2 shown]
	v_mov_b32_e32 v18, v16
	v_pk_mov_b32 v[6:7], v[0:1], v[0:1] op_sel:[0,1]
.LBB1_35:                               ; =>This Inner Loop Header: Depth=1
	ds_read2_b32 v[22:23], v8 offset1:16
	v_ashrrev_i32_e32 v19, 31, v6
	v_add_co_u32_e32 v24, vcc, v2, v6
	v_mov_b32_e32 v20, v7
	v_addc_co_u32_e32 v25, vcc, v12, v19, vcc
	v_ashrrev_i32_e32 v1, 31, v7
	v_add_co_u32_e32 v20, vcc, v2, v20
	v_addc_co_u32_e32 v21, vcc, v12, v1, vcc
	s_waitcnt lgkmcnt(0)
	v_div_scale_f32 v1, s[0:1], v4, v4, v22
	v_div_scale_f32 v26, s[0:1], v3, v3, v23
	v_rcp_f32_e32 v28, v1
	v_rcp_f32_e32 v29, v26
	v_div_scale_f32 v19, vcc, v22, v4, v22
	v_fma_f32 v30, -v1, v28, 1.0
	v_fma_f32 v31, -v26, v29, 1.0
	v_fmac_f32_e32 v28, v30, v28
	v_div_scale_f32 v27, s[0:1], v23, v3, v23
	v_fmac_f32_e32 v29, v31, v29
	v_mul_f32_e32 v30, v19, v28
	v_mul_f32_e32 v31, v27, v29
	v_fma_f32 v32, -v1, v30, v19
	v_fma_f32 v33, -v26, v31, v27
	v_fmac_f32_e32 v30, v32, v28
	v_fmac_f32_e32 v31, v33, v29
	v_fma_f32 v1, -v1, v30, v19
	v_fma_f32 v19, -v26, v31, v27
	v_div_fmas_f32 v1, v1, v28, v30
	s_mov_b64 vcc, s[0:1]
	v_div_fixup_f32 v1, v1, v4, v22
	v_div_fmas_f32 v19, v19, v29, v31
	v_div_fixup_f32 v19, v19, v3, v23
	v_max_f32_e32 v1, v1, v11
	v_max_f32_e32 v19, v19, v9
	v_min_f32_e32 v1, v1, v14
	v_min_f32_e32 v19, v19, v17
	v_cvt_i32_f32_e32 v1, v1
	v_add_u32_e32 v18, -2, v18
	v_cvt_i32_f32_e32 v19, v19
	v_cmp_eq_u32_e32 vcc, 0, v18
	v_add_u32_e32 v7, 32, v7
	v_add_u32_e32 v6, 32, v6
	;; [unrolled: 1-line block ×3, first 2 shown]
	s_or_b64 s[12:13], vcc, s[12:13]
	global_store_byte v[24:25], v1, off
	global_store_byte v[20:21], v19, off
	s_andn2_b64 exec, exec, s[12:13]
	s_cbranch_execnz .LBB1_35
; %bb.36:
	s_or_b64 exec, exec, s[12:13]
	v_cmp_ne_u32_e32 vcc, v15, v16
	v_lshl_add_u32 v0, v16, 4, v0
	s_and_b64 s[0:1], vcc, exec
                                        ; implicit-def: $vgpr9
	s_andn2_saveexec_b64 s[4:5], s[4:5]
	s_cbranch_execz .LBB1_33
.LBB1_37:
	v_lshlrev_b32_e32 v13, 2, v9
	s_or_b64 s[0:1], s[0:1], exec
	s_or_b64 exec, exec, s[4:5]
	s_and_b64 exec, exec, s[0:1]
	s_cbranch_execz .LBB1_40
.LBB1_38:
	v_lshl_add_u32 v1, v0, 2, v13
	v_add3_u32 v3, v1, v10, 0
	v_ashrrev_i32_e32 v1, 31, v0
	s_mov_b64 s[4:5], 0
	v_max_f32_e64 v6, s10, s10
	v_max_f32_e64 v7, s11, s11
.LBB1_39:                               ; =>This Inner Loop Header: Depth=1
	ds_read_b32 v10, v3
	v_add_co_u32_e32 v8, vcc, v2, v0
	v_addc_co_u32_e32 v9, vcc, v12, v1, vcc
	s_waitcnt lgkmcnt(0)
	v_div_scale_f32 v11, s[12:13], v4, v4, v10
	v_rcp_f32_e32 v13, v11
	v_div_scale_f32 v14, vcc, v10, v4, v10
	v_add_co_u32_e64 v0, s[0:1], 16, v0
	v_fma_f32 v15, -v11, v13, 1.0
	v_fmac_f32_e32 v13, v15, v13
	v_mul_f32_e32 v15, v14, v13
	v_fma_f32 v16, -v11, v15, v14
	v_fmac_f32_e32 v15, v16, v13
	v_fma_f32 v11, -v11, v15, v14
	v_div_fmas_f32 v11, v11, v13, v15
	v_div_fixup_f32 v10, v11, v4, v10
	v_max_f32_e32 v10, v10, v6
	v_min_f32_e32 v10, v10, v7
	v_cvt_i32_f32_e32 v10, v10
	v_addc_co_u32_e64 v1, vcc, 0, v1, s[0:1]
	v_cmp_ge_i32_e32 vcc, v0, v5
	v_add_u32_e32 v3, 64, v3
	s_or_b64 s[4:5], vcc, s[4:5]
	global_store_byte v[8:9], v10, off
	s_andn2_b64 exec, exec, s[4:5]
	s_cbranch_execnz .LBB1_39
.LBB1_40:
	s_or_b64 exec, exec, s[2:3]
                                        ; implicit-def: $vgpr8
                                        ; implicit-def: $vgpr4
                                        ; implicit-def: $vgpr9
                                        ; implicit-def: $vgpr0_vgpr1
.LBB1_41:
	s_andn2_saveexec_b64 s[0:1], s[8:9]
	s_cbranch_execz .LBB1_45
; %bb.42:
	s_ashr_i32 s8, s20, 2
	v_cmp_gt_i32_e32 vcc, s8, v8
	s_and_saveexec_b64 s[0:1], vcc
	s_cbranch_execz .LBB1_45
; %bb.43:
	v_lshlrev_b32_e32 v2, 2, v9
	v_lshlrev_b32_e32 v3, 4, v8
	v_add3_u32 v5, v2, v3, 0
	v_lshlrev_b32_e32 v2, 2, v8
	v_add_co_u32_e32 v0, vcc, v0, v2
	v_addc_co_u32_e32 v1, vcc, 0, v1, vcc
	v_mov_b32_e32 v2, s7
	v_add_co_u32_e32 v6, vcc, s6, v0
	v_addc_co_u32_e32 v7, vcc, v2, v1, vcc
	s_mov_b64 s[6:7], 0
	v_max_f32_e64 v9, s10, s10
	v_max_f32_e64 v10, s11, s11
	v_mov_b32_e32 v11, 8
.LBB1_44:                               ; =>This Inner Loop Header: Depth=1
	ds_read_b128 v[0:3], v5
	v_add_u32_e32 v8, 16, v8
	v_cmp_le_i32_e32 vcc, s8, v8
	s_or_b64 s[6:7], vcc, s[6:7]
	v_add_u32_e32 v5, 0x100, v5
	s_waitcnt lgkmcnt(0)
	v_div_scale_f32 v12, s[0:1], v4, v4, v0
	v_div_scale_f32 v14, s[0:1], v4, v4, v1
	v_rcp_f32_e32 v20, v12
	v_div_scale_f32 v16, s[2:3], v4, v4, v2
	v_rcp_f32_e32 v21, v14
	v_rcp_f32_e32 v22, v16
	v_div_scale_f32 v18, s[4:5], v4, v4, v3
	v_rcp_f32_e32 v23, v18
	v_fma_f32 v24, -v12, v20, 1.0
	v_div_scale_f32 v13, vcc, v0, v4, v0
	v_fma_f32 v25, -v14, v21, 1.0
	v_fmac_f32_e32 v20, v24, v20
	v_div_scale_f32 v15, s[0:1], v1, v4, v1
	v_fma_f32 v26, -v16, v22, 1.0
	v_fmac_f32_e32 v21, v25, v21
	v_mul_f32_e32 v24, v13, v20
	v_div_scale_f32 v17, s[2:3], v2, v4, v2
	v_fmac_f32_e32 v22, v26, v22
	v_mul_f32_e32 v25, v15, v21
	v_fma_f32 v28, -v12, v24, v13
	v_fma_f32 v27, -v18, v23, 1.0
	v_mul_f32_e32 v26, v17, v22
	v_fma_f32 v29, -v14, v25, v15
	v_fmac_f32_e32 v24, v28, v20
	v_div_scale_f32 v19, s[4:5], v3, v4, v3
	v_fmac_f32_e32 v23, v27, v23
	v_fma_f32 v30, -v16, v26, v17
	v_fmac_f32_e32 v25, v29, v21
	v_fma_f32 v12, -v12, v24, v13
	v_mul_f32_e32 v27, v19, v23
	v_fmac_f32_e32 v26, v30, v22
	v_fma_f32 v13, -v14, v25, v15
	v_div_fmas_f32 v12, v12, v20, v24
	s_mov_b64 vcc, s[0:1]
	v_fma_f32 v31, -v18, v27, v19
	v_fma_f32 v14, -v16, v26, v17
	v_div_fixup_f32 v0, v12, v4, v0
	v_div_fmas_f32 v12, v13, v21, v25
	s_mov_b64 vcc, s[2:3]
	v_fmac_f32_e32 v27, v31, v23
	v_div_fixup_f32 v1, v12, v4, v1
	v_div_fmas_f32 v12, v14, v22, v26
	v_fma_f32 v15, -v18, v27, v19
	v_div_fixup_f32 v2, v12, v4, v2
	s_mov_b64 vcc, s[4:5]
	v_div_fmas_f32 v12, v15, v23, v27
	v_max_f32_e32 v2, v2, v9
	v_div_fixup_f32 v3, v12, v4, v3
	v_min_f32_e32 v2, v2, v10
	v_max_f32_e32 v0, v0, v9
	v_max_f32_e32 v1, v1, v9
	;; [unrolled: 1-line block ×3, first 2 shown]
	v_cvt_i32_f32_e32 v2, v2
	v_min_f32_e32 v0, v0, v10
	v_min_f32_e32 v1, v1, v10
	;; [unrolled: 1-line block ×3, first 2 shown]
	v_cvt_i32_f32_e32 v0, v0
	v_cvt_i32_f32_e32 v1, v1
	v_cvt_i32_f32_e32 v3, v3
	v_and_b32_e32 v2, 0xff, v2
	v_lshlrev_b32_e32 v2, 16, v2
	v_and_b32_e32 v0, 0xff, v0
	v_lshlrev_b32_sdwa v1, v11, v1 dst_sel:DWORD dst_unused:UNUSED_PAD src0_sel:DWORD src1_sel:BYTE_0
	v_lshl_or_b32 v2, v3, 24, v2
	v_or3_b32 v0, v2, v1, v0
	global_store_dword v[6:7], v0, off
	v_add_co_u32_e32 v6, vcc, 64, v6
	v_addc_co_u32_e32 v7, vcc, 0, v7, vcc
	s_andn2_b64 exec, exec, s[6:7]
	s_cbranch_execnz .LBB1_44
.LBB1_45:
	s_endpgm
	.section	.rodata,"a",@progbits
	.p2align	6, 0x0
	.amdhsa_kernel _Z33per_token_group_quant_8bit_kernelIfaLb1ELb0EfEvPKT_PvPT3_iiifffii
		.amdhsa_group_segment_fixed_size 0
		.amdhsa_private_segment_fixed_size 0
		.amdhsa_kernarg_size 56
		.amdhsa_user_sgpr_count 6
		.amdhsa_user_sgpr_private_segment_buffer 1
		.amdhsa_user_sgpr_dispatch_ptr 0
		.amdhsa_user_sgpr_queue_ptr 0
		.amdhsa_user_sgpr_kernarg_segment_ptr 1
		.amdhsa_user_sgpr_dispatch_id 0
		.amdhsa_user_sgpr_flat_scratch_init 0
		.amdhsa_user_sgpr_kernarg_preload_length 0
		.amdhsa_user_sgpr_kernarg_preload_offset 0
		.amdhsa_user_sgpr_private_segment_size 0
		.amdhsa_uses_dynamic_stack 0
		.amdhsa_system_sgpr_private_segment_wavefront_offset 0
		.amdhsa_system_sgpr_workgroup_id_x 1
		.amdhsa_system_sgpr_workgroup_id_y 0
		.amdhsa_system_sgpr_workgroup_id_z 0
		.amdhsa_system_sgpr_workgroup_info 0
		.amdhsa_system_vgpr_workitem_id 0
		.amdhsa_next_free_vgpr 41
		.amdhsa_next_free_sgpr 21
		.amdhsa_accum_offset 44
		.amdhsa_reserve_vcc 1
		.amdhsa_reserve_flat_scratch 0
		.amdhsa_float_round_mode_32 0
		.amdhsa_float_round_mode_16_64 0
		.amdhsa_float_denorm_mode_32 3
		.amdhsa_float_denorm_mode_16_64 3
		.amdhsa_dx10_clamp 1
		.amdhsa_ieee_mode 1
		.amdhsa_fp16_overflow 0
		.amdhsa_tg_split 0
		.amdhsa_exception_fp_ieee_invalid_op 0
		.amdhsa_exception_fp_denorm_src 0
		.amdhsa_exception_fp_ieee_div_zero 0
		.amdhsa_exception_fp_ieee_overflow 0
		.amdhsa_exception_fp_ieee_underflow 0
		.amdhsa_exception_fp_ieee_inexact 0
		.amdhsa_exception_int_div_zero 0
	.end_amdhsa_kernel
	.section	.text._Z33per_token_group_quant_8bit_kernelIfaLb1ELb0EfEvPKT_PvPT3_iiifffii,"axG",@progbits,_Z33per_token_group_quant_8bit_kernelIfaLb1ELb0EfEvPKT_PvPT3_iiifffii,comdat
.Lfunc_end1:
	.size	_Z33per_token_group_quant_8bit_kernelIfaLb1ELb0EfEvPKT_PvPT3_iiifffii, .Lfunc_end1-_Z33per_token_group_quant_8bit_kernelIfaLb1ELb0EfEvPKT_PvPT3_iiifffii
                                        ; -- End function
	.section	.AMDGPU.csdata,"",@progbits
; Kernel info:
; codeLenInByte = 3932
; NumSgprs: 25
; NumVgprs: 41
; NumAgprs: 0
; TotalNumVgprs: 41
; ScratchSize: 0
; MemoryBound: 0
; FloatMode: 240
; IeeeMode: 1
; LDSByteSize: 0 bytes/workgroup (compile time only)
; SGPRBlocks: 3
; VGPRBlocks: 5
; NumSGPRsForWavesPerEU: 25
; NumVGPRsForWavesPerEU: 41
; AccumOffset: 44
; Occupancy: 8
; WaveLimiterHint : 0
; COMPUTE_PGM_RSRC2:SCRATCH_EN: 0
; COMPUTE_PGM_RSRC2:USER_SGPR: 6
; COMPUTE_PGM_RSRC2:TRAP_HANDLER: 0
; COMPUTE_PGM_RSRC2:TGID_X_EN: 1
; COMPUTE_PGM_RSRC2:TGID_Y_EN: 0
; COMPUTE_PGM_RSRC2:TGID_Z_EN: 0
; COMPUTE_PGM_RSRC2:TIDIG_COMP_CNT: 0
; COMPUTE_PGM_RSRC3_GFX90A:ACCUM_OFFSET: 10
; COMPUTE_PGM_RSRC3_GFX90A:TG_SPLIT: 0
	.section	.text._Z33per_token_group_quant_8bit_kernelIfaLb0ELb1EfEvPKT_PvPT3_iiifffii,"axG",@progbits,_Z33per_token_group_quant_8bit_kernelIfaLb0ELb1EfEvPKT_PvPT3_iiifffii,comdat
	.protected	_Z33per_token_group_quant_8bit_kernelIfaLb0ELb1EfEvPKT_PvPT3_iiifffii ; -- Begin function _Z33per_token_group_quant_8bit_kernelIfaLb0ELb1EfEvPKT_PvPT3_iiifffii
	.globl	_Z33per_token_group_quant_8bit_kernelIfaLb0ELb1EfEvPKT_PvPT3_iiifffii
	.p2align	8
	.type	_Z33per_token_group_quant_8bit_kernelIfaLb0ELb1EfEvPKT_PvPT3_iiifffii,@function
_Z33per_token_group_quant_8bit_kernelIfaLb0ELb1EfEvPKT_PvPT3_iiifffii: ; @_Z33per_token_group_quant_8bit_kernelIfaLb0ELb1EfEvPKT_PvPT3_iiifffii
; %bb.0:
	s_load_dword s16, s[4:5], 0x18
	s_load_dwordx4 s[8:11], s[4:5], 0x20
	s_load_dwordx2 s[2:3], s[4:5], 0x0
	v_lshrrev_b32_e32 v6, 4, v0
	v_and_b32_e32 v10, 15, v0
	s_waitcnt lgkmcnt(0)
	s_ashr_i32 s7, s16, 31
	s_mul_i32 s6, s6, s8
	v_add_co_u32_e32 v2, vcc, s6, v6
	v_addc_co_u32_e64 v3, s[0:1], 0, 0, vcc
	v_mul_lo_u32 v4, v3, s16
	v_mul_lo_u32 v5, v2, s7
	v_mad_u64_u32 v[0:1], s[0:1], v2, s16, 0
	v_add3_u32 v1, v1, v5, v4
	v_lshlrev_b64 v[4:5], 2, v[0:1]
	s_and_b32 s6, s16, 3
	v_mov_b32_e32 v8, s3
	v_add_co_u32_e32 v7, vcc, s2, v4
	s_cmp_eq_u32 s6, 0
	v_addc_co_u32_e32 v8, vcc, v8, v5, vcc
	v_mov_b32_e32 v15, 0
	v_and_b32_e32 v14, 15, v7
	s_cselect_b64 s[0:1], -1, 0
	s_cmp_lg_u32 s6, 0
	v_mul_lo_u32 v11, v6, s16
	v_cmp_ne_u64_e32 vcc, 0, v[14:15]
	s_cselect_b64 s[6:7], -1, 0
	v_lshl_add_u32 v12, v11, 2, 0
	s_or_b64 s[6:7], s[6:7], vcc
                                        ; implicit-def: $vgpr13
	s_and_saveexec_b64 s[12:13], s[6:7]
	s_xor_b64 s[6:7], exec, s[12:13]
	s_cbranch_execz .LBB2_12
; %bb.1:
	v_sub_u32_e32 v6, 0, v7
	v_bfe_u32 v6, v6, 2, 2
	v_min_i32_e32 v6, s16, v6
	v_cmp_gt_i32_e32 vcc, v6, v10
	v_mov_b32_e32 v13, s9
	s_and_saveexec_b64 s[12:13], vcc
	s_cbranch_execz .LBB2_3
; %bb.2:
	v_lshlrev_b32_e32 v9, 2, v10
	v_add_co_u32_e32 v14, vcc, v7, v9
	v_addc_co_u32_e32 v15, vcc, 0, v8, vcc
	global_load_dword v7, v[14:15], off
	v_max_f32_e64 v8, s9, s9
	v_add_u32_e32 v9, v12, v9
	s_waitcnt vmcnt(0)
	v_max_f32_e64 v13, |v7|, |v7|
	v_max_f32_e32 v13, v8, v13
	ds_write_b32 v9, v7
.LBB2_3:
	s_or_b64 exec, exec, s[12:13]
	v_sub_u32_e32 v14, s16, v6
	v_ashrrev_i32_e32 v8, 31, v14
	v_lshrrev_b32_e32 v8, 30, v8
	v_add_u32_e32 v8, v14, v8
	v_ashrrev_i32_e32 v7, 31, v6
	v_ashrrev_i32_e32 v15, 2, v8
	v_cmp_gt_i32_e32 vcc, v15, v10
	v_lshlrev_b32_e32 v16, 2, v6
	v_lshlrev_b64 v[6:7], 2, v[6:7]
	s_and_saveexec_b64 s[12:13], vcc
	s_cbranch_execz .LBB2_7
; %bb.4:
	v_lshlrev_b32_e32 v8, 4, v10
	v_lshl_add_u32 v9, v11, 2, v8
	v_add_co_u32_e32 v8, vcc, v4, v8
	v_add3_u32 v17, v9, v16, 0
	v_addc_co_u32_e32 v9, vcc, 0, v5, vcc
	v_add_co_u32_e32 v8, vcc, v8, v6
	v_addc_co_u32_e32 v9, vcc, v9, v7, vcc
	v_mov_b32_e32 v18, s3
	v_add_co_u32_e32 v8, vcc, s2, v8
	v_addc_co_u32_e32 v9, vcc, v9, v18, vcc
	v_add_co_u32_e32 v8, vcc, 8, v8
	v_addc_co_u32_e32 v9, vcc, 0, v9, vcc
	s_mov_b64 s[14:15], 0
	v_mov_b32_e32 v18, v10
.LBB2_5:                                ; =>This Inner Loop Header: Depth=1
	global_load_dwordx4 v[20:23], v[8:9], off offset:-8
	v_add_co_u32_e32 v8, vcc, 0x100, v8
	v_add_u32_e32 v18, 16, v18
	v_addc_co_u32_e32 v9, vcc, 0, v9, vcc
	v_cmp_ge_i32_e32 vcc, v18, v15
	s_or_b64 s[14:15], vcc, s[14:15]
	s_waitcnt vmcnt(0)
	v_max3_f32 v13, v13, |v20|, |v21|
	ds_write_b128 v17, v[20:23]
	v_add_u32_e32 v17, 0x100, v17
	v_max3_f32 v13, v13, |v22|, |v23|
	s_andn2_b64 exec, exec, s[14:15]
	s_cbranch_execnz .LBB2_5
; %bb.6:
	s_or_b64 exec, exec, s[14:15]
.LBB2_7:
	s_or_b64 exec, exec, s[12:13]
	v_lshl_add_u32 v8, v15, 2, v10
	v_cmp_lt_i32_e32 vcc, v8, v14
	s_and_saveexec_b64 s[12:13], vcc
	s_cbranch_execz .LBB2_11
; %bb.8:
	v_lshlrev_b32_e32 v9, 2, v11
	v_lshlrev_b32_e32 v15, 4, v15
	v_add3_u32 v9, v9, v15, v16
	v_lshlrev_b32_e32 v15, 2, v10
	v_add3_u32 v15, v9, v15, 0
	v_add_co_u32_e32 v6, vcc, v4, v6
	v_ashrrev_i32_e32 v9, 31, v8
	v_addc_co_u32_e32 v7, vcc, v5, v7, vcc
	v_lshlrev_b64 v[4:5], 2, v[8:9]
	v_add_co_u32_e32 v4, vcc, v6, v4
	v_addc_co_u32_e32 v5, vcc, v7, v5, vcc
	v_mov_b32_e32 v6, s3
	v_add_co_u32_e32 v4, vcc, s2, v4
	v_addc_co_u32_e32 v5, vcc, v6, v5, vcc
	s_mov_b64 s[14:15], 0
.LBB2_9:                                ; =>This Inner Loop Header: Depth=1
	global_load_dword v6, v[4:5], off
	v_add_co_u32_e32 v4, vcc, 64, v4
	v_add_u32_e32 v8, 16, v8
	v_addc_co_u32_e32 v5, vcc, 0, v5, vcc
	v_max_f32_e32 v7, v13, v13
	v_cmp_ge_i32_e32 vcc, v8, v14
	s_or_b64 s[14:15], vcc, s[14:15]
	s_waitcnt vmcnt(0)
	v_max_f32_e64 v9, |v6|, |v6|
	ds_write_b32 v15, v6
	v_add_u32_e32 v15, 64, v15
	v_max_f32_e32 v13, v7, v9
	s_andn2_b64 exec, exec, s[14:15]
	s_cbranch_execnz .LBB2_9
; %bb.10:
	s_or_b64 exec, exec, s[14:15]
.LBB2_11:
	s_or_b64 exec, exec, s[12:13]
                                        ; implicit-def: $vgpr4_vgpr5
.LBB2_12:
	s_andn2_saveexec_b64 s[6:7], s[6:7]
	s_cbranch_execz .LBB2_18
; %bb.13:
	s_ashr_i32 s8, s16, 2
	v_cmp_gt_i32_e32 vcc, s8, v10
	v_mov_b32_e32 v13, s9
	s_and_saveexec_b64 s[12:13], vcc
	s_cbranch_execz .LBB2_17
; %bb.14:
	v_lshlrev_b32_e32 v7, 4, v10
	v_add_co_u32_e32 v4, vcc, v4, v7
	v_lshlrev_b32_e32 v6, 2, v11
	v_addc_co_u32_e32 v5, vcc, 0, v5, vcc
	v_add3_u32 v6, v6, v7, 0
	v_mov_b32_e32 v7, s3
	v_add_co_u32_e32 v4, vcc, s2, v4
	v_addc_co_u32_e32 v5, vcc, v5, v7, vcc
	v_add_co_u32_e32 v4, vcc, 8, v4
	v_addc_co_u32_e32 v5, vcc, 0, v5, vcc
	s_mov_b64 s[2:3], 0
	v_mov_b32_e32 v13, s9
	v_mov_b32_e32 v7, v10
.LBB2_15:                               ; =>This Inner Loop Header: Depth=1
	global_load_dwordx4 v[14:17], v[4:5], off offset:-8
	v_add_co_u32_e32 v4, vcc, 0x100, v4
	v_add_u32_e32 v7, 16, v7
	v_addc_co_u32_e32 v5, vcc, 0, v5, vcc
	v_cmp_le_i32_e32 vcc, s8, v7
	s_or_b64 s[2:3], vcc, s[2:3]
	s_waitcnt vmcnt(0)
	v_max3_f32 v8, v13, |v14|, |v15|
	ds_write_b128 v6, v[14:17]
	v_add_u32_e32 v6, 0x100, v6
	v_max3_f32 v13, v8, |v16|, |v17|
	s_andn2_b64 exec, exec, s[2:3]
	s_cbranch_execnz .LBB2_15
; %bb.16:
	s_or_b64 exec, exec, s[2:3]
.LBB2_17:
	s_or_b64 exec, exec, s[12:13]
.LBB2_18:
	s_or_b64 exec, exec, s[6:7]
	v_mbcnt_lo_u32_b32 v4, -1, 0
	v_mbcnt_hi_u32_b32 v4, -1, v4
	v_and_b32_e32 v6, 0x70, v4
	v_xor_b32_e32 v5, 8, v4
	v_add_u32_e32 v6, 16, v6
	v_cmp_lt_i32_e32 vcc, v5, v6
	v_cndmask_b32_e32 v5, v4, v5, vcc
	v_lshlrev_b32_e32 v5, 2, v5
	ds_bpermute_b32 v5, v5, v13
	v_xor_b32_e32 v8, 4, v4
	v_max_f32_e32 v7, v13, v13
	v_cmp_lt_i32_e32 vcc, v8, v6
	s_load_dwordx2 s[6:7], s[4:5], 0x8
	s_waitcnt lgkmcnt(0)
	v_max_f32_e32 v5, v5, v5
	v_max_f32_e32 v5, v7, v5
	v_cndmask_b32_e32 v7, v4, v8, vcc
	v_lshlrev_b32_e32 v7, 2, v7
	ds_bpermute_b32 v7, v7, v5
	v_xor_b32_e32 v8, 2, v4
	v_cmp_lt_i32_e32 vcc, v8, v6
	s_waitcnt lgkmcnt(0)
	v_max_f32_e32 v7, v7, v7
	v_max_f32_e32 v5, v5, v7
	v_cndmask_b32_e32 v7, v4, v8, vcc
	v_lshlrev_b32_e32 v7, 2, v7
	ds_bpermute_b32 v7, v7, v5
	v_xor_b32_e32 v8, 1, v4
	v_cmp_lt_i32_e32 vcc, v8, v6
	v_cndmask_b32_e32 v4, v4, v8, vcc
	v_lshlrev_b32_e32 v4, 2, v4
	s_waitcnt lgkmcnt(0)
	v_max_f32_e32 v7, v7, v7
	v_max_f32_e32 v5, v5, v7
	ds_bpermute_b32 v4, v4, v5
	s_waitcnt lgkmcnt(0)
	v_max_f32_e32 v4, v4, v4
	v_max_f32_e32 v4, v5, v4
	v_div_scale_f32 v5, s[2:3], s11, s11, v4
	v_rcp_f32_e32 v6, v5
	v_div_scale_f32 v7, vcc, v4, s11, v4
	s_mov_b32 s2, 0x2edbe6ff
	v_fma_f32 v8, -v5, v6, 1.0
	v_fmac_f32_e32 v6, v8, v6
	v_mul_f32_e32 v8, v7, v6
	v_fma_f32 v9, -v5, v8, v7
	v_fmac_f32_e32 v8, v9, v6
	v_fma_f32 v5, -v5, v8, v7
	v_div_fmas_f32 v5, v5, v6, v8
	v_div_fixup_f32 v4, v5, s11, v4
	v_max_f32_e64 v4, |v4|, s2
	s_mov_b32 s2, 0x800000
	v_mov_b32_e32 v5, 0x4f800000
	v_cmp_gt_f32_e32 vcc, s2, v4
	v_cndmask_b32_e32 v5, 1.0, v5, vcc
	v_mul_f32_e32 v4, v4, v5
	v_log_f32_e32 v4, v4
	v_mov_b32_e32 v5, 0x42000000
	v_cndmask_b32_e32 v5, 0, v5, vcc
	s_mov_b32 s2, 0xc2fc0000
	v_sub_f32_e32 v4, v4, v5
	v_ceil_f32_e32 v4, v4
	v_mov_b32_e32 v5, 0x42800000
	v_cmp_gt_f32_e32 vcc, s2, v4
	v_cndmask_b32_e32 v5, 0, v5, vcc
	v_add_f32_e32 v4, v4, v5
	v_exp_f32_e32 v4, v4
	v_mov_b32_e32 v5, 0x1f800000
	v_cndmask_b32_e32 v5, 1.0, v5, vcc
	v_cmp_eq_u32_e32 vcc, 0, v10
	v_mul_f32_e32 v4, v4, v5
	s_and_saveexec_b64 s[2:3], vcc
	s_cbranch_execz .LBB2_20
; %bb.19:
	s_load_dwordx2 s[4:5], s[4:5], 0x10
	v_lshlrev_b64 v[2:3], 2, v[2:3]
	s_waitcnt lgkmcnt(0)
	v_mov_b32_e32 v5, s5
	v_add_co_u32_e32 v2, vcc, s4, v2
	v_addc_co_u32_e32 v3, vcc, v5, v3, vcc
	global_store_dword v[2:3], v4, off
.LBB2_20:
	s_or_b64 exec, exec, s[2:3]
	v_and_b32_e32 v2, 15, v12
	v_mov_b32_e32 v3, 0
	v_cmp_ne_u64_e32 vcc, 0, v[2:3]
	s_xor_b64 s[0:1], s[0:1], -1
	s_or_b64 s[0:1], s[0:1], vcc
	s_barrier
	s_and_saveexec_b64 s[2:3], s[0:1]
	s_xor_b64 s[8:9], exec, s[2:3]
	s_cbranch_execz .LBB2_37
; %bb.21:
	v_mov_b32_e32 v2, s7
	v_add_co_u32_e32 v13, vcc, s6, v0
	v_addc_co_u32_e32 v14, vcc, v2, v1, vcc
	v_sub_u32_e32 v2, 0, v12
	v_bfe_u32 v2, v2, 2, 2
	v_min_i32_e32 v9, s16, v2
	v_cmp_gt_i32_e32 vcc, v9, v10
	s_and_saveexec_b64 s[0:1], vcc
	s_cbranch_execz .LBB2_23
; %bb.22:
	v_lshl_add_u32 v2, v10, 2, v12
	ds_read_b32 v2, v2
	v_max_f32_e64 v3, s10, s10
	v_max_f32_e64 v7, s11, s11
	s_waitcnt lgkmcnt(0)
	v_div_scale_f32 v5, s[2:3], v4, v4, v2
	v_rcp_f32_e32 v6, v5
	v_div_scale_f32 v8, vcc, v2, v4, v2
	v_fma_f32 v12, -v5, v6, 1.0
	v_fmac_f32_e32 v6, v12, v6
	v_mul_f32_e32 v12, v8, v6
	v_fma_f32 v15, -v5, v12, v8
	v_fmac_f32_e32 v12, v15, v6
	v_fma_f32 v5, -v5, v12, v8
	v_div_fmas_f32 v5, v5, v6, v12
	v_div_fixup_f32 v2, v5, v4, v2
	v_max_f32_e32 v2, v2, v3
	v_min_f32_e32 v2, v2, v7
	v_cvt_i32_f32_e32 v5, v2
	v_add_co_u32_e32 v2, vcc, v13, v10
	v_addc_co_u32_e32 v3, vcc, 0, v14, vcc
	global_store_byte v[2:3], v5, off
.LBB2_23:
	s_or_b64 exec, exec, s[0:1]
	v_sub_u32_e32 v5, s16, v9
	v_ashrrev_i32_e32 v2, 31, v5
	v_lshrrev_b32_e32 v2, 30, v2
	v_add_u32_e32 v2, v5, v2
	v_ashrrev_i32_e32 v15, 2, v2
	v_ashrrev_i32_e32 v12, 31, v9
	v_cmp_gt_i32_e32 vcc, v15, v10
	v_lshlrev_b32_e32 v8, 2, v9
	s_and_saveexec_b64 s[12:13], vcc
	s_cbranch_execz .LBB2_26
; %bb.24:
	v_lshlrev_b32_e32 v2, 4, v10
	v_lshl_add_u32 v2, v11, 2, v2
	v_lshlrev_b32_e32 v3, 2, v9
	v_add_co_u32_e32 v0, vcc, v9, v0
	v_add3_u32 v16, v2, v3, 0
	v_addc_co_u32_e32 v1, vcc, v12, v1, vcc
	v_lshlrev_b32_e32 v2, 2, v10
	v_add_co_u32_e32 v0, vcc, v0, v2
	v_addc_co_u32_e32 v1, vcc, 0, v1, vcc
	v_mov_b32_e32 v2, s7
	v_add_co_u32_e32 v6, vcc, s6, v0
	v_addc_co_u32_e32 v7, vcc, v2, v1, vcc
	s_mov_b64 s[14:15], 0
	v_max_f32_e64 v17, s10, s10
	v_max_f32_e64 v18, s11, s11
	v_mov_b32_e32 v19, 8
	v_mov_b32_e32 v20, v10
.LBB2_25:                               ; =>This Inner Loop Header: Depth=1
	ds_read_b128 v[0:3], v16
	v_add_u32_e32 v20, 16, v20
	v_cmp_ge_i32_e32 vcc, v20, v15
	s_or_b64 s[14:15], vcc, s[14:15]
	v_add_u32_e32 v16, 0x100, v16
	s_waitcnt lgkmcnt(0)
	v_div_scale_f32 v21, s[0:1], v4, v4, v0
	v_div_scale_f32 v23, s[0:1], v4, v4, v1
	v_rcp_f32_e32 v29, v21
	v_div_scale_f32 v25, s[2:3], v4, v4, v2
	v_rcp_f32_e32 v30, v23
	v_rcp_f32_e32 v31, v25
	v_div_scale_f32 v27, s[4:5], v4, v4, v3
	v_rcp_f32_e32 v32, v27
	v_fma_f32 v33, -v21, v29, 1.0
	v_div_scale_f32 v22, vcc, v0, v4, v0
	v_fma_f32 v34, -v23, v30, 1.0
	v_fmac_f32_e32 v29, v33, v29
	v_div_scale_f32 v24, s[0:1], v1, v4, v1
	v_fma_f32 v35, -v25, v31, 1.0
	v_fmac_f32_e32 v30, v34, v30
	v_mul_f32_e32 v33, v22, v29
	v_div_scale_f32 v26, s[2:3], v2, v4, v2
	v_fmac_f32_e32 v31, v35, v31
	v_mul_f32_e32 v34, v24, v30
	v_fma_f32 v37, -v21, v33, v22
	v_fma_f32 v36, -v27, v32, 1.0
	v_mul_f32_e32 v35, v26, v31
	v_fma_f32 v38, -v23, v34, v24
	v_fmac_f32_e32 v33, v37, v29
	v_div_scale_f32 v28, s[4:5], v3, v4, v3
	v_fmac_f32_e32 v32, v36, v32
	v_fma_f32 v39, -v25, v35, v26
	v_fmac_f32_e32 v34, v38, v30
	v_fma_f32 v21, -v21, v33, v22
	v_mul_f32_e32 v36, v28, v32
	v_fmac_f32_e32 v35, v39, v31
	v_fma_f32 v22, -v23, v34, v24
	v_div_fmas_f32 v21, v21, v29, v33
	s_mov_b64 vcc, s[0:1]
	v_fma_f32 v40, -v27, v36, v28
	v_fma_f32 v23, -v25, v35, v26
	v_div_fixup_f32 v0, v21, v4, v0
	v_div_fmas_f32 v21, v22, v30, v34
	s_mov_b64 vcc, s[2:3]
	v_fmac_f32_e32 v36, v40, v32
	v_div_fixup_f32 v1, v21, v4, v1
	v_div_fmas_f32 v21, v23, v31, v35
	v_fma_f32 v24, -v27, v36, v28
	v_div_fixup_f32 v2, v21, v4, v2
	s_mov_b64 vcc, s[4:5]
	v_div_fmas_f32 v21, v24, v32, v36
	v_max_f32_e32 v2, v2, v17
	v_div_fixup_f32 v3, v21, v4, v3
	v_min_f32_e32 v2, v2, v18
	v_max_f32_e32 v0, v0, v17
	v_max_f32_e32 v1, v1, v17
	v_max_f32_e32 v3, v3, v17
	v_cvt_i32_f32_e32 v2, v2
	v_min_f32_e32 v0, v0, v18
	v_min_f32_e32 v1, v1, v18
	;; [unrolled: 1-line block ×3, first 2 shown]
	v_cvt_i32_f32_e32 v0, v0
	v_cvt_i32_f32_e32 v1, v1
	v_cvt_i32_f32_e32 v3, v3
	v_and_b32_e32 v2, 0xff, v2
	v_lshlrev_b32_e32 v2, 16, v2
	v_and_b32_e32 v0, 0xff, v0
	v_lshlrev_b32_sdwa v1, v19, v1 dst_sel:DWORD dst_unused:UNUSED_PAD src0_sel:DWORD src1_sel:BYTE_0
	v_lshl_or_b32 v2, v3, 24, v2
	v_or3_b32 v0, v2, v1, v0
	global_store_dword v[6:7], v0, off
	v_add_co_u32_e32 v6, vcc, 64, v6
	v_addc_co_u32_e32 v7, vcc, 0, v7, vcc
	s_andn2_b64 exec, exec, s[14:15]
	s_cbranch_execnz .LBB2_25
.LBB2_26:
	s_or_b64 exec, exec, s[12:13]
	v_lshlrev_b32_e32 v3, 2, v15
	v_add_u32_e32 v0, v3, v10
	v_cmp_lt_i32_e32 vcc, v0, v5
	s_and_saveexec_b64 s[2:3], vcc
	s_cbranch_execz .LBB2_36
; %bb.27:
	v_add_u32_e32 v1, 16, v0
	v_max_i32_e32 v6, v1, v5
	v_add_co_u32_e32 v2, vcc, v13, v9
	v_xad_u32 v6, v10, -1, v6
	v_addc_co_u32_e32 v12, vcc, v14, v12, vcc
	v_sub_u32_e32 v3, v6, v3
	v_cmp_lt_u32_e32 vcc, 15, v3
	s_mov_b64 s[0:1], 0
                                        ; implicit-def: $vgpr13
	s_and_saveexec_b64 s[4:5], vcc
	s_xor_b64 s[4:5], exec, s[4:5]
	s_cbranch_execnz .LBB2_30
; %bb.28:
	s_andn2_saveexec_b64 s[4:5], s[4:5]
	s_cbranch_execnz .LBB2_33
.LBB2_29:
	s_or_b64 exec, exec, s[4:5]
	s_and_b64 exec, exec, s[0:1]
	s_cbranch_execnz .LBB2_34
	s_branch .LBB2_36
.LBB2_30:
	v_lshrrev_b32_e32 v3, 4, v3
	v_add_u32_e32 v14, 1, v3
	v_lshlrev_b32_e32 v13, 2, v11
	v_lshlrev_b32_e32 v6, 4, v15
	;; [unrolled: 1-line block ×3, first 2 shown]
	v_and_b32_e32 v16, 0x1ffffffe, v14
	s_mov_b32 s0, s10
	s_mov_b32 s1, s10
	s_mov_b32 s14, s11
	s_mov_b32 s15, s11
	v_add3_u32 v6, v13, v6, v8
	v_lshlrev_b32_e32 v7, 2, v10
	v_mov_b32_e32 v3, v4
	v_add3_u32 v9, v6, v7, 0
	s_mov_b64 s[12:13], 0
	v_max_f32_e64 v10, s1, s1
	v_max_f32_e64 v11, s0, s0
	;; [unrolled: 1-line block ×4, first 2 shown]
	v_mov_b32_e32 v18, v16
	v_pk_mov_b32 v[6:7], v[0:1], v[0:1] op_sel:[0,1]
.LBB2_31:                               ; =>This Inner Loop Header: Depth=1
	ds_read2_b32 v[22:23], v9 offset1:16
	v_ashrrev_i32_e32 v19, 31, v6
	v_add_co_u32_e32 v24, vcc, v2, v6
	v_mov_b32_e32 v20, v7
	v_addc_co_u32_e32 v25, vcc, v12, v19, vcc
	v_ashrrev_i32_e32 v1, 31, v7
	v_add_co_u32_e32 v20, vcc, v2, v20
	v_addc_co_u32_e32 v21, vcc, v12, v1, vcc
	s_waitcnt lgkmcnt(0)
	v_div_scale_f32 v1, s[0:1], v4, v4, v22
	v_div_scale_f32 v26, s[0:1], v3, v3, v23
	v_rcp_f32_e32 v28, v1
	v_rcp_f32_e32 v29, v26
	v_div_scale_f32 v19, vcc, v22, v4, v22
	v_fma_f32 v30, -v1, v28, 1.0
	v_fma_f32 v31, -v26, v29, 1.0
	v_fmac_f32_e32 v28, v30, v28
	v_div_scale_f32 v27, s[0:1], v23, v3, v23
	v_fmac_f32_e32 v29, v31, v29
	v_mul_f32_e32 v30, v19, v28
	v_mul_f32_e32 v31, v27, v29
	v_fma_f32 v32, -v1, v30, v19
	v_fma_f32 v33, -v26, v31, v27
	v_fmac_f32_e32 v30, v32, v28
	v_fmac_f32_e32 v31, v33, v29
	v_fma_f32 v1, -v1, v30, v19
	v_fma_f32 v19, -v26, v31, v27
	v_div_fmas_f32 v1, v1, v28, v30
	s_mov_b64 vcc, s[0:1]
	v_div_fixup_f32 v1, v1, v4, v22
	v_div_fmas_f32 v19, v19, v29, v31
	v_div_fixup_f32 v19, v19, v3, v23
	v_max_f32_e32 v1, v1, v11
	v_max_f32_e32 v19, v19, v10
	v_min_f32_e32 v1, v1, v15
	v_min_f32_e32 v19, v19, v17
	v_cvt_i32_f32_e32 v1, v1
	v_add_u32_e32 v18, -2, v18
	v_cvt_i32_f32_e32 v19, v19
	v_cmp_eq_u32_e32 vcc, 0, v18
	v_add_u32_e32 v7, 32, v7
	v_add_u32_e32 v6, 32, v6
	;; [unrolled: 1-line block ×3, first 2 shown]
	s_or_b64 s[12:13], vcc, s[12:13]
	global_store_byte v[24:25], v1, off
	global_store_byte v[20:21], v19, off
	s_andn2_b64 exec, exec, s[12:13]
	s_cbranch_execnz .LBB2_31
; %bb.32:
	s_or_b64 exec, exec, s[12:13]
	v_cmp_ne_u32_e32 vcc, v14, v16
	v_lshl_add_u32 v0, v16, 4, v0
	s_and_b64 s[0:1], vcc, exec
                                        ; implicit-def: $vgpr11
	s_andn2_saveexec_b64 s[4:5], s[4:5]
	s_cbranch_execz .LBB2_29
.LBB2_33:
	v_lshlrev_b32_e32 v13, 2, v11
	s_or_b64 s[0:1], s[0:1], exec
	s_or_b64 exec, exec, s[4:5]
	s_and_b64 exec, exec, s[0:1]
	s_cbranch_execz .LBB2_36
.LBB2_34:
	v_lshl_add_u32 v1, v0, 2, v13
	v_add3_u32 v3, v1, v8, 0
	v_ashrrev_i32_e32 v1, 31, v0
	s_mov_b64 s[4:5], 0
	v_max_f32_e64 v6, s10, s10
	v_max_f32_e64 v7, s11, s11
.LBB2_35:                               ; =>This Inner Loop Header: Depth=1
	ds_read_b32 v10, v3
	v_add_co_u32_e32 v8, vcc, v2, v0
	v_addc_co_u32_e32 v9, vcc, v12, v1, vcc
	s_waitcnt lgkmcnt(0)
	v_div_scale_f32 v11, s[12:13], v4, v4, v10
	v_rcp_f32_e32 v13, v11
	v_div_scale_f32 v14, vcc, v10, v4, v10
	v_add_co_u32_e64 v0, s[0:1], 16, v0
	v_fma_f32 v15, -v11, v13, 1.0
	v_fmac_f32_e32 v13, v15, v13
	v_mul_f32_e32 v15, v14, v13
	v_fma_f32 v16, -v11, v15, v14
	v_fmac_f32_e32 v15, v16, v13
	v_fma_f32 v11, -v11, v15, v14
	v_div_fmas_f32 v11, v11, v13, v15
	v_div_fixup_f32 v10, v11, v4, v10
	v_max_f32_e32 v10, v10, v6
	v_min_f32_e32 v10, v10, v7
	v_cvt_i32_f32_e32 v10, v10
	v_addc_co_u32_e64 v1, vcc, 0, v1, s[0:1]
	v_cmp_ge_i32_e32 vcc, v0, v5
	v_add_u32_e32 v3, 64, v3
	s_or_b64 s[4:5], vcc, s[4:5]
	global_store_byte v[8:9], v10, off
	s_andn2_b64 exec, exec, s[4:5]
	s_cbranch_execnz .LBB2_35
.LBB2_36:
	s_or_b64 exec, exec, s[2:3]
                                        ; implicit-def: $vgpr10
                                        ; implicit-def: $vgpr4
                                        ; implicit-def: $vgpr11
                                        ; implicit-def: $vgpr0_vgpr1
.LBB2_37:
	s_andn2_saveexec_b64 s[0:1], s[8:9]
	s_cbranch_execz .LBB2_41
; %bb.38:
	s_ashr_i32 s8, s16, 2
	v_cmp_gt_i32_e32 vcc, s8, v10
	s_and_saveexec_b64 s[0:1], vcc
	s_cbranch_execz .LBB2_41
; %bb.39:
	v_lshlrev_b32_e32 v2, 2, v11
	v_lshlrev_b32_e32 v3, 4, v10
	v_add3_u32 v5, v2, v3, 0
	v_lshlrev_b32_e32 v2, 2, v10
	v_add_co_u32_e32 v0, vcc, v0, v2
	v_addc_co_u32_e32 v1, vcc, 0, v1, vcc
	v_mov_b32_e32 v2, s7
	v_add_co_u32_e32 v6, vcc, s6, v0
	v_addc_co_u32_e32 v7, vcc, v2, v1, vcc
	s_mov_b64 s[6:7], 0
	v_max_f32_e64 v8, s10, s10
	v_max_f32_e64 v9, s11, s11
	v_mov_b32_e32 v11, 8
.LBB2_40:                               ; =>This Inner Loop Header: Depth=1
	ds_read_b128 v[0:3], v5
	v_add_u32_e32 v10, 16, v10
	v_cmp_le_i32_e32 vcc, s8, v10
	s_or_b64 s[6:7], vcc, s[6:7]
	v_add_u32_e32 v5, 0x100, v5
	s_waitcnt lgkmcnt(0)
	v_div_scale_f32 v12, s[0:1], v4, v4, v0
	v_div_scale_f32 v14, s[0:1], v4, v4, v1
	v_rcp_f32_e32 v20, v12
	v_div_scale_f32 v16, s[2:3], v4, v4, v2
	v_rcp_f32_e32 v21, v14
	v_rcp_f32_e32 v22, v16
	v_div_scale_f32 v18, s[4:5], v4, v4, v3
	v_rcp_f32_e32 v23, v18
	v_fma_f32 v24, -v12, v20, 1.0
	v_div_scale_f32 v13, vcc, v0, v4, v0
	v_fma_f32 v25, -v14, v21, 1.0
	v_fmac_f32_e32 v20, v24, v20
	v_div_scale_f32 v15, s[0:1], v1, v4, v1
	v_fma_f32 v26, -v16, v22, 1.0
	v_fmac_f32_e32 v21, v25, v21
	v_mul_f32_e32 v24, v13, v20
	v_div_scale_f32 v17, s[2:3], v2, v4, v2
	v_fmac_f32_e32 v22, v26, v22
	v_mul_f32_e32 v25, v15, v21
	v_fma_f32 v28, -v12, v24, v13
	v_fma_f32 v27, -v18, v23, 1.0
	v_mul_f32_e32 v26, v17, v22
	v_fma_f32 v29, -v14, v25, v15
	v_fmac_f32_e32 v24, v28, v20
	v_div_scale_f32 v19, s[4:5], v3, v4, v3
	v_fmac_f32_e32 v23, v27, v23
	v_fma_f32 v30, -v16, v26, v17
	v_fmac_f32_e32 v25, v29, v21
	v_fma_f32 v12, -v12, v24, v13
	v_mul_f32_e32 v27, v19, v23
	v_fmac_f32_e32 v26, v30, v22
	v_fma_f32 v13, -v14, v25, v15
	v_div_fmas_f32 v12, v12, v20, v24
	s_mov_b64 vcc, s[0:1]
	v_fma_f32 v31, -v18, v27, v19
	v_fma_f32 v14, -v16, v26, v17
	v_div_fixup_f32 v0, v12, v4, v0
	v_div_fmas_f32 v12, v13, v21, v25
	s_mov_b64 vcc, s[2:3]
	v_fmac_f32_e32 v27, v31, v23
	v_div_fixup_f32 v1, v12, v4, v1
	v_div_fmas_f32 v12, v14, v22, v26
	v_fma_f32 v15, -v18, v27, v19
	v_div_fixup_f32 v2, v12, v4, v2
	s_mov_b64 vcc, s[4:5]
	v_div_fmas_f32 v12, v15, v23, v27
	v_max_f32_e32 v2, v2, v8
	v_div_fixup_f32 v3, v12, v4, v3
	v_min_f32_e32 v2, v2, v9
	v_max_f32_e32 v0, v0, v8
	v_max_f32_e32 v1, v1, v8
	;; [unrolled: 1-line block ×3, first 2 shown]
	v_cvt_i32_f32_e32 v2, v2
	v_min_f32_e32 v0, v0, v9
	v_min_f32_e32 v1, v1, v9
	;; [unrolled: 1-line block ×3, first 2 shown]
	v_cvt_i32_f32_e32 v0, v0
	v_cvt_i32_f32_e32 v1, v1
	;; [unrolled: 1-line block ×3, first 2 shown]
	v_and_b32_e32 v2, 0xff, v2
	v_lshlrev_b32_e32 v2, 16, v2
	v_and_b32_e32 v0, 0xff, v0
	v_lshlrev_b32_sdwa v1, v11, v1 dst_sel:DWORD dst_unused:UNUSED_PAD src0_sel:DWORD src1_sel:BYTE_0
	v_lshl_or_b32 v2, v3, 24, v2
	v_or3_b32 v0, v2, v1, v0
	global_store_dword v[6:7], v0, off
	v_add_co_u32_e32 v6, vcc, 64, v6
	v_addc_co_u32_e32 v7, vcc, 0, v7, vcc
	s_andn2_b64 exec, exec, s[6:7]
	s_cbranch_execnz .LBB2_40
.LBB2_41:
	s_endpgm
	.section	.rodata,"a",@progbits
	.p2align	6, 0x0
	.amdhsa_kernel _Z33per_token_group_quant_8bit_kernelIfaLb0ELb1EfEvPKT_PvPT3_iiifffii
		.amdhsa_group_segment_fixed_size 0
		.amdhsa_private_segment_fixed_size 0
		.amdhsa_kernarg_size 56
		.amdhsa_user_sgpr_count 6
		.amdhsa_user_sgpr_private_segment_buffer 1
		.amdhsa_user_sgpr_dispatch_ptr 0
		.amdhsa_user_sgpr_queue_ptr 0
		.amdhsa_user_sgpr_kernarg_segment_ptr 1
		.amdhsa_user_sgpr_dispatch_id 0
		.amdhsa_user_sgpr_flat_scratch_init 0
		.amdhsa_user_sgpr_kernarg_preload_length 0
		.amdhsa_user_sgpr_kernarg_preload_offset 0
		.amdhsa_user_sgpr_private_segment_size 0
		.amdhsa_uses_dynamic_stack 0
		.amdhsa_system_sgpr_private_segment_wavefront_offset 0
		.amdhsa_system_sgpr_workgroup_id_x 1
		.amdhsa_system_sgpr_workgroup_id_y 0
		.amdhsa_system_sgpr_workgroup_id_z 0
		.amdhsa_system_sgpr_workgroup_info 0
		.amdhsa_system_vgpr_workitem_id 0
		.amdhsa_next_free_vgpr 41
		.amdhsa_next_free_sgpr 17
		.amdhsa_accum_offset 44
		.amdhsa_reserve_vcc 1
		.amdhsa_reserve_flat_scratch 0
		.amdhsa_float_round_mode_32 0
		.amdhsa_float_round_mode_16_64 0
		.amdhsa_float_denorm_mode_32 3
		.amdhsa_float_denorm_mode_16_64 3
		.amdhsa_dx10_clamp 1
		.amdhsa_ieee_mode 1
		.amdhsa_fp16_overflow 0
		.amdhsa_tg_split 0
		.amdhsa_exception_fp_ieee_invalid_op 0
		.amdhsa_exception_fp_denorm_src 0
		.amdhsa_exception_fp_ieee_div_zero 0
		.amdhsa_exception_fp_ieee_overflow 0
		.amdhsa_exception_fp_ieee_underflow 0
		.amdhsa_exception_fp_ieee_inexact 0
		.amdhsa_exception_int_div_zero 0
	.end_amdhsa_kernel
	.section	.text._Z33per_token_group_quant_8bit_kernelIfaLb0ELb1EfEvPKT_PvPT3_iiifffii,"axG",@progbits,_Z33per_token_group_quant_8bit_kernelIfaLb0ELb1EfEvPKT_PvPT3_iiifffii,comdat
.Lfunc_end2:
	.size	_Z33per_token_group_quant_8bit_kernelIfaLb0ELb1EfEvPKT_PvPT3_iiifffii, .Lfunc_end2-_Z33per_token_group_quant_8bit_kernelIfaLb0ELb1EfEvPKT_PvPT3_iiifffii
                                        ; -- End function
	.section	.AMDGPU.csdata,"",@progbits
; Kernel info:
; codeLenInByte = 3272
; NumSgprs: 21
; NumVgprs: 41
; NumAgprs: 0
; TotalNumVgprs: 41
; ScratchSize: 0
; MemoryBound: 0
; FloatMode: 240
; IeeeMode: 1
; LDSByteSize: 0 bytes/workgroup (compile time only)
; SGPRBlocks: 2
; VGPRBlocks: 5
; NumSGPRsForWavesPerEU: 21
; NumVGPRsForWavesPerEU: 41
; AccumOffset: 44
; Occupancy: 8
; WaveLimiterHint : 0
; COMPUTE_PGM_RSRC2:SCRATCH_EN: 0
; COMPUTE_PGM_RSRC2:USER_SGPR: 6
; COMPUTE_PGM_RSRC2:TRAP_HANDLER: 0
; COMPUTE_PGM_RSRC2:TGID_X_EN: 1
; COMPUTE_PGM_RSRC2:TGID_Y_EN: 0
; COMPUTE_PGM_RSRC2:TGID_Z_EN: 0
; COMPUTE_PGM_RSRC2:TIDIG_COMP_CNT: 0
; COMPUTE_PGM_RSRC3_GFX90A:ACCUM_OFFSET: 10
; COMPUTE_PGM_RSRC3_GFX90A:TG_SPLIT: 0
	.section	.text._Z33per_token_group_quant_8bit_kernelIfaLb0ELb0EfEvPKT_PvPT3_iiifffii,"axG",@progbits,_Z33per_token_group_quant_8bit_kernelIfaLb0ELb0EfEvPKT_PvPT3_iiifffii,comdat
	.protected	_Z33per_token_group_quant_8bit_kernelIfaLb0ELb0EfEvPKT_PvPT3_iiifffii ; -- Begin function _Z33per_token_group_quant_8bit_kernelIfaLb0ELb0EfEvPKT_PvPT3_iiifffii
	.globl	_Z33per_token_group_quant_8bit_kernelIfaLb0ELb0EfEvPKT_PvPT3_iiifffii
	.p2align	8
	.type	_Z33per_token_group_quant_8bit_kernelIfaLb0ELb0EfEvPKT_PvPT3_iiifffii,@function
_Z33per_token_group_quant_8bit_kernelIfaLb0ELb0EfEvPKT_PvPT3_iiifffii: ; @_Z33per_token_group_quant_8bit_kernelIfaLb0ELb0EfEvPKT_PvPT3_iiifffii
; %bb.0:
	s_load_dword s16, s[4:5], 0x18
	s_load_dwordx4 s[8:11], s[4:5], 0x20
	s_load_dwordx2 s[2:3], s[4:5], 0x0
	v_lshrrev_b32_e32 v6, 4, v0
	v_and_b32_e32 v10, 15, v0
	s_waitcnt lgkmcnt(0)
	s_ashr_i32 s7, s16, 31
	s_mul_i32 s6, s6, s8
	v_add_co_u32_e32 v2, vcc, s6, v6
	v_addc_co_u32_e64 v3, s[0:1], 0, 0, vcc
	v_mul_lo_u32 v4, v3, s16
	v_mul_lo_u32 v5, v2, s7
	v_mad_u64_u32 v[0:1], s[0:1], v2, s16, 0
	v_add3_u32 v1, v1, v5, v4
	v_lshlrev_b64 v[4:5], 2, v[0:1]
	s_and_b32 s6, s16, 3
	v_mov_b32_e32 v8, s3
	v_add_co_u32_e32 v7, vcc, s2, v4
	s_cmp_eq_u32 s6, 0
	v_addc_co_u32_e32 v8, vcc, v8, v5, vcc
	v_mov_b32_e32 v15, 0
	v_and_b32_e32 v14, 15, v7
	s_cselect_b64 s[0:1], -1, 0
	s_cmp_lg_u32 s6, 0
	v_mul_lo_u32 v11, v6, s16
	v_cmp_ne_u64_e32 vcc, 0, v[14:15]
	s_cselect_b64 s[6:7], -1, 0
	v_lshl_add_u32 v12, v11, 2, 0
	s_or_b64 s[6:7], s[6:7], vcc
                                        ; implicit-def: $vgpr13
	s_and_saveexec_b64 s[12:13], s[6:7]
	s_xor_b64 s[6:7], exec, s[12:13]
	s_cbranch_execz .LBB3_12
; %bb.1:
	v_sub_u32_e32 v6, 0, v7
	v_bfe_u32 v6, v6, 2, 2
	v_min_i32_e32 v6, s16, v6
	v_cmp_gt_i32_e32 vcc, v6, v10
	v_mov_b32_e32 v13, s9
	s_and_saveexec_b64 s[12:13], vcc
	s_cbranch_execz .LBB3_3
; %bb.2:
	v_lshlrev_b32_e32 v9, 2, v10
	v_add_co_u32_e32 v14, vcc, v7, v9
	v_addc_co_u32_e32 v15, vcc, 0, v8, vcc
	global_load_dword v7, v[14:15], off
	v_max_f32_e64 v8, s9, s9
	v_add_u32_e32 v9, v12, v9
	s_waitcnt vmcnt(0)
	v_max_f32_e64 v13, |v7|, |v7|
	v_max_f32_e32 v13, v8, v13
	ds_write_b32 v9, v7
.LBB3_3:
	s_or_b64 exec, exec, s[12:13]
	v_sub_u32_e32 v14, s16, v6
	v_ashrrev_i32_e32 v8, 31, v14
	v_lshrrev_b32_e32 v8, 30, v8
	v_add_u32_e32 v8, v14, v8
	v_ashrrev_i32_e32 v7, 31, v6
	v_ashrrev_i32_e32 v15, 2, v8
	v_cmp_gt_i32_e32 vcc, v15, v10
	v_lshlrev_b32_e32 v16, 2, v6
	v_lshlrev_b64 v[6:7], 2, v[6:7]
	s_and_saveexec_b64 s[12:13], vcc
	s_cbranch_execz .LBB3_7
; %bb.4:
	v_lshlrev_b32_e32 v8, 4, v10
	v_lshl_add_u32 v9, v11, 2, v8
	v_add_co_u32_e32 v8, vcc, v4, v8
	v_add3_u32 v17, v9, v16, 0
	v_addc_co_u32_e32 v9, vcc, 0, v5, vcc
	v_add_co_u32_e32 v8, vcc, v8, v6
	v_addc_co_u32_e32 v9, vcc, v9, v7, vcc
	v_mov_b32_e32 v18, s3
	v_add_co_u32_e32 v8, vcc, s2, v8
	v_addc_co_u32_e32 v9, vcc, v9, v18, vcc
	v_add_co_u32_e32 v8, vcc, 8, v8
	v_addc_co_u32_e32 v9, vcc, 0, v9, vcc
	s_mov_b64 s[14:15], 0
	v_mov_b32_e32 v18, v10
.LBB3_5:                                ; =>This Inner Loop Header: Depth=1
	global_load_dwordx4 v[20:23], v[8:9], off offset:-8
	v_add_co_u32_e32 v8, vcc, 0x100, v8
	v_add_u32_e32 v18, 16, v18
	v_addc_co_u32_e32 v9, vcc, 0, v9, vcc
	v_cmp_ge_i32_e32 vcc, v18, v15
	s_or_b64 s[14:15], vcc, s[14:15]
	s_waitcnt vmcnt(0)
	v_max3_f32 v13, v13, |v20|, |v21|
	ds_write_b128 v17, v[20:23]
	v_add_u32_e32 v17, 0x100, v17
	v_max3_f32 v13, v13, |v22|, |v23|
	s_andn2_b64 exec, exec, s[14:15]
	s_cbranch_execnz .LBB3_5
; %bb.6:
	s_or_b64 exec, exec, s[14:15]
.LBB3_7:
	s_or_b64 exec, exec, s[12:13]
	v_lshl_add_u32 v8, v15, 2, v10
	v_cmp_lt_i32_e32 vcc, v8, v14
	s_and_saveexec_b64 s[12:13], vcc
	s_cbranch_execz .LBB3_11
; %bb.8:
	v_lshlrev_b32_e32 v9, 2, v11
	v_lshlrev_b32_e32 v15, 4, v15
	v_add3_u32 v9, v9, v15, v16
	v_lshlrev_b32_e32 v15, 2, v10
	v_add3_u32 v15, v9, v15, 0
	v_add_co_u32_e32 v6, vcc, v4, v6
	v_ashrrev_i32_e32 v9, 31, v8
	v_addc_co_u32_e32 v7, vcc, v5, v7, vcc
	v_lshlrev_b64 v[4:5], 2, v[8:9]
	v_add_co_u32_e32 v4, vcc, v6, v4
	v_addc_co_u32_e32 v5, vcc, v7, v5, vcc
	v_mov_b32_e32 v6, s3
	v_add_co_u32_e32 v4, vcc, s2, v4
	v_addc_co_u32_e32 v5, vcc, v6, v5, vcc
	s_mov_b64 s[14:15], 0
.LBB3_9:                                ; =>This Inner Loop Header: Depth=1
	global_load_dword v6, v[4:5], off
	v_add_co_u32_e32 v4, vcc, 64, v4
	v_add_u32_e32 v8, 16, v8
	v_addc_co_u32_e32 v5, vcc, 0, v5, vcc
	v_max_f32_e32 v7, v13, v13
	v_cmp_ge_i32_e32 vcc, v8, v14
	s_or_b64 s[14:15], vcc, s[14:15]
	s_waitcnt vmcnt(0)
	v_max_f32_e64 v9, |v6|, |v6|
	ds_write_b32 v15, v6
	v_add_u32_e32 v15, 64, v15
	v_max_f32_e32 v13, v7, v9
	s_andn2_b64 exec, exec, s[14:15]
	s_cbranch_execnz .LBB3_9
; %bb.10:
	s_or_b64 exec, exec, s[14:15]
.LBB3_11:
	s_or_b64 exec, exec, s[12:13]
                                        ; implicit-def: $vgpr4_vgpr5
.LBB3_12:
	s_andn2_saveexec_b64 s[6:7], s[6:7]
	s_cbranch_execz .LBB3_18
; %bb.13:
	s_ashr_i32 s8, s16, 2
	v_cmp_gt_i32_e32 vcc, s8, v10
	v_mov_b32_e32 v13, s9
	s_and_saveexec_b64 s[12:13], vcc
	s_cbranch_execz .LBB3_17
; %bb.14:
	v_lshlrev_b32_e32 v7, 4, v10
	v_add_co_u32_e32 v4, vcc, v4, v7
	v_lshlrev_b32_e32 v6, 2, v11
	v_addc_co_u32_e32 v5, vcc, 0, v5, vcc
	v_add3_u32 v6, v6, v7, 0
	v_mov_b32_e32 v7, s3
	v_add_co_u32_e32 v4, vcc, s2, v4
	v_addc_co_u32_e32 v5, vcc, v5, v7, vcc
	v_add_co_u32_e32 v4, vcc, 8, v4
	v_addc_co_u32_e32 v5, vcc, 0, v5, vcc
	s_mov_b64 s[2:3], 0
	v_mov_b32_e32 v13, s9
	v_mov_b32_e32 v7, v10
.LBB3_15:                               ; =>This Inner Loop Header: Depth=1
	global_load_dwordx4 v[14:17], v[4:5], off offset:-8
	v_add_co_u32_e32 v4, vcc, 0x100, v4
	v_add_u32_e32 v7, 16, v7
	v_addc_co_u32_e32 v5, vcc, 0, v5, vcc
	v_cmp_le_i32_e32 vcc, s8, v7
	s_or_b64 s[2:3], vcc, s[2:3]
	s_waitcnt vmcnt(0)
	v_max3_f32 v8, v13, |v14|, |v15|
	ds_write_b128 v6, v[14:17]
	v_add_u32_e32 v6, 0x100, v6
	v_max3_f32 v13, v8, |v16|, |v17|
	s_andn2_b64 exec, exec, s[2:3]
	s_cbranch_execnz .LBB3_15
; %bb.16:
	s_or_b64 exec, exec, s[2:3]
.LBB3_17:
	s_or_b64 exec, exec, s[12:13]
.LBB3_18:
	s_or_b64 exec, exec, s[6:7]
	v_mbcnt_lo_u32_b32 v4, -1, 0
	v_mbcnt_hi_u32_b32 v4, -1, v4
	v_and_b32_e32 v6, 0x70, v4
	v_xor_b32_e32 v5, 8, v4
	v_add_u32_e32 v6, 16, v6
	v_cmp_lt_i32_e32 vcc, v5, v6
	v_cndmask_b32_e32 v5, v4, v5, vcc
	v_lshlrev_b32_e32 v5, 2, v5
	ds_bpermute_b32 v5, v5, v13
	v_xor_b32_e32 v8, 4, v4
	v_max_f32_e32 v7, v13, v13
	v_cmp_lt_i32_e32 vcc, v8, v6
	s_load_dwordx2 s[6:7], s[4:5], 0x8
	s_waitcnt lgkmcnt(0)
	v_max_f32_e32 v5, v5, v5
	v_max_f32_e32 v5, v7, v5
	v_cndmask_b32_e32 v7, v4, v8, vcc
	v_lshlrev_b32_e32 v7, 2, v7
	ds_bpermute_b32 v7, v7, v5
	v_xor_b32_e32 v8, 2, v4
	v_cmp_lt_i32_e32 vcc, v8, v6
	s_waitcnt lgkmcnt(0)
	v_max_f32_e32 v7, v7, v7
	v_max_f32_e32 v5, v5, v7
	v_cndmask_b32_e32 v7, v4, v8, vcc
	v_lshlrev_b32_e32 v7, 2, v7
	ds_bpermute_b32 v7, v7, v5
	v_xor_b32_e32 v8, 1, v4
	v_cmp_lt_i32_e32 vcc, v8, v6
	v_cndmask_b32_e32 v4, v4, v8, vcc
	v_lshlrev_b32_e32 v4, 2, v4
	s_waitcnt lgkmcnt(0)
	v_max_f32_e32 v7, v7, v7
	v_max_f32_e32 v5, v5, v7
	ds_bpermute_b32 v4, v4, v5
	s_waitcnt lgkmcnt(0)
	v_max_f32_e32 v4, v4, v4
	v_max_f32_e32 v4, v5, v4
	v_div_scale_f32 v5, s[2:3], s11, s11, v4
	v_rcp_f32_e32 v6, v5
	v_div_scale_f32 v7, vcc, v4, s11, v4
	v_fma_f32 v8, -v5, v6, 1.0
	v_fmac_f32_e32 v6, v8, v6
	v_mul_f32_e32 v8, v7, v6
	v_fma_f32 v9, -v5, v8, v7
	v_fmac_f32_e32 v8, v9, v6
	v_fma_f32 v5, -v5, v8, v7
	v_div_fmas_f32 v5, v5, v6, v8
	v_div_fixup_f32 v4, v5, s11, v4
	v_cmp_eq_u32_e32 vcc, 0, v10
	s_and_saveexec_b64 s[2:3], vcc
	s_cbranch_execz .LBB3_20
; %bb.19:
	s_load_dwordx2 s[4:5], s[4:5], 0x10
	v_lshlrev_b64 v[2:3], 2, v[2:3]
	s_waitcnt lgkmcnt(0)
	v_mov_b32_e32 v5, s5
	v_add_co_u32_e32 v2, vcc, s4, v2
	v_addc_co_u32_e32 v3, vcc, v5, v3, vcc
	global_store_dword v[2:3], v4, off
.LBB3_20:
	s_or_b64 exec, exec, s[2:3]
	v_and_b32_e32 v2, 15, v12
	v_mov_b32_e32 v3, 0
	v_cmp_ne_u64_e32 vcc, 0, v[2:3]
	s_xor_b64 s[0:1], s[0:1], -1
	s_or_b64 s[0:1], s[0:1], vcc
	s_barrier
	s_and_saveexec_b64 s[2:3], s[0:1]
	s_xor_b64 s[8:9], exec, s[2:3]
	s_cbranch_execz .LBB3_37
; %bb.21:
	v_mov_b32_e32 v2, s7
	v_add_co_u32_e32 v13, vcc, s6, v0
	v_addc_co_u32_e32 v14, vcc, v2, v1, vcc
	v_sub_u32_e32 v2, 0, v12
	v_bfe_u32 v2, v2, 2, 2
	v_min_i32_e32 v9, s16, v2
	v_cmp_gt_i32_e32 vcc, v9, v10
	s_and_saveexec_b64 s[0:1], vcc
	s_cbranch_execz .LBB3_23
; %bb.22:
	v_lshl_add_u32 v2, v10, 2, v12
	ds_read_b32 v2, v2
	v_max_f32_e64 v3, s10, s10
	v_max_f32_e64 v7, s11, s11
	s_waitcnt lgkmcnt(0)
	v_div_scale_f32 v5, s[2:3], v4, v4, v2
	v_rcp_f32_e32 v6, v5
	v_div_scale_f32 v8, vcc, v2, v4, v2
	v_fma_f32 v12, -v5, v6, 1.0
	v_fmac_f32_e32 v6, v12, v6
	v_mul_f32_e32 v12, v8, v6
	v_fma_f32 v15, -v5, v12, v8
	v_fmac_f32_e32 v12, v15, v6
	v_fma_f32 v5, -v5, v12, v8
	v_div_fmas_f32 v5, v5, v6, v12
	v_div_fixup_f32 v2, v5, v4, v2
	v_max_f32_e32 v2, v2, v3
	v_min_f32_e32 v2, v2, v7
	v_cvt_i32_f32_e32 v5, v2
	v_add_co_u32_e32 v2, vcc, v13, v10
	v_addc_co_u32_e32 v3, vcc, 0, v14, vcc
	global_store_byte v[2:3], v5, off
.LBB3_23:
	s_or_b64 exec, exec, s[0:1]
	v_sub_u32_e32 v5, s16, v9
	v_ashrrev_i32_e32 v2, 31, v5
	v_lshrrev_b32_e32 v2, 30, v2
	v_add_u32_e32 v2, v5, v2
	v_ashrrev_i32_e32 v15, 2, v2
	v_ashrrev_i32_e32 v12, 31, v9
	v_cmp_gt_i32_e32 vcc, v15, v10
	v_lshlrev_b32_e32 v8, 2, v9
	s_and_saveexec_b64 s[12:13], vcc
	s_cbranch_execz .LBB3_26
; %bb.24:
	v_lshlrev_b32_e32 v2, 4, v10
	v_lshl_add_u32 v2, v11, 2, v2
	v_lshlrev_b32_e32 v3, 2, v9
	v_add_co_u32_e32 v0, vcc, v9, v0
	v_add3_u32 v16, v2, v3, 0
	v_addc_co_u32_e32 v1, vcc, v12, v1, vcc
	v_lshlrev_b32_e32 v2, 2, v10
	v_add_co_u32_e32 v0, vcc, v0, v2
	v_addc_co_u32_e32 v1, vcc, 0, v1, vcc
	v_mov_b32_e32 v2, s7
	v_add_co_u32_e32 v6, vcc, s6, v0
	v_addc_co_u32_e32 v7, vcc, v2, v1, vcc
	s_mov_b64 s[14:15], 0
	v_max_f32_e64 v17, s10, s10
	v_max_f32_e64 v18, s11, s11
	v_mov_b32_e32 v19, 8
	v_mov_b32_e32 v20, v10
.LBB3_25:                               ; =>This Inner Loop Header: Depth=1
	ds_read_b128 v[0:3], v16
	v_add_u32_e32 v20, 16, v20
	v_cmp_ge_i32_e32 vcc, v20, v15
	s_or_b64 s[14:15], vcc, s[14:15]
	v_add_u32_e32 v16, 0x100, v16
	s_waitcnt lgkmcnt(0)
	v_div_scale_f32 v21, s[0:1], v4, v4, v0
	v_div_scale_f32 v23, s[0:1], v4, v4, v1
	v_rcp_f32_e32 v29, v21
	v_div_scale_f32 v25, s[2:3], v4, v4, v2
	v_rcp_f32_e32 v30, v23
	v_rcp_f32_e32 v31, v25
	v_div_scale_f32 v27, s[4:5], v4, v4, v3
	v_rcp_f32_e32 v32, v27
	v_fma_f32 v33, -v21, v29, 1.0
	v_div_scale_f32 v22, vcc, v0, v4, v0
	v_fma_f32 v34, -v23, v30, 1.0
	v_fmac_f32_e32 v29, v33, v29
	v_div_scale_f32 v24, s[0:1], v1, v4, v1
	v_fma_f32 v35, -v25, v31, 1.0
	v_fmac_f32_e32 v30, v34, v30
	v_mul_f32_e32 v33, v22, v29
	v_div_scale_f32 v26, s[2:3], v2, v4, v2
	v_fmac_f32_e32 v31, v35, v31
	v_mul_f32_e32 v34, v24, v30
	v_fma_f32 v37, -v21, v33, v22
	v_fma_f32 v36, -v27, v32, 1.0
	v_mul_f32_e32 v35, v26, v31
	v_fma_f32 v38, -v23, v34, v24
	v_fmac_f32_e32 v33, v37, v29
	v_div_scale_f32 v28, s[4:5], v3, v4, v3
	v_fmac_f32_e32 v32, v36, v32
	v_fma_f32 v39, -v25, v35, v26
	v_fmac_f32_e32 v34, v38, v30
	v_fma_f32 v21, -v21, v33, v22
	v_mul_f32_e32 v36, v28, v32
	v_fmac_f32_e32 v35, v39, v31
	v_fma_f32 v22, -v23, v34, v24
	v_div_fmas_f32 v21, v21, v29, v33
	s_mov_b64 vcc, s[0:1]
	v_fma_f32 v40, -v27, v36, v28
	v_fma_f32 v23, -v25, v35, v26
	v_div_fixup_f32 v0, v21, v4, v0
	v_div_fmas_f32 v21, v22, v30, v34
	s_mov_b64 vcc, s[2:3]
	v_fmac_f32_e32 v36, v40, v32
	v_div_fixup_f32 v1, v21, v4, v1
	v_div_fmas_f32 v21, v23, v31, v35
	v_fma_f32 v24, -v27, v36, v28
	v_div_fixup_f32 v2, v21, v4, v2
	s_mov_b64 vcc, s[4:5]
	v_div_fmas_f32 v21, v24, v32, v36
	v_max_f32_e32 v2, v2, v17
	v_div_fixup_f32 v3, v21, v4, v3
	v_min_f32_e32 v2, v2, v18
	v_max_f32_e32 v0, v0, v17
	v_max_f32_e32 v1, v1, v17
	;; [unrolled: 1-line block ×3, first 2 shown]
	v_cvt_i32_f32_e32 v2, v2
	v_min_f32_e32 v0, v0, v18
	v_min_f32_e32 v1, v1, v18
	v_min_f32_e32 v3, v3, v18
	v_cvt_i32_f32_e32 v0, v0
	v_cvt_i32_f32_e32 v1, v1
	;; [unrolled: 1-line block ×3, first 2 shown]
	v_and_b32_e32 v2, 0xff, v2
	v_lshlrev_b32_e32 v2, 16, v2
	v_and_b32_e32 v0, 0xff, v0
	v_lshlrev_b32_sdwa v1, v19, v1 dst_sel:DWORD dst_unused:UNUSED_PAD src0_sel:DWORD src1_sel:BYTE_0
	v_lshl_or_b32 v2, v3, 24, v2
	v_or3_b32 v0, v2, v1, v0
	global_store_dword v[6:7], v0, off
	v_add_co_u32_e32 v6, vcc, 64, v6
	v_addc_co_u32_e32 v7, vcc, 0, v7, vcc
	s_andn2_b64 exec, exec, s[14:15]
	s_cbranch_execnz .LBB3_25
.LBB3_26:
	s_or_b64 exec, exec, s[12:13]
	v_lshlrev_b32_e32 v3, 2, v15
	v_add_u32_e32 v0, v3, v10
	v_cmp_lt_i32_e32 vcc, v0, v5
	s_and_saveexec_b64 s[2:3], vcc
	s_cbranch_execz .LBB3_36
; %bb.27:
	v_add_u32_e32 v1, 16, v0
	v_max_i32_e32 v6, v1, v5
	v_add_co_u32_e32 v2, vcc, v13, v9
	v_xad_u32 v6, v10, -1, v6
	v_addc_co_u32_e32 v12, vcc, v14, v12, vcc
	v_sub_u32_e32 v3, v6, v3
	v_cmp_lt_u32_e32 vcc, 15, v3
	s_mov_b64 s[0:1], 0
                                        ; implicit-def: $vgpr13
	s_and_saveexec_b64 s[4:5], vcc
	s_xor_b64 s[4:5], exec, s[4:5]
	s_cbranch_execnz .LBB3_30
; %bb.28:
	s_andn2_saveexec_b64 s[4:5], s[4:5]
	s_cbranch_execnz .LBB3_33
.LBB3_29:
	s_or_b64 exec, exec, s[4:5]
	s_and_b64 exec, exec, s[0:1]
	s_cbranch_execnz .LBB3_34
	s_branch .LBB3_36
.LBB3_30:
	v_lshrrev_b32_e32 v3, 4, v3
	v_add_u32_e32 v14, 1, v3
	v_lshlrev_b32_e32 v13, 2, v11
	v_lshlrev_b32_e32 v6, 4, v15
	;; [unrolled: 1-line block ×3, first 2 shown]
	v_and_b32_e32 v16, 0x1ffffffe, v14
	s_mov_b32 s0, s10
	s_mov_b32 s1, s10
	;; [unrolled: 1-line block ×4, first 2 shown]
	v_add3_u32 v6, v13, v6, v8
	v_lshlrev_b32_e32 v7, 2, v10
	v_mov_b32_e32 v3, v4
	v_add3_u32 v9, v6, v7, 0
	s_mov_b64 s[12:13], 0
	v_max_f32_e64 v10, s1, s1
	v_max_f32_e64 v11, s0, s0
	;; [unrolled: 1-line block ×4, first 2 shown]
	v_mov_b32_e32 v18, v16
	v_pk_mov_b32 v[6:7], v[0:1], v[0:1] op_sel:[0,1]
.LBB3_31:                               ; =>This Inner Loop Header: Depth=1
	ds_read2_b32 v[22:23], v9 offset1:16
	v_ashrrev_i32_e32 v19, 31, v6
	v_add_co_u32_e32 v24, vcc, v2, v6
	v_mov_b32_e32 v20, v7
	v_addc_co_u32_e32 v25, vcc, v12, v19, vcc
	v_ashrrev_i32_e32 v1, 31, v7
	v_add_co_u32_e32 v20, vcc, v2, v20
	v_addc_co_u32_e32 v21, vcc, v12, v1, vcc
	s_waitcnt lgkmcnt(0)
	v_div_scale_f32 v1, s[0:1], v4, v4, v22
	v_div_scale_f32 v26, s[0:1], v3, v3, v23
	v_rcp_f32_e32 v28, v1
	v_rcp_f32_e32 v29, v26
	v_div_scale_f32 v19, vcc, v22, v4, v22
	v_fma_f32 v30, -v1, v28, 1.0
	v_fma_f32 v31, -v26, v29, 1.0
	v_fmac_f32_e32 v28, v30, v28
	v_div_scale_f32 v27, s[0:1], v23, v3, v23
	v_fmac_f32_e32 v29, v31, v29
	v_mul_f32_e32 v30, v19, v28
	v_mul_f32_e32 v31, v27, v29
	v_fma_f32 v32, -v1, v30, v19
	v_fma_f32 v33, -v26, v31, v27
	v_fmac_f32_e32 v30, v32, v28
	v_fmac_f32_e32 v31, v33, v29
	v_fma_f32 v1, -v1, v30, v19
	v_fma_f32 v19, -v26, v31, v27
	v_div_fmas_f32 v1, v1, v28, v30
	s_mov_b64 vcc, s[0:1]
	v_div_fixup_f32 v1, v1, v4, v22
	v_div_fmas_f32 v19, v19, v29, v31
	v_div_fixup_f32 v19, v19, v3, v23
	v_max_f32_e32 v1, v1, v11
	v_max_f32_e32 v19, v19, v10
	v_min_f32_e32 v1, v1, v15
	v_min_f32_e32 v19, v19, v17
	v_cvt_i32_f32_e32 v1, v1
	v_add_u32_e32 v18, -2, v18
	v_cvt_i32_f32_e32 v19, v19
	v_cmp_eq_u32_e32 vcc, 0, v18
	v_add_u32_e32 v7, 32, v7
	v_add_u32_e32 v6, 32, v6
	;; [unrolled: 1-line block ×3, first 2 shown]
	s_or_b64 s[12:13], vcc, s[12:13]
	global_store_byte v[24:25], v1, off
	global_store_byte v[20:21], v19, off
	s_andn2_b64 exec, exec, s[12:13]
	s_cbranch_execnz .LBB3_31
; %bb.32:
	s_or_b64 exec, exec, s[12:13]
	v_cmp_ne_u32_e32 vcc, v14, v16
	v_lshl_add_u32 v0, v16, 4, v0
	s_and_b64 s[0:1], vcc, exec
                                        ; implicit-def: $vgpr11
	s_andn2_saveexec_b64 s[4:5], s[4:5]
	s_cbranch_execz .LBB3_29
.LBB3_33:
	v_lshlrev_b32_e32 v13, 2, v11
	s_or_b64 s[0:1], s[0:1], exec
	s_or_b64 exec, exec, s[4:5]
	s_and_b64 exec, exec, s[0:1]
	s_cbranch_execz .LBB3_36
.LBB3_34:
	v_lshl_add_u32 v1, v0, 2, v13
	v_add3_u32 v3, v1, v8, 0
	v_ashrrev_i32_e32 v1, 31, v0
	s_mov_b64 s[4:5], 0
	v_max_f32_e64 v6, s10, s10
	v_max_f32_e64 v7, s11, s11
.LBB3_35:                               ; =>This Inner Loop Header: Depth=1
	ds_read_b32 v10, v3
	v_add_co_u32_e32 v8, vcc, v2, v0
	v_addc_co_u32_e32 v9, vcc, v12, v1, vcc
	s_waitcnt lgkmcnt(0)
	v_div_scale_f32 v11, s[12:13], v4, v4, v10
	v_rcp_f32_e32 v13, v11
	v_div_scale_f32 v14, vcc, v10, v4, v10
	v_add_co_u32_e64 v0, s[0:1], 16, v0
	v_fma_f32 v15, -v11, v13, 1.0
	v_fmac_f32_e32 v13, v15, v13
	v_mul_f32_e32 v15, v14, v13
	v_fma_f32 v16, -v11, v15, v14
	v_fmac_f32_e32 v15, v16, v13
	v_fma_f32 v11, -v11, v15, v14
	v_div_fmas_f32 v11, v11, v13, v15
	v_div_fixup_f32 v10, v11, v4, v10
	v_max_f32_e32 v10, v10, v6
	v_min_f32_e32 v10, v10, v7
	v_cvt_i32_f32_e32 v10, v10
	v_addc_co_u32_e64 v1, vcc, 0, v1, s[0:1]
	v_cmp_ge_i32_e32 vcc, v0, v5
	v_add_u32_e32 v3, 64, v3
	s_or_b64 s[4:5], vcc, s[4:5]
	global_store_byte v[8:9], v10, off
	s_andn2_b64 exec, exec, s[4:5]
	s_cbranch_execnz .LBB3_35
.LBB3_36:
	s_or_b64 exec, exec, s[2:3]
                                        ; implicit-def: $vgpr10
                                        ; implicit-def: $vgpr4
                                        ; implicit-def: $vgpr11
                                        ; implicit-def: $vgpr0_vgpr1
.LBB3_37:
	s_andn2_saveexec_b64 s[0:1], s[8:9]
	s_cbranch_execz .LBB3_41
; %bb.38:
	s_ashr_i32 s8, s16, 2
	v_cmp_gt_i32_e32 vcc, s8, v10
	s_and_saveexec_b64 s[0:1], vcc
	s_cbranch_execz .LBB3_41
; %bb.39:
	v_lshlrev_b32_e32 v2, 2, v11
	v_lshlrev_b32_e32 v3, 4, v10
	v_add3_u32 v5, v2, v3, 0
	v_lshlrev_b32_e32 v2, 2, v10
	v_add_co_u32_e32 v0, vcc, v0, v2
	v_addc_co_u32_e32 v1, vcc, 0, v1, vcc
	v_mov_b32_e32 v2, s7
	v_add_co_u32_e32 v6, vcc, s6, v0
	v_addc_co_u32_e32 v7, vcc, v2, v1, vcc
	s_mov_b64 s[6:7], 0
	v_max_f32_e64 v8, s10, s10
	v_max_f32_e64 v9, s11, s11
	v_mov_b32_e32 v11, 8
.LBB3_40:                               ; =>This Inner Loop Header: Depth=1
	ds_read_b128 v[0:3], v5
	v_add_u32_e32 v10, 16, v10
	v_cmp_le_i32_e32 vcc, s8, v10
	s_or_b64 s[6:7], vcc, s[6:7]
	v_add_u32_e32 v5, 0x100, v5
	s_waitcnt lgkmcnt(0)
	v_div_scale_f32 v12, s[0:1], v4, v4, v0
	v_div_scale_f32 v14, s[0:1], v4, v4, v1
	v_rcp_f32_e32 v20, v12
	v_div_scale_f32 v16, s[2:3], v4, v4, v2
	v_rcp_f32_e32 v21, v14
	v_rcp_f32_e32 v22, v16
	v_div_scale_f32 v18, s[4:5], v4, v4, v3
	v_rcp_f32_e32 v23, v18
	v_fma_f32 v24, -v12, v20, 1.0
	v_div_scale_f32 v13, vcc, v0, v4, v0
	v_fma_f32 v25, -v14, v21, 1.0
	v_fmac_f32_e32 v20, v24, v20
	v_div_scale_f32 v15, s[0:1], v1, v4, v1
	v_fma_f32 v26, -v16, v22, 1.0
	v_fmac_f32_e32 v21, v25, v21
	v_mul_f32_e32 v24, v13, v20
	v_div_scale_f32 v17, s[2:3], v2, v4, v2
	v_fmac_f32_e32 v22, v26, v22
	v_mul_f32_e32 v25, v15, v21
	v_fma_f32 v28, -v12, v24, v13
	v_fma_f32 v27, -v18, v23, 1.0
	v_mul_f32_e32 v26, v17, v22
	v_fma_f32 v29, -v14, v25, v15
	v_fmac_f32_e32 v24, v28, v20
	v_div_scale_f32 v19, s[4:5], v3, v4, v3
	v_fmac_f32_e32 v23, v27, v23
	v_fma_f32 v30, -v16, v26, v17
	v_fmac_f32_e32 v25, v29, v21
	v_fma_f32 v12, -v12, v24, v13
	v_mul_f32_e32 v27, v19, v23
	v_fmac_f32_e32 v26, v30, v22
	v_fma_f32 v13, -v14, v25, v15
	v_div_fmas_f32 v12, v12, v20, v24
	s_mov_b64 vcc, s[0:1]
	v_fma_f32 v31, -v18, v27, v19
	v_fma_f32 v14, -v16, v26, v17
	v_div_fixup_f32 v0, v12, v4, v0
	v_div_fmas_f32 v12, v13, v21, v25
	s_mov_b64 vcc, s[2:3]
	v_fmac_f32_e32 v27, v31, v23
	v_div_fixup_f32 v1, v12, v4, v1
	v_div_fmas_f32 v12, v14, v22, v26
	v_fma_f32 v15, -v18, v27, v19
	v_div_fixup_f32 v2, v12, v4, v2
	s_mov_b64 vcc, s[4:5]
	v_div_fmas_f32 v12, v15, v23, v27
	v_max_f32_e32 v2, v2, v8
	v_div_fixup_f32 v3, v12, v4, v3
	v_min_f32_e32 v2, v2, v9
	v_max_f32_e32 v0, v0, v8
	v_max_f32_e32 v1, v1, v8
	;; [unrolled: 1-line block ×3, first 2 shown]
	v_cvt_i32_f32_e32 v2, v2
	v_min_f32_e32 v0, v0, v9
	v_min_f32_e32 v1, v1, v9
	;; [unrolled: 1-line block ×3, first 2 shown]
	v_cvt_i32_f32_e32 v0, v0
	v_cvt_i32_f32_e32 v1, v1
	;; [unrolled: 1-line block ×3, first 2 shown]
	v_and_b32_e32 v2, 0xff, v2
	v_lshlrev_b32_e32 v2, 16, v2
	v_and_b32_e32 v0, 0xff, v0
	v_lshlrev_b32_sdwa v1, v11, v1 dst_sel:DWORD dst_unused:UNUSED_PAD src0_sel:DWORD src1_sel:BYTE_0
	v_lshl_or_b32 v2, v3, 24, v2
	v_or3_b32 v0, v2, v1, v0
	global_store_dword v[6:7], v0, off
	v_add_co_u32_e32 v6, vcc, 64, v6
	v_addc_co_u32_e32 v7, vcc, 0, v7, vcc
	s_andn2_b64 exec, exec, s[6:7]
	s_cbranch_execnz .LBB3_40
.LBB3_41:
	s_endpgm
	.section	.rodata,"a",@progbits
	.p2align	6, 0x0
	.amdhsa_kernel _Z33per_token_group_quant_8bit_kernelIfaLb0ELb0EfEvPKT_PvPT3_iiifffii
		.amdhsa_group_segment_fixed_size 0
		.amdhsa_private_segment_fixed_size 0
		.amdhsa_kernarg_size 56
		.amdhsa_user_sgpr_count 6
		.amdhsa_user_sgpr_private_segment_buffer 1
		.amdhsa_user_sgpr_dispatch_ptr 0
		.amdhsa_user_sgpr_queue_ptr 0
		.amdhsa_user_sgpr_kernarg_segment_ptr 1
		.amdhsa_user_sgpr_dispatch_id 0
		.amdhsa_user_sgpr_flat_scratch_init 0
		.amdhsa_user_sgpr_kernarg_preload_length 0
		.amdhsa_user_sgpr_kernarg_preload_offset 0
		.amdhsa_user_sgpr_private_segment_size 0
		.amdhsa_uses_dynamic_stack 0
		.amdhsa_system_sgpr_private_segment_wavefront_offset 0
		.amdhsa_system_sgpr_workgroup_id_x 1
		.amdhsa_system_sgpr_workgroup_id_y 0
		.amdhsa_system_sgpr_workgroup_id_z 0
		.amdhsa_system_sgpr_workgroup_info 0
		.amdhsa_system_vgpr_workitem_id 0
		.amdhsa_next_free_vgpr 41
		.amdhsa_next_free_sgpr 17
		.amdhsa_accum_offset 44
		.amdhsa_reserve_vcc 1
		.amdhsa_reserve_flat_scratch 0
		.amdhsa_float_round_mode_32 0
		.amdhsa_float_round_mode_16_64 0
		.amdhsa_float_denorm_mode_32 3
		.amdhsa_float_denorm_mode_16_64 3
		.amdhsa_dx10_clamp 1
		.amdhsa_ieee_mode 1
		.amdhsa_fp16_overflow 0
		.amdhsa_tg_split 0
		.amdhsa_exception_fp_ieee_invalid_op 0
		.amdhsa_exception_fp_denorm_src 0
		.amdhsa_exception_fp_ieee_div_zero 0
		.amdhsa_exception_fp_ieee_overflow 0
		.amdhsa_exception_fp_ieee_underflow 0
		.amdhsa_exception_fp_ieee_inexact 0
		.amdhsa_exception_int_div_zero 0
	.end_amdhsa_kernel
	.section	.text._Z33per_token_group_quant_8bit_kernelIfaLb0ELb0EfEvPKT_PvPT3_iiifffii,"axG",@progbits,_Z33per_token_group_quant_8bit_kernelIfaLb0ELb0EfEvPKT_PvPT3_iiifffii,comdat
.Lfunc_end3:
	.size	_Z33per_token_group_quant_8bit_kernelIfaLb0ELb0EfEvPKT_PvPT3_iiifffii, .Lfunc_end3-_Z33per_token_group_quant_8bit_kernelIfaLb0ELb0EfEvPKT_PvPT3_iiifffii
                                        ; -- End function
	.section	.AMDGPU.csdata,"",@progbits
; Kernel info:
; codeLenInByte = 3156
; NumSgprs: 21
; NumVgprs: 41
; NumAgprs: 0
; TotalNumVgprs: 41
; ScratchSize: 0
; MemoryBound: 0
; FloatMode: 240
; IeeeMode: 1
; LDSByteSize: 0 bytes/workgroup (compile time only)
; SGPRBlocks: 2
; VGPRBlocks: 5
; NumSGPRsForWavesPerEU: 21
; NumVGPRsForWavesPerEU: 41
; AccumOffset: 44
; Occupancy: 8
; WaveLimiterHint : 0
; COMPUTE_PGM_RSRC2:SCRATCH_EN: 0
; COMPUTE_PGM_RSRC2:USER_SGPR: 6
; COMPUTE_PGM_RSRC2:TRAP_HANDLER: 0
; COMPUTE_PGM_RSRC2:TGID_X_EN: 1
; COMPUTE_PGM_RSRC2:TGID_Y_EN: 0
; COMPUTE_PGM_RSRC2:TGID_Z_EN: 0
; COMPUTE_PGM_RSRC2:TIDIG_COMP_CNT: 0
; COMPUTE_PGM_RSRC3_GFX90A:ACCUM_OFFSET: 10
; COMPUTE_PGM_RSRC3_GFX90A:TG_SPLIT: 0
	.section	.text._Z33per_token_group_quant_8bit_kernelIfN3c1013Float8_e4m3fnELb1ELb1EfEvPKT_PvPT3_iiifffii,"axG",@progbits,_Z33per_token_group_quant_8bit_kernelIfN3c1013Float8_e4m3fnELb1ELb1EfEvPKT_PvPT3_iiifffii,comdat
	.protected	_Z33per_token_group_quant_8bit_kernelIfN3c1013Float8_e4m3fnELb1ELb1EfEvPKT_PvPT3_iiifffii ; -- Begin function _Z33per_token_group_quant_8bit_kernelIfN3c1013Float8_e4m3fnELb1ELb1EfEvPKT_PvPT3_iiifffii
	.globl	_Z33per_token_group_quant_8bit_kernelIfN3c1013Float8_e4m3fnELb1ELb1EfEvPKT_PvPT3_iiifffii
	.p2align	8
	.type	_Z33per_token_group_quant_8bit_kernelIfN3c1013Float8_e4m3fnELb1ELb1EfEvPKT_PvPT3_iiifffii,@function
_Z33per_token_group_quant_8bit_kernelIfN3c1013Float8_e4m3fnELb1ELb1EfEvPKT_PvPT3_iiifffii: ; @_Z33per_token_group_quant_8bit_kernelIfN3c1013Float8_e4m3fnELb1ELb1EfEvPKT_PvPT3_iiifffii
; %bb.0:
	s_load_dword s20, s[4:5], 0x18
	s_load_dwordx2 s[12:13], s[4:5], 0x0
	s_load_dwordx4 s[0:3], s[4:5], 0x20
	s_load_dwordx2 s[10:11], s[4:5], 0x30
	v_lshrrev_b32_e32 v2, 4, v0
	s_waitcnt lgkmcnt(0)
	s_ashr_i32 s8, s20, 31
	v_and_b32_e32 v8, 15, v0
	s_mul_i32 s6, s6, s0
	v_add_co_u32_e32 v7, vcc, s6, v2
	v_addc_co_u32_e64 v9, s[6:7], 0, 0, vcc
	v_mul_lo_u32 v0, v9, s20
	v_mul_lo_u32 v1, v7, s8
	v_mad_u64_u32 v[12:13], s[6:7], v7, s20, 0
	v_add3_u32 v13, v13, v1, v0
	v_lshlrev_b64 v[0:1], 2, v[12:13]
	s_and_b32 s0, s20, 3
	v_mov_b32_e32 v4, s13
	v_add_co_u32_e32 v3, vcc, s12, v0
	s_cmp_eq_u32 s0, 0
	v_addc_co_u32_e32 v4, vcc, v4, v1, vcc
	v_mov_b32_e32 v11, 0
	v_and_b32_e32 v10, 15, v3
	s_cselect_b64 s[8:9], -1, 0
	s_cmp_lg_u32 s0, 0
	v_mul_lo_u32 v22, v2, s20
	v_cmp_ne_u64_e32 vcc, 0, v[10:11]
	s_cselect_b64 s[6:7], -1, 0
	v_lshl_add_u32 v6, v22, 2, 0
	s_or_b64 s[6:7], s[6:7], vcc
                                        ; implicit-def: $vgpr10
	s_and_saveexec_b64 s[14:15], s[6:7]
	s_xor_b64 s[6:7], exec, s[14:15]
	s_cbranch_execz .LBB4_12
; %bb.1:
	v_sub_u32_e32 v2, 0, v3
	v_bfe_u32 v2, v2, 2, 2
	v_min_i32_e32 v2, s20, v2
	v_cmp_gt_i32_e32 vcc, v2, v8
	v_mov_b32_e32 v10, s1
	s_and_saveexec_b64 s[14:15], vcc
	s_cbranch_execz .LBB4_3
; %bb.2:
	v_lshlrev_b32_e32 v5, 2, v8
	v_add_co_u32_e32 v10, vcc, v3, v5
	v_addc_co_u32_e32 v11, vcc, 0, v4, vcc
	global_load_dword v3, v[10:11], off
	v_max_f32_e64 v4, s1, s1
	v_add_u32_e32 v5, v6, v5
	s_waitcnt vmcnt(0)
	v_max_f32_e64 v10, |v3|, |v3|
	v_max_f32_e32 v10, v4, v10
	ds_write_b32 v5, v3
.LBB4_3:
	s_or_b64 exec, exec, s[14:15]
	v_sub_u32_e32 v11, s20, v2
	v_ashrrev_i32_e32 v4, 31, v11
	v_lshrrev_b32_e32 v4, 30, v4
	v_add_u32_e32 v4, v11, v4
	v_ashrrev_i32_e32 v3, 31, v2
	v_ashrrev_i32_e32 v14, 2, v4
	v_cmp_gt_i32_e32 vcc, v14, v8
	v_lshlrev_b32_e32 v15, 2, v2
	v_lshlrev_b64 v[2:3], 2, v[2:3]
	s_and_saveexec_b64 s[14:15], vcc
	s_cbranch_execz .LBB4_7
; %bb.4:
	v_lshlrev_b32_e32 v4, 4, v8
	v_lshl_add_u32 v5, v22, 2, v4
	v_add_co_u32_e32 v4, vcc, v0, v4
	v_add3_u32 v16, v5, v15, 0
	v_addc_co_u32_e32 v5, vcc, 0, v1, vcc
	v_add_co_u32_e32 v4, vcc, v4, v2
	v_addc_co_u32_e32 v5, vcc, v5, v3, vcc
	v_mov_b32_e32 v17, s13
	v_add_co_u32_e32 v4, vcc, s12, v4
	v_addc_co_u32_e32 v5, vcc, v5, v17, vcc
	v_add_co_u32_e32 v4, vcc, 8, v4
	v_addc_co_u32_e32 v5, vcc, 0, v5, vcc
	s_mov_b64 s[16:17], 0
	v_mov_b32_e32 v17, v8
.LBB4_5:                                ; =>This Inner Loop Header: Depth=1
	global_load_dwordx4 v[18:21], v[4:5], off offset:-8
	v_add_co_u32_e32 v4, vcc, 0x100, v4
	v_add_u32_e32 v17, 16, v17
	v_addc_co_u32_e32 v5, vcc, 0, v5, vcc
	v_cmp_ge_i32_e32 vcc, v17, v14
	s_or_b64 s[16:17], vcc, s[16:17]
	s_waitcnt vmcnt(0)
	v_max3_f32 v10, v10, |v18|, |v19|
	ds_write_b128 v16, v[18:21]
	v_add_u32_e32 v16, 0x100, v16
	v_max3_f32 v10, v10, |v20|, |v21|
	s_andn2_b64 exec, exec, s[16:17]
	s_cbranch_execnz .LBB4_5
; %bb.6:
	s_or_b64 exec, exec, s[16:17]
.LBB4_7:
	s_or_b64 exec, exec, s[14:15]
	v_lshl_add_u32 v4, v14, 2, v8
	v_cmp_lt_i32_e32 vcc, v4, v11
	s_and_saveexec_b64 s[14:15], vcc
	s_cbranch_execz .LBB4_11
; %bb.8:
	v_lshlrev_b32_e32 v5, 2, v22
	v_lshlrev_b32_e32 v14, 4, v14
	v_add3_u32 v5, v5, v14, v15
	v_lshlrev_b32_e32 v14, 2, v8
	v_add3_u32 v14, v5, v14, 0
	v_add_co_u32_e32 v2, vcc, v0, v2
	v_ashrrev_i32_e32 v5, 31, v4
	v_addc_co_u32_e32 v3, vcc, v1, v3, vcc
	v_lshlrev_b64 v[0:1], 2, v[4:5]
	v_add_co_u32_e32 v0, vcc, v2, v0
	v_addc_co_u32_e32 v1, vcc, v3, v1, vcc
	v_mov_b32_e32 v2, s13
	v_add_co_u32_e32 v0, vcc, s12, v0
	v_addc_co_u32_e32 v1, vcc, v2, v1, vcc
	s_mov_b64 s[16:17], 0
.LBB4_9:                                ; =>This Inner Loop Header: Depth=1
	global_load_dword v2, v[0:1], off
	v_add_co_u32_e32 v0, vcc, 64, v0
	v_add_u32_e32 v4, 16, v4
	v_addc_co_u32_e32 v1, vcc, 0, v1, vcc
	v_max_f32_e32 v3, v10, v10
	v_cmp_ge_i32_e32 vcc, v4, v11
	s_or_b64 s[16:17], vcc, s[16:17]
	s_waitcnt vmcnt(0)
	v_max_f32_e64 v5, |v2|, |v2|
	ds_write_b32 v14, v2
	v_add_u32_e32 v14, 64, v14
	v_max_f32_e32 v10, v3, v5
	s_andn2_b64 exec, exec, s[16:17]
	s_cbranch_execnz .LBB4_9
; %bb.10:
	s_or_b64 exec, exec, s[16:17]
.LBB4_11:
	s_or_b64 exec, exec, s[14:15]
                                        ; implicit-def: $vgpr0_vgpr1
.LBB4_12:
	s_andn2_saveexec_b64 s[6:7], s[6:7]
	s_cbranch_execz .LBB4_18
; %bb.13:
	s_ashr_i32 s0, s20, 2
	v_cmp_gt_i32_e32 vcc, s0, v8
	v_mov_b32_e32 v10, s1
	s_and_saveexec_b64 s[14:15], vcc
	s_cbranch_execz .LBB4_17
; %bb.14:
	v_lshlrev_b32_e32 v3, 4, v8
	v_add_co_u32_e32 v0, vcc, v0, v3
	v_lshlrev_b32_e32 v2, 2, v22
	v_addc_co_u32_e32 v1, vcc, 0, v1, vcc
	v_add3_u32 v2, v2, v3, 0
	v_mov_b32_e32 v3, s13
	v_add_co_u32_e32 v0, vcc, s12, v0
	v_addc_co_u32_e32 v1, vcc, v1, v3, vcc
	v_add_co_u32_e32 v0, vcc, 8, v0
	v_addc_co_u32_e32 v1, vcc, 0, v1, vcc
	s_mov_b64 s[12:13], 0
	v_mov_b32_e32 v10, s1
	v_mov_b32_e32 v3, v8
.LBB4_15:                               ; =>This Inner Loop Header: Depth=1
	global_load_dwordx4 v[14:17], v[0:1], off offset:-8
	v_add_co_u32_e32 v0, vcc, 0x100, v0
	v_add_u32_e32 v3, 16, v3
	v_addc_co_u32_e32 v1, vcc, 0, v1, vcc
	v_cmp_le_i32_e32 vcc, s0, v3
	s_or_b64 s[12:13], vcc, s[12:13]
	s_waitcnt vmcnt(0)
	v_max3_f32 v4, v10, |v14|, |v15|
	ds_write_b128 v2, v[14:17]
	v_add_u32_e32 v2, 0x100, v2
	v_max3_f32 v10, v4, |v16|, |v17|
	s_andn2_b64 exec, exec, s[12:13]
	s_cbranch_execnz .LBB4_15
; %bb.16:
	s_or_b64 exec, exec, s[12:13]
.LBB4_17:
	s_or_b64 exec, exec, s[14:15]
.LBB4_18:
	s_or_b64 exec, exec, s[6:7]
	v_mbcnt_lo_u32_b32 v0, -1, 0
	v_mbcnt_hi_u32_b32 v0, -1, v0
	v_and_b32_e32 v2, 0x70, v0
	v_xor_b32_e32 v1, 8, v0
	v_add_u32_e32 v2, 16, v2
	v_cmp_lt_i32_e32 vcc, v1, v2
	v_cndmask_b32_e32 v1, v0, v1, vcc
	v_lshlrev_b32_e32 v1, 2, v1
	ds_bpermute_b32 v1, v1, v10
	v_xor_b32_e32 v4, 4, v0
	v_max_f32_e32 v3, v10, v10
	v_cmp_lt_i32_e32 vcc, v4, v2
	s_load_dwordx2 s[6:7], s[4:5], 0x8
	s_waitcnt lgkmcnt(0)
	v_max_f32_e32 v1, v1, v1
	v_max_f32_e32 v1, v3, v1
	v_cndmask_b32_e32 v3, v0, v4, vcc
	v_lshlrev_b32_e32 v3, 2, v3
	ds_bpermute_b32 v3, v3, v1
	v_xor_b32_e32 v4, 2, v0
	v_cmp_lt_i32_e32 vcc, v4, v2
	s_waitcnt lgkmcnt(0)
	v_max_f32_e32 v3, v3, v3
	v_max_f32_e32 v1, v1, v3
	v_cndmask_b32_e32 v3, v0, v4, vcc
	v_lshlrev_b32_e32 v3, 2, v3
	ds_bpermute_b32 v3, v3, v1
	v_xor_b32_e32 v4, 1, v0
	v_cmp_lt_i32_e32 vcc, v4, v2
	v_cndmask_b32_e32 v0, v0, v4, vcc
	v_lshlrev_b32_e32 v0, 2, v0
	s_waitcnt lgkmcnt(0)
	v_max_f32_e32 v3, v3, v3
	v_max_f32_e32 v1, v1, v3
	ds_bpermute_b32 v0, v0, v1
	s_waitcnt lgkmcnt(0)
	v_max_f32_e32 v0, v0, v0
	v_max_f32_e32 v0, v1, v0
	v_div_scale_f32 v1, s[0:1], s3, s3, v0
	v_rcp_f32_e32 v2, v1
	v_div_scale_f32 v3, vcc, v0, s3, v0
	s_mov_b32 s0, 0x2edbe6ff
	v_fma_f32 v4, -v1, v2, 1.0
	v_fmac_f32_e32 v2, v4, v2
	v_mul_f32_e32 v4, v3, v2
	v_fma_f32 v5, -v1, v4, v3
	v_fmac_f32_e32 v4, v5, v2
	v_fma_f32 v1, -v1, v4, v3
	v_div_fmas_f32 v1, v1, v2, v4
	v_div_fixup_f32 v0, v1, s3, v0
	v_max_f32_e64 v0, |v0|, s0
	s_mov_b32 s0, 0x800000
	v_mov_b32_e32 v1, 0x4f800000
	v_cmp_gt_f32_e32 vcc, s0, v0
	v_cndmask_b32_e32 v1, 1.0, v1, vcc
	v_mul_f32_e32 v0, v0, v1
	v_log_f32_e32 v0, v0
	v_mov_b32_e32 v1, 0x42000000
	v_cndmask_b32_e32 v1, 0, v1, vcc
	s_mov_b32 s0, 0xc2fc0000
	v_sub_f32_e32 v0, v0, v1
	v_ceil_f32_e32 v0, v0
	v_mov_b32_e32 v1, 0x42800000
	v_cmp_gt_f32_e32 vcc, s0, v0
	v_cndmask_b32_e32 v1, 0, v1, vcc
	v_add_f32_e32 v0, v0, v1
	v_exp_f32_e32 v0, v0
	v_mov_b32_e32 v1, 0x1f800000
	v_cndmask_b32_e32 v1, 1.0, v1, vcc
	v_cmp_eq_u32_e32 vcc, 0, v8
	v_mul_f32_e32 v10, v0, v1
	s_and_saveexec_b64 s[12:13], vcc
	s_cbranch_execz .LBB4_24
; %bb.19:
	s_load_dwordx2 s[4:5], s[4:5], 0x10
	s_ashr_i32 s0, s10, 31
	v_or_b32_e32 v1, s0, v9
	v_mov_b32_e32 v0, 0
	v_cmp_ne_u64_e32 vcc, 0, v[0:1]
                                        ; implicit-def: $vgpr0_vgpr1
	s_and_saveexec_b64 s[14:15], vcc
	s_xor_b64 s[14:15], exec, s[14:15]
	s_cbranch_execz .LBB4_21
; %bb.20:
	s_add_u32 s18, s10, s0
	s_mov_b32 s16, s0
	s_mov_b32 s17, s0
	s_addc_u32 s19, s0, s0
	s_xor_b64 s[18:19], s[18:19], s[16:17]
	v_cvt_f32_u32_e32 v0, s18
	v_cvt_f32_u32_e32 v1, s19
	s_sub_u32 s0, 0, s18
	s_subb_u32 s1, 0, s19
	v_madmk_f32 v0, v1, 0x4f800000, v0
	v_rcp_f32_e32 v0, v0
	v_mul_f32_e32 v0, 0x5f7ffffc, v0
	v_mul_f32_e32 v1, 0x2f800000, v0
	v_trunc_f32_e32 v1, v1
	v_madmk_f32 v0, v1, 0xcf800000, v0
	v_cvt_u32_f32_e32 v1, v1
	v_cvt_u32_f32_e32 v0, v0
	v_mul_lo_u32 v2, s0, v1
	v_mul_hi_u32 v4, s0, v0
	v_mul_lo_u32 v3, s1, v0
	v_add_u32_e32 v2, v4, v2
	v_mul_lo_u32 v5, s0, v0
	v_add_u32_e32 v2, v2, v3
	v_mul_lo_u32 v4, v0, v2
	v_mul_hi_u32 v11, v0, v5
	v_mul_hi_u32 v3, v0, v2
	v_add_co_u32_e32 v4, vcc, v11, v4
	v_addc_co_u32_e32 v3, vcc, 0, v3, vcc
	v_mul_hi_u32 v14, v1, v5
	v_mul_lo_u32 v5, v1, v5
	v_add_co_u32_e32 v4, vcc, v4, v5
	v_mul_hi_u32 v11, v1, v2
	v_addc_co_u32_e32 v3, vcc, v3, v14, vcc
	v_addc_co_u32_e32 v4, vcc, 0, v11, vcc
	v_mul_lo_u32 v2, v1, v2
	v_add_co_u32_e32 v2, vcc, v3, v2
	v_addc_co_u32_e32 v3, vcc, 0, v4, vcc
	v_add_co_u32_e32 v0, vcc, v0, v2
	v_addc_co_u32_e32 v1, vcc, v1, v3, vcc
	v_mul_lo_u32 v2, s0, v1
	v_mul_hi_u32 v3, s0, v0
	v_add_u32_e32 v2, v3, v2
	v_mul_lo_u32 v3, s1, v0
	v_add_u32_e32 v2, v2, v3
	v_mul_lo_u32 v4, s0, v0
	v_mul_hi_u32 v5, v1, v4
	v_mul_lo_u32 v11, v1, v4
	v_mul_lo_u32 v15, v0, v2
	v_mul_hi_u32 v4, v0, v4
	v_mul_hi_u32 v14, v0, v2
	v_add_co_u32_e32 v4, vcc, v4, v15
	v_addc_co_u32_e32 v14, vcc, 0, v14, vcc
	v_add_co_u32_e32 v4, vcc, v4, v11
	v_mul_hi_u32 v3, v1, v2
	v_addc_co_u32_e32 v4, vcc, v14, v5, vcc
	v_addc_co_u32_e32 v3, vcc, 0, v3, vcc
	v_mul_lo_u32 v2, v1, v2
	v_add_co_u32_e32 v2, vcc, v4, v2
	v_addc_co_u32_e32 v3, vcc, 0, v3, vcc
	v_add_co_u32_e32 v2, vcc, v0, v2
	v_addc_co_u32_e32 v3, vcc, v1, v3, vcc
	v_mad_u64_u32 v[0:1], s[0:1], v7, v3, 0
	v_mul_hi_u32 v4, v7, v2
	v_add_co_u32_e32 v4, vcc, v4, v0
	v_addc_co_u32_e32 v5, vcc, 0, v1, vcc
	v_mad_u64_u32 v[0:1], s[0:1], v9, v3, 0
	v_mad_u64_u32 v[2:3], s[0:1], v9, v2, 0
	v_add_co_u32_e32 v2, vcc, v4, v2
	v_addc_co_u32_e32 v2, vcc, v5, v3, vcc
	v_addc_co_u32_e32 v1, vcc, 0, v1, vcc
	v_add_co_u32_e32 v2, vcc, v2, v0
	v_addc_co_u32_e32 v0, vcc, 0, v1, vcc
	v_mul_lo_u32 v3, s19, v2
	v_mul_lo_u32 v4, s18, v0
	v_mad_u64_u32 v[0:1], s[0:1], s18, v2, 0
	v_add3_u32 v1, v1, v4, v3
	v_sub_u32_e32 v3, v9, v1
	v_mov_b32_e32 v4, s19
	v_sub_co_u32_e32 v0, vcc, v7, v0
	v_subb_co_u32_e64 v3, s[0:1], v3, v4, vcc
	v_subrev_co_u32_e64 v4, s[0:1], s18, v0
	v_subbrev_co_u32_e64 v3, s[0:1], 0, v3, s[0:1]
	v_cmp_le_u32_e64 s[0:1], s19, v3
	v_subb_co_u32_e32 v1, vcc, v9, v1, vcc
	v_cndmask_b32_e64 v5, 0, -1, s[0:1]
	v_cmp_le_u32_e64 s[0:1], s18, v4
	v_cmp_le_u32_e32 vcc, s19, v1
	v_cndmask_b32_e64 v4, 0, -1, s[0:1]
	v_cmp_eq_u32_e64 s[0:1], s19, v3
	v_cndmask_b32_e64 v9, 0, -1, vcc
	v_cmp_le_u32_e32 vcc, s18, v0
	v_cndmask_b32_e64 v3, v5, v4, s[0:1]
	v_cndmask_b32_e64 v0, 0, -1, vcc
	v_cmp_eq_u32_e32 vcc, s19, v1
	v_add_co_u32_e64 v4, s[0:1], 2, v2
	v_add_co_u32_e64 v5, s[0:1], 1, v2
	v_cndmask_b32_e32 v0, v9, v0, vcc
	v_cmp_ne_u32_e32 vcc, 0, v3
	v_cndmask_b32_e32 v1, v5, v4, vcc
	v_cmp_ne_u32_e32 vcc, 0, v0
	v_cndmask_b32_e32 v0, v2, v1, vcc
	v_xor_b32_e32 v0, s16, v0
	v_subrev_co_u32_e32 v0, vcc, s16, v0
.LBB4_21:
	s_andn2_saveexec_b64 s[0:1], s[14:15]
	s_cbranch_execz .LBB4_23
; %bb.22:
	v_cvt_f32_u32_e32 v0, s10
	s_sub_i32 s14, 0, s10
	v_rcp_iflag_f32_e32 v0, v0
	v_mul_f32_e32 v0, 0x4f7ffffe, v0
	v_cvt_u32_f32_e32 v0, v0
	v_mul_lo_u32 v1, s14, v0
	v_mul_hi_u32 v1, v0, v1
	v_add_u32_e32 v0, v0, v1
	v_mul_hi_u32 v0, v7, v0
	v_mul_lo_u32 v1, v0, s10
	v_sub_u32_e32 v1, v7, v1
	v_add_u32_e32 v2, 1, v0
	v_subrev_u32_e32 v3, s10, v1
	v_cmp_le_u32_e32 vcc, s10, v1
	v_cndmask_b32_e32 v1, v1, v3, vcc
	v_cndmask_b32_e32 v0, v0, v2, vcc
	v_add_u32_e32 v2, 1, v0
	v_cmp_le_u32_e32 vcc, s10, v1
	v_cndmask_b32_e32 v0, v0, v2, vcc
.LBB4_23:
	s_or_b64 exec, exec, s[0:1]
	v_mul_lo_u32 v1, v0, s10
	v_sub_u32_e32 v1, v7, v1
	v_mad_u64_u32 v[0:1], s[0:1], v1, s11, v[0:1]
	v_ashrrev_i32_e32 v1, 31, v0
	v_lshlrev_b64 v[0:1], 2, v[0:1]
	s_waitcnt lgkmcnt(0)
	v_mov_b32_e32 v2, s5
	v_add_co_u32_e32 v0, vcc, s4, v0
	v_addc_co_u32_e32 v1, vcc, v2, v1, vcc
	global_store_dword v[0:1], v10, off
.LBB4_24:
	s_or_b64 exec, exec, s[12:13]
	v_mov_b32_e32 v0, s7
	v_add_co_u32_e32 v20, vcc, s6, v12
	v_addc_co_u32_e32 v21, vcc, v0, v13, vcc
	v_and_b32_e32 v0, 15, v6
	v_mov_b32_e32 v1, 0
	v_cmp_ne_u64_e32 vcc, 0, v[0:1]
	s_xor_b64 s[0:1], s[8:9], -1
	s_or_b64 s[0:1], s[0:1], vcc
	s_barrier
	s_and_saveexec_b64 s[4:5], s[0:1]
	s_xor_b64 s[4:5], exec, s[4:5]
	s_cbranch_execz .LBB4_84
; %bb.25:
	v_sub_u32_e32 v0, 0, v6
	v_bfe_u32 v0, v0, 2, 2
	v_min_i32_e32 v14, s20, v0
	v_cmp_gt_i32_e32 vcc, v14, v8
	s_and_saveexec_b64 s[0:1], vcc
	s_cbranch_execz .LBB4_33
; %bb.26:
	v_lshl_add_u32 v0, v8, 2, v6
	ds_read_b32 v0, v0
	v_max_f32_e64 v1, s2, s2
	v_max_f32_e64 v2, s3, s3
	s_waitcnt lgkmcnt(0)
	v_div_scale_f32 v3, s[8:9], v10, v10, v0
	v_rcp_f32_e32 v4, v3
	v_div_scale_f32 v5, vcc, v0, v10, v0
	s_mov_b32 s8, 0x43f00000
	v_fma_f32 v6, -v3, v4, 1.0
	v_fmac_f32_e32 v4, v6, v4
	v_mul_f32_e32 v6, v5, v4
	v_fma_f32 v7, -v3, v6, v5
	v_fmac_f32_e32 v6, v7, v4
	v_fma_f32 v3, -v3, v6, v5
	v_div_fmas_f32 v3, v3, v4, v6
	v_div_fixup_f32 v0, v3, v10, v0
	v_max_f32_e32 v0, v0, v1
	v_min_f32_e32 v0, v0, v2
	v_and_b32_e32 v2, 0x7fffffff, v0
	v_cmp_gt_u32_e32 vcc, s8, v2
	v_mov_b32_e32 v1, 0x7f
	s_and_saveexec_b64 s[8:9], vcc
	s_cbranch_execz .LBB4_32
; %bb.27:
	s_mov_b32 s10, 0x3c7fffff
	v_cmp_lt_u32_e32 vcc, s10, v2
                                        ; implicit-def: $vgpr1
	s_and_saveexec_b64 s[10:11], vcc
	s_xor_b64 s[10:11], exec, s[10:11]
; %bb.28:
	v_bfe_u32 v1, v0, 20, 1
	s_mov_b32 s12, 0x407ffff
	v_add3_u32 v1, v0, v1, s12
	v_lshrrev_b32_e32 v1, 20, v1
; %bb.29:
	s_andn2_saveexec_b64 s[10:11], s[10:11]
; %bb.30:
	s_mov_b32 s12, 0x46800000
	v_add_f32_e64 v1, |v0|, s12
; %bb.31:
	s_or_b64 exec, exec, s[10:11]
.LBB4_32:
	s_or_b64 exec, exec, s[8:9]
	v_add_co_u32_e32 v2, vcc, v20, v8
	v_lshrrev_b32_e32 v0, 24, v0
	s_movk_i32 s8, 0x80
	v_addc_co_u32_e32 v3, vcc, 0, v21, vcc
	v_and_or_b32 v0, v0, s8, v1
	global_store_byte v[2:3], v0, off
.LBB4_33:
	s_or_b64 exec, exec, s[0:1]
	v_sub_u32_e32 v23, s20, v14
	v_ashrrev_i32_e32 v0, 31, v23
	v_lshrrev_b32_e32 v0, 30, v0
	v_ashrrev_i32_e32 v11, 31, v14
	v_add_co_u32_e32 v24, vcc, v20, v14
	v_add_u32_e32 v0, v23, v0
	v_addc_co_u32_e32 v25, vcc, v21, v11, vcc
	v_ashrrev_i32_e32 v26, 2, v0
	v_cmp_gt_i32_e32 vcc, v26, v8
	s_and_saveexec_b64 s[8:9], vcc
	s_cbranch_execz .LBB4_67
; %bb.34:
	v_xad_u32 v0, v8, -1, v26
	v_cmp_lt_u32_e32 vcc, 15, v0
	s_mov_b64 s[0:1], 0
                                        ; implicit-def: $vgpr4
                                        ; implicit-def: $vgpr27
                                        ; implicit-def: $vgpr28
	s_and_saveexec_b64 s[10:11], vcc
	s_xor_b64 s[10:11], exec, s[10:11]
	s_cbranch_execnz .LBB4_37
; %bb.35:
	s_andn2_saveexec_b64 s[10:11], s[10:11]
	s_cbranch_execnz .LBB4_40
.LBB4_36:
	s_or_b64 exec, exec, s[10:11]
	s_and_b64 exec, exec, s[0:1]
	s_cbranch_execnz .LBB4_41
	s_branch .LBB4_67
.LBB4_37:
	v_lshrrev_b32_e32 v0, 4, v0
	v_add_u32_e32 v29, 1, v0
	v_lshlrev_b32_e32 v27, 2, v22
	v_and_b32_e32 v30, 0x1ffffffe, v29
	v_or_b32_e32 v9, 16, v8
	s_mov_b32 s0, s2
	s_mov_b32 s1, s2
	;; [unrolled: 1-line block ×4, first 2 shown]
	v_lshl_add_u32 v0, v8, 4, v27
	v_lshlrev_b32_e32 v28, 2, v14
	v_mov_b32_e32 v15, v10
	v_add3_u32 v31, v0, v28, 0
	s_mov_b64 s[12:13], 0
	v_max_f32_e64 v32, s1, s1
	v_max_f32_e64 v33, s0, s0
	;; [unrolled: 1-line block ×4, first 2 shown]
	s_mov_b32 s15, 0x7700000
	s_mov_b32 s16, 0x407ffff
	;; [unrolled: 1-line block ×4, first 2 shown]
	v_mov_b32_e32 v36, 0x7f000000
	v_mov_b32_e32 v37, 0x7f
	s_movk_i32 s18, 0x80
	v_mov_b32_e32 v17, 0
	v_mov_b32_e32 v38, v30
	v_pk_mov_b32 v[18:19], v[8:9], v[8:9] op_sel:[0,1]
.LBB4_38:                               ; =>This Inner Loop Header: Depth=1
	ds_read_b128 v[4:7], v31
	ds_read_b128 v[0:3], v31 offset:256
	v_add_u32_e32 v38, -2, v38
	v_add_u32_e32 v31, 0x200, v31
	s_waitcnt lgkmcnt(1)
	v_div_scale_f32 v9, s[0:1], v10, v10, v4
	v_rcp_f32_e32 v16, v9
	v_fma_f32 v20, -v9, v16, 1.0
	v_fmac_f32_e32 v16, v20, v16
	v_div_scale_f32 v20, vcc, v4, v10, v4
	v_mul_f32_e32 v21, v20, v16
	v_fma_f32 v39, -v9, v21, v20
	v_fmac_f32_e32 v21, v39, v16
	v_fma_f32 v9, -v9, v21, v20
	v_div_fmas_f32 v9, v9, v16, v21
	v_div_fixup_f32 v4, v9, v10, v4
	s_waitcnt lgkmcnt(0)
	v_div_scale_f32 v9, s[0:1], v15, v15, v0
	v_rcp_f32_e32 v16, v9
	v_max_f32_e32 v4, v4, v33
	v_min_f32_e32 v4, v4, v34
	v_fma_f32 v20, -v9, v16, 1.0
	v_fmac_f32_e32 v16, v20, v16
	v_div_scale_f32 v20, vcc, v0, v15, v0
	v_mul_f32_e32 v21, v20, v16
	v_fma_f32 v39, -v9, v21, v20
	v_fmac_f32_e32 v21, v39, v16
	v_fma_f32 v9, -v9, v21, v20
	v_div_fmas_f32 v9, v9, v16, v21
	v_div_fixup_f32 v0, v9, v15, v0
	v_max_f32_e32 v0, v0, v32
	v_min_f32_e32 v0, v0, v35
	v_and_b32_e32 v20, 0x7fffffff, v4
	v_and_b32_e32 v21, 0x7fffffff, v0
	v_add_u32_e32 v16, 0xc3800000, v20
	v_add_u32_e32 v9, 0xc3800000, v21
	v_cmp_gt_u32_e32 vcc, s15, v16
	v_bfe_u32 v16, v0, 20, 1
	v_cmp_gt_u32_e64 s[0:1], s15, v9
	v_bfe_u32 v9, v4, 20, 1
	v_add3_u32 v16, v0, v16, s16
	v_add3_u32 v9, v4, v9, s16
	v_lshrrev_b32_e32 v16, 20, v16
	v_pk_add_f32 v[40:41], v[20:21], s[14:15] op_sel_hi:[1,0]
	v_lshrrev_b32_e32 v9, 20, v9
	v_cndmask_b32_e64 v16, v41, v16, s[0:1]
	v_lshrrev_b32_e32 v39, 24, v0
	v_div_scale_f32 v0, s[0:1], v10, v10, v5
	v_cndmask_b32_e32 v9, v40, v9, vcc
	v_lshrrev_b32_e32 v40, 24, v4
	v_rcp_f32_e32 v4, v0
	v_and_b32_e32 v41, 0xff, v16
	v_and_b32_e32 v9, 0xff, v9
	v_fma_f32 v16, -v0, v4, 1.0
	v_fmac_f32_e32 v4, v16, v4
	v_div_scale_f32 v16, vcc, v5, v10, v5
	v_mul_f32_e32 v42, v16, v4
	v_fma_f32 v43, -v0, v42, v16
	v_fmac_f32_e32 v42, v43, v4
	v_fma_f32 v0, -v0, v42, v16
	v_div_fmas_f32 v0, v0, v4, v42
	v_div_scale_f32 v4, s[0:1], v15, v15, v1
	v_div_fixup_f32 v0, v0, v10, v5
	v_rcp_f32_e32 v5, v4
	v_max_f32_e32 v0, v0, v33
	v_fma_f32 v16, -v4, v5, 1.0
	v_fmac_f32_e32 v5, v16, v5
	v_div_scale_f32 v16, vcc, v1, v15, v1
	v_mul_f32_e32 v42, v16, v5
	v_fma_f32 v43, -v4, v42, v16
	v_fmac_f32_e32 v42, v43, v5
	v_fma_f32 v4, -v4, v42, v16
	v_div_fmas_f32 v4, v4, v5, v42
	v_div_fixup_f32 v1, v4, v15, v1
	v_max_f32_e32 v1, v1, v32
	v_min_f32_e32 v16, v0, v34
	v_min_f32_e32 v44, v1, v35
	v_and_b32_e32 v1, 0x7fffffff, v44
	v_and_b32_e32 v0, 0x7fffffff, v16
	v_add_u32_e32 v4, 0xc3800000, v0
	v_add_u32_e32 v5, 0xc3800000, v1
	v_cmp_gt_u32_e32 vcc, s15, v5
	v_cmp_gt_u32_e64 s[0:1], s15, v4
	v_bfe_u32 v4, v44, 20, 1
	v_bfe_u32 v5, v16, 20, 1
	v_add3_u32 v5, v16, v5, s16
	v_add3_u32 v4, v44, v4, s16
	v_lshrrev_b32_e32 v42, 20, v4
	v_lshrrev_b32_e32 v43, 20, v5
	v_pk_add_f32 v[4:5], v[0:1], s[14:15] op_sel_hi:[1,0]
	v_cndmask_b32_e64 v4, v4, v43, s[0:1]
	v_cndmask_b32_e32 v5, v5, v42, vcc
	v_and_b32_e32 v45, 0xff, v4
	v_div_scale_f32 v4, s[0:1], v10, v10, v6
	v_and_b32_e32 v42, 0xff, v5
	v_rcp_f32_e32 v5, v4
	v_lshrrev_b32_e32 v43, 24, v16
	v_lshrrev_b32_e32 v44, 24, v44
	v_fma_f32 v16, -v4, v5, 1.0
	v_fmac_f32_e32 v5, v16, v5
	v_div_scale_f32 v16, vcc, v6, v10, v6
	v_mul_f32_e32 v46, v16, v5
	v_fma_f32 v47, -v4, v46, v16
	v_fmac_f32_e32 v46, v47, v5
	v_fma_f32 v4, -v4, v46, v16
	v_div_fmas_f32 v4, v4, v5, v46
	v_div_scale_f32 v5, s[0:1], v15, v15, v2
	v_div_fixup_f32 v4, v4, v10, v6
	v_rcp_f32_e32 v6, v5
	v_max_f32_e32 v4, v4, v33
	v_fma_f32 v16, -v5, v6, 1.0
	v_fmac_f32_e32 v6, v16, v6
	v_div_scale_f32 v16, vcc, v2, v15, v2
	v_mul_f32_e32 v46, v16, v6
	v_fma_f32 v47, -v5, v46, v16
	v_fmac_f32_e32 v46, v47, v6
	v_fma_f32 v5, -v5, v46, v16
	v_div_fmas_f32 v5, v5, v6, v46
	v_div_fixup_f32 v2, v5, v15, v2
	v_max_f32_e32 v2, v2, v32
	v_min_f32_e32 v16, v4, v34
	v_min_f32_e32 v2, v2, v35
	v_and_b32_e32 v5, 0x7fffffff, v2
	v_and_b32_e32 v4, 0x7fffffff, v16
	v_add_u32_e32 v6, 0xc3800000, v5
	v_add_u32_e32 v46, 0xc3800000, v4
	v_cmp_gt_u32_e32 vcc, s15, v46
	v_cmp_gt_u32_e64 s[0:1], s15, v6
	v_bfe_u32 v6, v16, 20, 1
	v_bfe_u32 v46, v2, 20, 1
	v_add3_u32 v46, v2, v46, s16
	v_add3_u32 v6, v16, v6, s16
	v_lshrrev_b32_e32 v6, 20, v6
	v_lshrrev_b32_e32 v48, 20, v46
	v_pk_add_f32 v[46:47], v[4:5], s[14:15] op_sel_hi:[1,0]
	v_cndmask_b32_e64 v47, v47, v48, s[0:1]
	v_cndmask_b32_e32 v6, v46, v6, vcc
	v_lshrrev_b32_e32 v46, 24, v2
	v_div_scale_f32 v2, s[0:1], v10, v10, v7
	v_and_b32_e32 v48, 0xff, v47
	v_lshrrev_b32_e32 v47, 24, v16
	v_rcp_f32_e32 v16, v2
	v_and_b32_e32 v6, 0xff, v6
	v_fma_f32 v49, -v2, v16, 1.0
	v_fmac_f32_e32 v16, v49, v16
	v_div_scale_f32 v49, vcc, v7, v10, v7
	v_mul_f32_e32 v50, v49, v16
	v_fma_f32 v51, -v2, v50, v49
	v_fmac_f32_e32 v50, v51, v16
	v_fma_f32 v2, -v2, v50, v49
	v_div_fmas_f32 v2, v2, v16, v50
	v_div_fixup_f32 v2, v2, v10, v7
	v_div_scale_f32 v7, s[0:1], v15, v15, v3
	v_rcp_f32_e32 v16, v7
	v_max_f32_e32 v2, v2, v33
	v_fma_f32 v49, -v7, v16, 1.0
	v_fmac_f32_e32 v16, v49, v16
	v_div_scale_f32 v49, vcc, v3, v15, v3
	v_mul_f32_e32 v50, v49, v16
	v_fma_f32 v51, -v7, v50, v49
	v_fmac_f32_e32 v50, v51, v16
	v_fma_f32 v7, -v7, v50, v49
	v_div_fmas_f32 v7, v7, v16, v50
	v_div_fixup_f32 v3, v7, v15, v3
	v_max_f32_e32 v3, v3, v32
	v_min_f32_e32 v7, v2, v34
	v_min_f32_e32 v49, v3, v35
	v_and_b32_e32 v3, 0x7fffffff, v49
	v_and_b32_e32 v2, 0x7fffffff, v7
	v_add_u32_e32 v16, 0xc3800000, v3
	v_add_u32_e32 v50, 0xc3800000, v2
	v_cmp_gt_u32_e32 vcc, s15, v50
	v_cmp_gt_u32_e64 s[0:1], s15, v16
	v_bfe_u32 v16, v7, 20, 1
	v_bfe_u32 v50, v49, 20, 1
	v_add3_u32 v50, v49, v50, s16
	v_add3_u32 v16, v7, v16, s16
	v_lshrrev_b32_e32 v16, 20, v16
	v_lshrrev_b32_e32 v52, 20, v50
	v_pk_add_f32 v[50:51], v[2:3], s[14:15] op_sel_hi:[1,0]
	v_cndmask_b32_e32 v16, v50, v16, vcc
	v_cndmask_b32_e64 v51, v51, v52, s[0:1]
	v_lshlrev_b32_e32 v54, 24, v16
	v_mov_b32_e32 v16, v18
	v_lshlrev_b32_e32 v55, 24, v51
	v_lshlrev_b64 v[50:51], 2, v[16:17]
	v_add_co_u32_e32 v50, vcc, v24, v50
	v_mov_b32_e32 v16, v19
	v_addc_co_u32_e32 v51, vcc, v25, v51, vcc
	v_lshlrev_b64 v[52:53], 2, v[16:17]
	v_add_co_u32_e32 v52, vcc, v24, v52
	v_addc_co_u32_e32 v53, vcc, v25, v53, vcc
	v_cmp_gt_u32_e32 vcc, s17, v3
	v_cndmask_b32_e32 v3, v36, v55, vcc
	v_cmp_gt_u32_e32 vcc, s17, v2
	v_cndmask_b32_e32 v2, v36, v54, vcc
	v_cmp_gt_u32_e32 vcc, s17, v5
	v_cndmask_b32_e32 v5, v37, v48, vcc
	v_cmp_gt_u32_e32 vcc, s17, v4
	v_cndmask_b32_e32 v4, v37, v6, vcc
	v_cmp_gt_u32_e32 vcc, s17, v0
	v_and_or_b32 v4, v47, s18, v4
	v_cndmask_b32_e32 v0, v37, v45, vcc
	v_cmp_gt_u32_e32 vcc, s17, v1
	v_and_b32_e32 v7, 0x80000000, v7
	v_and_or_b32 v5, v46, s18, v5
	v_lshlrev_b32_e32 v4, 16, v4
	v_cndmask_b32_e32 v1, v37, v42, vcc
	v_cmp_gt_u32_e32 vcc, s17, v21
	v_and_b32_e32 v16, 0x80000000, v49
	v_lshlrev_b32_e32 v5, 16, v5
	v_or3_b32 v2, v7, v2, v4
	v_cndmask_b32_e32 v4, v37, v41, vcc
	v_cmp_gt_u32_e32 vcc, s17, v20
	v_or3_b32 v3, v16, v3, v5
	v_and_or_b32 v0, v43, s18, v0
	v_cndmask_b32_e32 v5, v37, v9, vcc
	v_and_or_b32 v1, v44, s18, v1
	v_lshlrev_b32_e32 v0, 8, v0
	v_and_or_b32 v5, v40, s18, v5
	v_cmp_eq_u32_e32 vcc, 0, v38
	v_lshlrev_b32_e32 v1, 8, v1
	v_and_or_b32 v4, v39, s18, v4
	v_or3_b32 v0, v2, v0, v5
	v_add_u32_e32 v19, 32, v19
	v_add_u32_e32 v18, 32, v18
	s_or_b64 s[12:13], vcc, s[12:13]
	v_or3_b32 v1, v3, v1, v4
	global_store_dword v[50:51], v0, off
	global_store_dword v[52:53], v1, off
	s_andn2_b64 exec, exec, s[12:13]
	s_cbranch_execnz .LBB4_38
; %bb.39:
	s_or_b64 exec, exec, s[12:13]
	v_cmp_ne_u32_e32 vcc, v29, v30
	v_lshl_or_b32 v4, v30, 4, v8
	s_and_b64 s[0:1], vcc, exec
	s_andn2_saveexec_b64 s[10:11], s[10:11]
	s_cbranch_execz .LBB4_36
.LBB4_40:
	v_lshlrev_b32_e32 v27, 2, v22
	v_lshlrev_b32_e32 v28, 2, v14
	s_or_b64 s[0:1], s[0:1], exec
	v_mov_b32_e32 v4, v8
	s_or_b64 exec, exec, s[10:11]
	s_and_b64 exec, exec, s[0:1]
	s_cbranch_execz .LBB4_67
.LBB4_41:
	v_lshl_add_u32 v0, v4, 4, v27
	v_add_co_u32_e32 v2, vcc, v14, v12
	v_mov_b32_e32 v5, 0
	v_add3_u32 v9, v0, v28, 0
	v_addc_co_u32_e32 v3, vcc, v11, v13, vcc
	v_lshlrev_b64 v[0:1], 2, v[4:5]
	v_add_co_u32_e32 v0, vcc, v2, v0
	v_addc_co_u32_e32 v1, vcc, v3, v1, vcc
	v_mov_b32_e32 v2, s7
	v_add_co_u32_e32 v6, vcc, s6, v0
	v_addc_co_u32_e32 v7, vcc, v2, v1, vcc
	s_mov_b64 s[0:1], 0
	v_max_f32_e64 v5, s2, s2
	v_max_f32_e64 v15, s3, s3
	s_mov_b32 s14, 0x43f00000
	s_mov_b32 s15, 0x3c7fffff
	;; [unrolled: 1-line block ×4, first 2 shown]
	s_movk_i32 s18, 0x80
	s_movk_i32 s19, 0xff
	s_branch .LBB4_44
.LBB4_42:                               ;   in Loop: Header=BB4_44 Depth=1
	s_or_b64 exec, exec, s[12:13]
.LBB4_43:                               ;   in Loop: Header=BB4_44 Depth=1
	s_or_b64 exec, exec, s[10:11]
	v_and_b32_sdwa v2, v2, s18 dst_sel:DWORD dst_unused:UNUSED_PAD src0_sel:BYTE_3 src1_sel:DWORD
	v_and_or_b32 v2, v18, s19, v2
	v_and_b32_sdwa v1, v1, s18 dst_sel:DWORD dst_unused:UNUSED_PAD src0_sel:BYTE_3 src1_sel:DWORD
	v_lshlrev_b32_e32 v19, 24, v19
	v_and_b32_e32 v3, 0x80000000, v3
	v_lshlrev_b32_e32 v2, 16, v2
	v_lshrrev_b32_e32 v0, 24, v0
	v_or3_b32 v2, v3, v19, v2
	v_and_or_b32 v1, v16, s19, v1
	v_and_b32_e32 v3, 0xff, v17
	v_lshlrev_b32_e32 v1, 8, v1
	v_and_or_b32 v0, v0, s18, v3
	v_add_u32_e32 v4, 16, v4
	v_or3_b32 v0, v2, v1, v0
	v_cmp_ge_i32_e32 vcc, v4, v26
	global_store_dword v[6:7], v0, off
	s_or_b64 s[0:1], vcc, s[0:1]
	v_add_co_u32_e32 v6, vcc, 64, v6
	v_add_u32_e32 v9, 0x100, v9
	v_addc_co_u32_e32 v7, vcc, 0, v7, vcc
	s_andn2_b64 exec, exec, s[0:1]
	s_cbranch_execz .LBB4_67
.LBB4_44:                               ; =>This Inner Loop Header: Depth=1
	ds_read_b128 v[0:3], v9
	v_mov_b32_e32 v16, 0x7f
	s_waitcnt lgkmcnt(0)
	v_div_scale_f32 v17, s[10:11], v10, v10, v0
	v_rcp_f32_e32 v18, v17
	v_div_scale_f32 v19, vcc, v0, v10, v0
	v_fma_f32 v20, -v17, v18, 1.0
	v_fmac_f32_e32 v18, v20, v18
	v_mul_f32_e32 v20, v19, v18
	v_fma_f32 v21, -v17, v20, v19
	v_fmac_f32_e32 v20, v21, v18
	v_fma_f32 v17, -v17, v20, v19
	v_div_fmas_f32 v17, v17, v18, v20
	v_div_fixup_f32 v0, v17, v10, v0
	v_max_f32_e32 v0, v0, v5
	v_min_f32_e32 v0, v0, v15
	v_and_b32_e32 v18, 0x7fffffff, v0
	v_cmp_gt_u32_e32 vcc, s14, v18
	v_mov_b32_e32 v17, 0x7f
	s_and_saveexec_b64 s[10:11], vcc
	s_cbranch_execz .LBB4_50
; %bb.45:                               ;   in Loop: Header=BB4_44 Depth=1
	v_cmp_lt_u32_e32 vcc, s15, v18
                                        ; implicit-def: $vgpr17
	s_and_saveexec_b64 s[12:13], vcc
	s_xor_b64 s[12:13], exec, s[12:13]
; %bb.46:                               ;   in Loop: Header=BB4_44 Depth=1
	v_bfe_u32 v17, v0, 20, 1
	v_add3_u32 v17, v0, v17, s16
	v_lshrrev_b32_e32 v17, 20, v17
; %bb.47:                               ;   in Loop: Header=BB4_44 Depth=1
	s_andn2_saveexec_b64 s[12:13], s[12:13]
; %bb.48:                               ;   in Loop: Header=BB4_44 Depth=1
	v_add_f32_e64 v17, |v0|, s17
; %bb.49:                               ;   in Loop: Header=BB4_44 Depth=1
	s_or_b64 exec, exec, s[12:13]
.LBB4_50:                               ;   in Loop: Header=BB4_44 Depth=1
	s_or_b64 exec, exec, s[10:11]
	v_div_scale_f32 v18, s[10:11], v10, v10, v1
	v_rcp_f32_e32 v19, v18
	v_div_scale_f32 v20, vcc, v1, v10, v1
	v_fma_f32 v21, -v18, v19, 1.0
	v_fmac_f32_e32 v19, v21, v19
	v_mul_f32_e32 v21, v20, v19
	v_fma_f32 v27, -v18, v21, v20
	v_fmac_f32_e32 v21, v27, v19
	v_fma_f32 v18, -v18, v21, v20
	v_div_fmas_f32 v18, v18, v19, v21
	v_div_fixup_f32 v1, v18, v10, v1
	v_max_f32_e32 v1, v1, v5
	v_min_f32_e32 v1, v1, v15
	v_and_b32_e32 v18, 0x7fffffff, v1
	v_cmp_gt_u32_e32 vcc, s14, v18
	s_and_saveexec_b64 s[10:11], vcc
	s_cbranch_execz .LBB4_56
; %bb.51:                               ;   in Loop: Header=BB4_44 Depth=1
	v_cmp_lt_u32_e32 vcc, s15, v18
                                        ; implicit-def: $vgpr16
	s_and_saveexec_b64 s[12:13], vcc
	s_xor_b64 s[12:13], exec, s[12:13]
; %bb.52:                               ;   in Loop: Header=BB4_44 Depth=1
	v_bfe_u32 v16, v1, 20, 1
	v_add3_u32 v16, v1, v16, s16
	v_lshrrev_b32_e32 v16, 20, v16
; %bb.53:                               ;   in Loop: Header=BB4_44 Depth=1
	s_andn2_saveexec_b64 s[12:13], s[12:13]
; %bb.54:                               ;   in Loop: Header=BB4_44 Depth=1
	v_add_f32_e64 v16, |v1|, s17
; %bb.55:                               ;   in Loop: Header=BB4_44 Depth=1
	s_or_b64 exec, exec, s[12:13]
.LBB4_56:                               ;   in Loop: Header=BB4_44 Depth=1
	s_or_b64 exec, exec, s[10:11]
	v_div_scale_f32 v18, s[10:11], v10, v10, v2
	v_rcp_f32_e32 v19, v18
	v_div_scale_f32 v20, vcc, v2, v10, v2
	v_fma_f32 v21, -v18, v19, 1.0
	v_fmac_f32_e32 v19, v21, v19
	v_mul_f32_e32 v21, v20, v19
	v_fma_f32 v27, -v18, v21, v20
	v_fmac_f32_e32 v21, v27, v19
	v_fma_f32 v18, -v18, v21, v20
	v_div_fmas_f32 v18, v18, v19, v21
	v_div_fixup_f32 v2, v18, v10, v2
	v_max_f32_e32 v2, v2, v5
	v_min_f32_e32 v2, v2, v15
	v_and_b32_e32 v20, 0x7fffffff, v2
	v_cmp_gt_u32_e32 vcc, s14, v20
	v_mov_b32_e32 v19, 0x7f
	v_mov_b32_e32 v18, 0x7f
	s_and_saveexec_b64 s[10:11], vcc
	s_cbranch_execz .LBB4_62
; %bb.57:                               ;   in Loop: Header=BB4_44 Depth=1
	v_cmp_lt_u32_e32 vcc, s15, v20
                                        ; implicit-def: $vgpr18
	s_and_saveexec_b64 s[12:13], vcc
	s_xor_b64 s[12:13], exec, s[12:13]
; %bb.58:                               ;   in Loop: Header=BB4_44 Depth=1
	v_bfe_u32 v18, v2, 20, 1
	v_add3_u32 v18, v2, v18, s16
	v_lshrrev_b32_e32 v18, 20, v18
; %bb.59:                               ;   in Loop: Header=BB4_44 Depth=1
	s_andn2_saveexec_b64 s[12:13], s[12:13]
; %bb.60:                               ;   in Loop: Header=BB4_44 Depth=1
	v_add_f32_e64 v18, |v2|, s17
; %bb.61:                               ;   in Loop: Header=BB4_44 Depth=1
	s_or_b64 exec, exec, s[12:13]
.LBB4_62:                               ;   in Loop: Header=BB4_44 Depth=1
	s_or_b64 exec, exec, s[10:11]
	v_div_scale_f32 v20, s[10:11], v10, v10, v3
	v_rcp_f32_e32 v21, v20
	v_div_scale_f32 v27, vcc, v3, v10, v3
	v_fma_f32 v28, -v20, v21, 1.0
	v_fmac_f32_e32 v21, v28, v21
	v_mul_f32_e32 v28, v27, v21
	v_fma_f32 v29, -v20, v28, v27
	v_fmac_f32_e32 v28, v29, v21
	v_fma_f32 v20, -v20, v28, v27
	v_div_fmas_f32 v20, v20, v21, v28
	v_div_fixup_f32 v3, v20, v10, v3
	v_max_f32_e32 v3, v3, v5
	v_min_f32_e32 v3, v3, v15
	v_and_b32_e32 v20, 0x7fffffff, v3
	v_cmp_gt_u32_e32 vcc, s14, v20
	s_and_saveexec_b64 s[10:11], vcc
	s_cbranch_execz .LBB4_43
; %bb.63:                               ;   in Loop: Header=BB4_44 Depth=1
	v_cmp_lt_u32_e32 vcc, s15, v20
                                        ; implicit-def: $vgpr19
	s_and_saveexec_b64 s[12:13], vcc
	s_xor_b64 s[12:13], exec, s[12:13]
; %bb.64:                               ;   in Loop: Header=BB4_44 Depth=1
	v_bfe_u32 v19, v3, 20, 1
	v_add3_u32 v19, v3, v19, s16
	v_lshrrev_b32_e32 v19, 20, v19
; %bb.65:                               ;   in Loop: Header=BB4_44 Depth=1
	s_andn2_saveexec_b64 s[12:13], s[12:13]
	s_cbranch_execz .LBB4_42
; %bb.66:                               ;   in Loop: Header=BB4_44 Depth=1
	v_add_f32_e64 v19, |v3|, s17
	s_branch .LBB4_42
.LBB4_67:
	s_or_b64 exec, exec, s[8:9]
	v_lshlrev_b32_e32 v2, 2, v26
	v_add_u32_e32 v0, v2, v8
	v_cmp_lt_i32_e32 vcc, v0, v23
	s_and_saveexec_b64 s[8:9], vcc
	s_cbranch_execz .LBB4_83
; %bb.68:
	v_add_u32_e32 v1, 16, v0
	v_max_i32_e32 v3, v1, v23
	v_xad_u32 v3, v8, -1, v3
	v_sub_u32_e32 v3, v3, v2
	v_cmp_lt_u32_e32 vcc, 15, v3
	s_mov_b64 s[0:1], 0
	v_lshlrev_b32_e32 v2, 2, v14
                                        ; implicit-def: $vgpr6
	s_and_saveexec_b64 s[10:11], vcc
	s_xor_b64 s[10:11], exec, s[10:11]
	s_cbranch_execnz .LBB4_71
; %bb.69:
	s_andn2_saveexec_b64 s[10:11], s[10:11]
	s_cbranch_execnz .LBB4_74
.LBB4_70:
	s_or_b64 exec, exec, s[10:11]
	s_and_b64 exec, exec, s[0:1]
	s_cbranch_execnz .LBB4_75
	s_branch .LBB4_83
.LBB4_71:
	v_lshrrev_b32_e32 v2, 4, v3
	v_add_u32_e32 v7, 1, v2
	v_lshlrev_b32_e32 v6, 2, v22
	v_lshlrev_b32_e32 v4, 4, v26
	;; [unrolled: 1-line block ×3, first 2 shown]
	v_and_b32_e32 v9, 0x1ffffffe, v7
	s_mov_b32 s0, s2
	s_mov_b32 s1, s2
	;; [unrolled: 1-line block ×4, first 2 shown]
	v_add3_u32 v4, v6, v4, v2
	v_lshlrev_b32_e32 v5, 2, v8
	v_mov_b32_e32 v3, v10
	v_add3_u32 v8, v4, v5, 0
	s_mov_b64 s[12:13], 0
	v_max_f32_e64 v15, s1, s1
	v_max_f32_e64 v16, s0, s0
	;; [unrolled: 1-line block ×4, first 2 shown]
	s_mov_b32 s15, 0x43f00000
	s_mov_b32 s16, 0x7700000
	;; [unrolled: 1-line block ×4, first 2 shown]
	v_mov_b32_e32 v19, 0x7f
	s_movk_i32 s18, 0x80
	v_mov_b32_e32 v20, v9
	v_pk_mov_b32 v[4:5], v[0:1], v[0:1] op_sel:[0,1]
.LBB4_72:                               ; =>This Inner Loop Header: Depth=1
	ds_read2_b32 v[26:27], v8 offset1:16
	v_ashrrev_i32_e32 v21, 31, v4
	v_add_co_u32_e32 v28, vcc, v24, v4
	v_mov_b32_e32 v22, v5
	v_addc_co_u32_e32 v29, vcc, v25, v21, vcc
	v_ashrrev_i32_e32 v1, 31, v5
	v_add_co_u32_e32 v30, vcc, v24, v22
	v_addc_co_u32_e32 v31, vcc, v25, v1, vcc
	s_waitcnt lgkmcnt(0)
	v_div_scale_f32 v1, s[0:1], v10, v10, v26
	v_div_scale_f32 v22, s[0:1], v3, v3, v27
	v_rcp_f32_e32 v33, v1
	v_rcp_f32_e32 v34, v22
	v_add_u32_e32 v20, -2, v20
	v_cmp_eq_u32_e32 vcc, 0, v20
	v_fma_f32 v35, -v1, v33, 1.0
	s_or_b64 s[12:13], vcc, s[12:13]
	v_div_scale_f32 v21, vcc, v26, v10, v26
	v_fma_f32 v36, -v22, v34, 1.0
	v_fmac_f32_e32 v33, v35, v33
	v_div_scale_f32 v32, s[0:1], v27, v3, v27
	v_fmac_f32_e32 v34, v36, v34
	v_mul_f32_e32 v35, v21, v33
	v_mul_f32_e32 v36, v32, v34
	v_fma_f32 v37, -v1, v35, v21
	v_fma_f32 v38, -v22, v36, v32
	v_fmac_f32_e32 v35, v37, v33
	v_fmac_f32_e32 v36, v38, v34
	v_fma_f32 v1, -v1, v35, v21
	v_fma_f32 v21, -v22, v36, v32
	v_div_fmas_f32 v1, v1, v33, v35
	s_mov_b64 vcc, s[0:1]
	v_div_fixup_f32 v1, v1, v10, v26
	v_div_fmas_f32 v21, v21, v34, v36
	v_div_fixup_f32 v21, v21, v3, v27
	v_max_f32_e32 v1, v1, v16
	v_max_f32_e32 v21, v21, v15
	v_min_f32_e32 v1, v1, v17
	v_min_f32_e32 v21, v21, v18
	v_and_b32_e32 v26, 0x7fffffff, v1
	v_bfe_u32 v22, v1, 20, 1
	v_lshrrev_b32_e32 v34, 24, v1
	v_and_b32_e32 v27, 0x7fffffff, v21
	v_add_u32_e32 v35, 0xc3800000, v26
	v_bfe_u32 v32, v21, 20, 1
	v_add3_u32 v1, v1, v22, s17
	v_lshrrev_b32_e32 v22, 24, v21
	v_add_u32_e32 v36, 0xc3800000, v27
	v_add3_u32 v21, v21, v32, s17
	v_lshrrev_b32_e32 v1, 20, v1
	v_pk_add_f32 v[32:33], v[26:27], s[14:15] op_sel_hi:[1,0]
	v_cmp_gt_u32_e32 vcc, s16, v35
	v_cndmask_b32_e32 v1, v32, v1, vcc
	v_cmp_gt_u32_e32 vcc, s15, v26
	v_lshrrev_b32_e32 v21, 20, v21
	v_cmp_gt_u32_e64 s[0:1], s16, v36
	v_cndmask_b32_e64 v21, v33, v21, s[0:1]
	v_cndmask_b32_e32 v1, v19, v1, vcc
	v_cmp_gt_u32_e32 vcc, s15, v27
	v_add_u32_e32 v5, 32, v5
	v_add_u32_e32 v4, 32, v4
	v_add_u32_e32 v8, 0x80, v8
	v_cndmask_b32_e32 v21, v19, v21, vcc
	v_and_or_b32 v1, v34, s18, v1
	v_and_or_b32 v21, v22, s18, v21
	global_store_byte v[28:29], v1, off
	global_store_byte v[30:31], v21, off
	s_andn2_b64 exec, exec, s[12:13]
	s_cbranch_execnz .LBB4_72
; %bb.73:
	s_or_b64 exec, exec, s[12:13]
	v_cmp_ne_u32_e32 vcc, v7, v9
	v_lshl_add_u32 v0, v9, 4, v0
	s_and_b64 s[0:1], vcc, exec
                                        ; implicit-def: $vgpr22
	s_andn2_saveexec_b64 s[10:11], s[10:11]
	s_cbranch_execz .LBB4_70
.LBB4_74:
	v_lshlrev_b32_e32 v6, 2, v22
	s_or_b64 s[0:1], s[0:1], exec
	s_or_b64 exec, exec, s[10:11]
	s_and_b64 exec, exec, s[0:1]
	s_cbranch_execz .LBB4_83
.LBB4_75:
	v_lshl_add_u32 v1, v0, 2, v6
	v_add3_u32 v1, v1, v2, 0
	v_add_co_u32_e32 v2, vcc, v14, v12
	v_addc_co_u32_e32 v3, vcc, v11, v13, vcc
	v_ashrrev_i32_e32 v4, 31, v0
	v_add_co_u32_e32 v2, vcc, v2, v0
	v_addc_co_u32_e32 v3, vcc, v3, v4, vcc
	v_mov_b32_e32 v4, s7
	v_add_co_u32_e32 v2, vcc, s6, v2
	v_addc_co_u32_e32 v3, vcc, v4, v3, vcc
	s_mov_b64 s[0:1], 0
	v_max_f32_e64 v4, s2, s2
	v_max_f32_e64 v5, s3, s3
	s_mov_b32 s14, 0x43f00000
	s_mov_b32 s15, 0x3c7fffff
	;; [unrolled: 1-line block ×4, first 2 shown]
	s_movk_i32 s18, 0x80
	s_branch .LBB4_78
.LBB4_76:                               ;   in Loop: Header=BB4_78 Depth=1
	s_or_b64 exec, exec, s[12:13]
.LBB4_77:                               ;   in Loop: Header=BB4_78 Depth=1
	s_or_b64 exec, exec, s[10:11]
	v_lshrrev_b32_e32 v6, 24, v6
	v_add_u32_e32 v0, 16, v0
	v_and_or_b32 v6, v6, s18, v7
	v_cmp_ge_i32_e32 vcc, v0, v23
	global_store_byte v[2:3], v6, off
	s_or_b64 s[0:1], vcc, s[0:1]
	v_add_co_u32_e32 v2, vcc, 16, v2
	v_add_u32_e32 v1, 64, v1
	v_addc_co_u32_e32 v3, vcc, 0, v3, vcc
	s_andn2_b64 exec, exec, s[0:1]
	s_cbranch_execz .LBB4_83
.LBB4_78:                               ; =>This Inner Loop Header: Depth=1
	ds_read_b32 v6, v1
	s_waitcnt lgkmcnt(0)
	v_div_scale_f32 v7, s[10:11], v10, v10, v6
	v_rcp_f32_e32 v8, v7
	v_div_scale_f32 v9, vcc, v6, v10, v6
	v_fma_f32 v11, -v7, v8, 1.0
	v_fmac_f32_e32 v8, v11, v8
	v_mul_f32_e32 v11, v9, v8
	v_fma_f32 v12, -v7, v11, v9
	v_fmac_f32_e32 v11, v12, v8
	v_fma_f32 v7, -v7, v11, v9
	v_div_fmas_f32 v7, v7, v8, v11
	v_div_fixup_f32 v6, v7, v10, v6
	v_max_f32_e32 v6, v6, v4
	v_min_f32_e32 v6, v6, v5
	v_and_b32_e32 v8, 0x7fffffff, v6
	v_cmp_gt_u32_e32 vcc, s14, v8
	v_mov_b32_e32 v7, 0x7f
	s_and_saveexec_b64 s[10:11], vcc
	s_cbranch_execz .LBB4_77
; %bb.79:                               ;   in Loop: Header=BB4_78 Depth=1
	v_cmp_lt_u32_e32 vcc, s15, v8
                                        ; implicit-def: $vgpr7
	s_and_saveexec_b64 s[12:13], vcc
	s_xor_b64 s[12:13], exec, s[12:13]
; %bb.80:                               ;   in Loop: Header=BB4_78 Depth=1
	v_bfe_u32 v7, v6, 20, 1
	v_add3_u32 v7, v6, v7, s16
	v_lshrrev_b32_e32 v7, 20, v7
; %bb.81:                               ;   in Loop: Header=BB4_78 Depth=1
	s_andn2_saveexec_b64 s[12:13], s[12:13]
	s_cbranch_execz .LBB4_76
; %bb.82:                               ;   in Loop: Header=BB4_78 Depth=1
	v_add_f32_e64 v7, |v6|, s17
	s_branch .LBB4_76
.LBB4_83:
	s_or_b64 exec, exec, s[8:9]
                                        ; implicit-def: $vgpr8
                                        ; implicit-def: $vgpr22
                                        ; implicit-def: $vgpr10
                                        ; implicit-def: $vgpr20
                                        ; implicit-def: $vgpr21
                                        ; implicit-def: $vgpr12_vgpr13
.LBB4_84:
	s_andn2_saveexec_b64 s[0:1], s[4:5]
	s_cbranch_execz .LBB4_119
; %bb.85:
	s_ashr_i32 s11, s20, 2
	v_cmp_gt_i32_e32 vcc, s11, v8
	s_and_saveexec_b64 s[0:1], vcc
	s_cbranch_execz .LBB4_119
; %bb.86:
	v_xad_u32 v0, v8, -1, s11
	v_cmp_lt_u32_e32 vcc, 15, v0
	s_mov_b64 s[0:1], 0
	v_lshlrev_b32_e32 v23, 2, v22
	s_and_saveexec_b64 s[4:5], vcc
	s_xor_b64 s[4:5], exec, s[4:5]
	s_cbranch_execnz .LBB4_89
; %bb.87:
	s_andn2_saveexec_b64 s[4:5], s[4:5]
	s_cbranch_execnz .LBB4_92
.LBB4_88:
	s_or_b64 exec, exec, s[4:5]
	s_and_b64 exec, exec, s[0:1]
	s_cbranch_execnz .LBB4_93
	s_branch .LBB4_119
.LBB4_89:
	v_lshrrev_b32_e32 v0, 4, v0
	v_add_u32_e32 v24, 1, v0
	v_and_b32_e32 v25, 0x1ffffffe, v24
	v_or_b32_e32 v9, 16, v8
	s_mov_b32 s0, s2
	s_mov_b32 s1, s2
	;; [unrolled: 1-line block ×4, first 2 shown]
	v_lshlrev_b32_e32 v23, 2, v22
	v_lshlrev_b32_e32 v0, 4, v8
	v_mov_b32_e32 v11, v10
	v_add3_u32 v22, v23, v0, 0
	s_mov_b64 s[8:9], 0
	v_max_f32_e64 v26, s1, s1
	v_max_f32_e64 v27, s0, s0
	;; [unrolled: 1-line block ×4, first 2 shown]
	s_mov_b32 s12, 0x7700000
	s_mov_b32 s13, 0x407ffff
	;; [unrolled: 1-line block ×4, first 2 shown]
	v_mov_b32_e32 v30, 0x7f000000
	v_mov_b32_e32 v31, 0x7f
	s_movk_i32 s15, 0x80
	v_mov_b32_e32 v15, 0
	v_mov_b32_e32 v32, v25
	v_pk_mov_b32 v[16:17], v[8:9], v[8:9] op_sel:[0,1]
.LBB4_90:                               ; =>This Inner Loop Header: Depth=1
	ds_read_b128 v[4:7], v22
	ds_read_b128 v[0:3], v22 offset:256
	v_add_u32_e32 v32, -2, v32
	v_add_u32_e32 v22, 0x200, v22
	s_waitcnt lgkmcnt(1)
	v_div_scale_f32 v9, s[0:1], v10, v10, v4
	v_rcp_f32_e32 v14, v9
	v_fma_f32 v18, -v9, v14, 1.0
	v_fmac_f32_e32 v14, v18, v14
	v_div_scale_f32 v18, vcc, v4, v10, v4
	v_mul_f32_e32 v19, v18, v14
	v_fma_f32 v33, -v9, v19, v18
	v_fmac_f32_e32 v19, v33, v14
	v_fma_f32 v9, -v9, v19, v18
	v_div_fmas_f32 v9, v9, v14, v19
	v_div_fixup_f32 v4, v9, v10, v4
	s_waitcnt lgkmcnt(0)
	v_div_scale_f32 v9, s[0:1], v11, v11, v0
	v_rcp_f32_e32 v14, v9
	v_max_f32_e32 v4, v4, v27
	v_min_f32_e32 v4, v4, v28
	v_fma_f32 v18, -v9, v14, 1.0
	v_fmac_f32_e32 v14, v18, v14
	v_div_scale_f32 v18, vcc, v0, v11, v0
	v_mul_f32_e32 v19, v18, v14
	v_fma_f32 v33, -v9, v19, v18
	v_fmac_f32_e32 v19, v33, v14
	v_fma_f32 v9, -v9, v19, v18
	v_div_fmas_f32 v9, v9, v14, v19
	v_div_fixup_f32 v0, v9, v11, v0
	v_max_f32_e32 v0, v0, v26
	v_min_f32_e32 v0, v0, v29
	v_and_b32_e32 v18, 0x7fffffff, v4
	v_and_b32_e32 v19, 0x7fffffff, v0
	v_add_u32_e32 v14, 0xc3800000, v18
	v_add_u32_e32 v9, 0xc3800000, v19
	v_cmp_gt_u32_e32 vcc, s12, v14
	v_bfe_u32 v14, v0, 20, 1
	v_cmp_gt_u32_e64 s[0:1], s12, v9
	v_bfe_u32 v9, v4, 20, 1
	v_add3_u32 v14, v0, v14, s13
	v_add3_u32 v9, v4, v9, s13
	v_lshrrev_b32_e32 v14, 20, v14
	v_pk_add_f32 v[34:35], v[18:19], s[10:11] op_sel_hi:[1,0]
	v_lshrrev_b32_e32 v9, 20, v9
	v_cndmask_b32_e64 v14, v35, v14, s[0:1]
	v_lshrrev_b32_e32 v33, 24, v0
	v_div_scale_f32 v0, s[0:1], v10, v10, v5
	v_cndmask_b32_e32 v9, v34, v9, vcc
	v_lshrrev_b32_e32 v34, 24, v4
	v_rcp_f32_e32 v4, v0
	v_and_b32_e32 v35, 0xff, v14
	v_and_b32_e32 v9, 0xff, v9
	v_fma_f32 v14, -v0, v4, 1.0
	v_fmac_f32_e32 v4, v14, v4
	v_div_scale_f32 v14, vcc, v5, v10, v5
	v_mul_f32_e32 v36, v14, v4
	v_fma_f32 v37, -v0, v36, v14
	v_fmac_f32_e32 v36, v37, v4
	v_fma_f32 v0, -v0, v36, v14
	v_div_fmas_f32 v0, v0, v4, v36
	v_div_scale_f32 v4, s[0:1], v11, v11, v1
	v_div_fixup_f32 v0, v0, v10, v5
	v_rcp_f32_e32 v5, v4
	v_max_f32_e32 v0, v0, v27
	v_fma_f32 v14, -v4, v5, 1.0
	v_fmac_f32_e32 v5, v14, v5
	v_div_scale_f32 v14, vcc, v1, v11, v1
	v_mul_f32_e32 v36, v14, v5
	v_fma_f32 v37, -v4, v36, v14
	v_fmac_f32_e32 v36, v37, v5
	v_fma_f32 v4, -v4, v36, v14
	v_div_fmas_f32 v4, v4, v5, v36
	v_div_fixup_f32 v1, v4, v11, v1
	v_max_f32_e32 v1, v1, v26
	v_min_f32_e32 v14, v0, v28
	v_min_f32_e32 v38, v1, v29
	v_and_b32_e32 v1, 0x7fffffff, v38
	v_and_b32_e32 v0, 0x7fffffff, v14
	v_add_u32_e32 v4, 0xc3800000, v0
	v_add_u32_e32 v5, 0xc3800000, v1
	v_cmp_gt_u32_e32 vcc, s12, v5
	v_cmp_gt_u32_e64 s[0:1], s12, v4
	v_bfe_u32 v4, v38, 20, 1
	v_bfe_u32 v5, v14, 20, 1
	v_add3_u32 v5, v14, v5, s13
	v_add3_u32 v4, v38, v4, s13
	v_lshrrev_b32_e32 v36, 20, v4
	v_lshrrev_b32_e32 v37, 20, v5
	v_pk_add_f32 v[4:5], v[0:1], s[10:11] op_sel_hi:[1,0]
	v_cndmask_b32_e64 v4, v4, v37, s[0:1]
	v_cndmask_b32_e32 v5, v5, v36, vcc
	v_and_b32_e32 v39, 0xff, v4
	v_div_scale_f32 v4, s[0:1], v10, v10, v6
	v_and_b32_e32 v36, 0xff, v5
	v_rcp_f32_e32 v5, v4
	v_lshrrev_b32_e32 v37, 24, v14
	v_lshrrev_b32_e32 v38, 24, v38
	v_fma_f32 v14, -v4, v5, 1.0
	v_fmac_f32_e32 v5, v14, v5
	v_div_scale_f32 v14, vcc, v6, v10, v6
	v_mul_f32_e32 v40, v14, v5
	v_fma_f32 v41, -v4, v40, v14
	v_fmac_f32_e32 v40, v41, v5
	v_fma_f32 v4, -v4, v40, v14
	v_div_fmas_f32 v4, v4, v5, v40
	v_div_scale_f32 v5, s[0:1], v11, v11, v2
	v_div_fixup_f32 v4, v4, v10, v6
	v_rcp_f32_e32 v6, v5
	v_max_f32_e32 v4, v4, v27
	v_fma_f32 v14, -v5, v6, 1.0
	v_fmac_f32_e32 v6, v14, v6
	v_div_scale_f32 v14, vcc, v2, v11, v2
	v_mul_f32_e32 v40, v14, v6
	v_fma_f32 v41, -v5, v40, v14
	v_fmac_f32_e32 v40, v41, v6
	v_fma_f32 v5, -v5, v40, v14
	v_div_fmas_f32 v5, v5, v6, v40
	v_div_fixup_f32 v2, v5, v11, v2
	v_max_f32_e32 v2, v2, v26
	v_min_f32_e32 v14, v4, v28
	v_min_f32_e32 v2, v2, v29
	v_and_b32_e32 v5, 0x7fffffff, v2
	v_and_b32_e32 v4, 0x7fffffff, v14
	v_add_u32_e32 v6, 0xc3800000, v5
	v_add_u32_e32 v40, 0xc3800000, v4
	v_cmp_gt_u32_e32 vcc, s12, v40
	v_cmp_gt_u32_e64 s[0:1], s12, v6
	v_bfe_u32 v6, v14, 20, 1
	v_bfe_u32 v40, v2, 20, 1
	v_add3_u32 v40, v2, v40, s13
	v_add3_u32 v6, v14, v6, s13
	v_lshrrev_b32_e32 v6, 20, v6
	v_lshrrev_b32_e32 v42, 20, v40
	v_pk_add_f32 v[40:41], v[4:5], s[10:11] op_sel_hi:[1,0]
	v_cndmask_b32_e64 v41, v41, v42, s[0:1]
	v_cndmask_b32_e32 v6, v40, v6, vcc
	v_lshrrev_b32_e32 v40, 24, v2
	v_div_scale_f32 v2, s[0:1], v10, v10, v7
	v_and_b32_e32 v42, 0xff, v41
	v_lshrrev_b32_e32 v41, 24, v14
	v_rcp_f32_e32 v14, v2
	v_and_b32_e32 v6, 0xff, v6
	v_fma_f32 v43, -v2, v14, 1.0
	v_fmac_f32_e32 v14, v43, v14
	v_div_scale_f32 v43, vcc, v7, v10, v7
	v_mul_f32_e32 v44, v43, v14
	v_fma_f32 v45, -v2, v44, v43
	v_fmac_f32_e32 v44, v45, v14
	v_fma_f32 v2, -v2, v44, v43
	v_div_fmas_f32 v2, v2, v14, v44
	v_div_fixup_f32 v2, v2, v10, v7
	v_div_scale_f32 v7, s[0:1], v11, v11, v3
	v_rcp_f32_e32 v14, v7
	v_max_f32_e32 v2, v2, v27
	v_fma_f32 v43, -v7, v14, 1.0
	v_fmac_f32_e32 v14, v43, v14
	v_div_scale_f32 v43, vcc, v3, v11, v3
	v_mul_f32_e32 v44, v43, v14
	v_fma_f32 v45, -v7, v44, v43
	v_fmac_f32_e32 v44, v45, v14
	v_fma_f32 v7, -v7, v44, v43
	v_div_fmas_f32 v7, v7, v14, v44
	v_div_fixup_f32 v3, v7, v11, v3
	v_max_f32_e32 v3, v3, v26
	v_min_f32_e32 v7, v2, v28
	v_min_f32_e32 v43, v3, v29
	v_and_b32_e32 v3, 0x7fffffff, v43
	v_and_b32_e32 v2, 0x7fffffff, v7
	v_add_u32_e32 v14, 0xc3800000, v3
	v_add_u32_e32 v44, 0xc3800000, v2
	v_cmp_gt_u32_e32 vcc, s12, v44
	v_cmp_gt_u32_e64 s[0:1], s12, v14
	v_bfe_u32 v14, v7, 20, 1
	v_bfe_u32 v44, v43, 20, 1
	v_add3_u32 v44, v43, v44, s13
	v_add3_u32 v14, v7, v14, s13
	v_lshrrev_b32_e32 v14, 20, v14
	v_lshrrev_b32_e32 v46, 20, v44
	v_pk_add_f32 v[44:45], v[2:3], s[10:11] op_sel_hi:[1,0]
	v_cndmask_b32_e32 v14, v44, v14, vcc
	v_cndmask_b32_e64 v45, v45, v46, s[0:1]
	v_lshlrev_b32_e32 v48, 24, v14
	v_mov_b32_e32 v14, v16
	v_lshlrev_b32_e32 v49, 24, v45
	v_lshlrev_b64 v[44:45], 2, v[14:15]
	v_add_co_u32_e32 v44, vcc, v20, v44
	v_mov_b32_e32 v14, v17
	v_addc_co_u32_e32 v45, vcc, v21, v45, vcc
	v_lshlrev_b64 v[46:47], 2, v[14:15]
	v_add_co_u32_e32 v46, vcc, v20, v46
	v_addc_co_u32_e32 v47, vcc, v21, v47, vcc
	v_cmp_gt_u32_e32 vcc, s14, v3
	v_cndmask_b32_e32 v3, v30, v49, vcc
	v_cmp_gt_u32_e32 vcc, s14, v2
	v_cndmask_b32_e32 v2, v30, v48, vcc
	;; [unrolled: 2-line block ×4, first 2 shown]
	v_cmp_gt_u32_e32 vcc, s14, v0
	v_and_or_b32 v4, v41, s15, v4
	v_cndmask_b32_e32 v0, v31, v39, vcc
	v_cmp_gt_u32_e32 vcc, s14, v1
	v_and_b32_e32 v7, 0x80000000, v7
	v_and_or_b32 v5, v40, s15, v5
	v_lshlrev_b32_e32 v4, 16, v4
	v_cndmask_b32_e32 v1, v31, v36, vcc
	v_cmp_gt_u32_e32 vcc, s14, v19
	v_and_b32_e32 v14, 0x80000000, v43
	v_lshlrev_b32_e32 v5, 16, v5
	v_or3_b32 v2, v7, v2, v4
	v_cndmask_b32_e32 v4, v31, v35, vcc
	v_cmp_gt_u32_e32 vcc, s14, v18
	v_or3_b32 v3, v14, v3, v5
	v_and_or_b32 v0, v37, s15, v0
	v_cndmask_b32_e32 v5, v31, v9, vcc
	v_and_or_b32 v1, v38, s15, v1
	v_lshlrev_b32_e32 v0, 8, v0
	v_and_or_b32 v5, v34, s15, v5
	v_cmp_eq_u32_e32 vcc, 0, v32
	v_lshlrev_b32_e32 v1, 8, v1
	v_and_or_b32 v4, v33, s15, v4
	v_or3_b32 v0, v2, v0, v5
	v_add_u32_e32 v17, 32, v17
	v_add_u32_e32 v16, 32, v16
	s_or_b64 s[8:9], vcc, s[8:9]
	v_or3_b32 v1, v3, v1, v4
	global_store_dword v[44:45], v0, off
	global_store_dword v[46:47], v1, off
	s_andn2_b64 exec, exec, s[8:9]
	s_cbranch_execnz .LBB4_90
; %bb.91:
	s_or_b64 exec, exec, s[8:9]
	v_cmp_ne_u32_e32 vcc, v24, v25
	v_lshl_or_b32 v8, v25, 4, v8
	s_and_b64 s[0:1], vcc, exec
	s_andn2_saveexec_b64 s[4:5], s[4:5]
	s_cbranch_execz .LBB4_88
.LBB4_92:
	s_or_b64 s[0:1], s[0:1], exec
	s_or_b64 exec, exec, s[4:5]
	s_and_b64 exec, exec, s[0:1]
	s_cbranch_execz .LBB4_119
.LBB4_93:
	v_lshlrev_b32_e32 v0, 4, v8
	v_mov_b32_e32 v9, 0
	v_add3_u32 v6, v23, v0, 0
	v_lshlrev_b64 v[0:1], 2, v[8:9]
	v_add_co_u32_e32 v0, vcc, v12, v0
	v_addc_co_u32_e32 v1, vcc, v13, v1, vcc
	v_mov_b32_e32 v2, s7
	v_add_co_u32_e32 v4, vcc, s6, v0
	v_addc_co_u32_e32 v5, vcc, v2, v1, vcc
	s_mov_b64 s[0:1], 0
	v_max_f32_e64 v7, s2, s2
	v_max_f32_e64 v9, s3, s3
	s_mov_b32 s6, 0x43f00000
	s_mov_b32 s7, 0x3c7fffff
	;; [unrolled: 1-line block ×4, first 2 shown]
	s_movk_i32 s10, 0x80
	s_movk_i32 s12, 0xff
	s_branch .LBB4_96
.LBB4_94:                               ;   in Loop: Header=BB4_96 Depth=1
	s_or_b64 exec, exec, s[4:5]
.LBB4_95:                               ;   in Loop: Header=BB4_96 Depth=1
	s_or_b64 exec, exec, s[2:3]
	v_and_b32_sdwa v2, v2, s10 dst_sel:DWORD dst_unused:UNUSED_PAD src0_sel:BYTE_3 src1_sel:DWORD
	v_and_or_b32 v2, v13, s12, v2
	v_and_b32_sdwa v1, v1, s10 dst_sel:DWORD dst_unused:UNUSED_PAD src0_sel:BYTE_3 src1_sel:DWORD
	v_lshlrev_b32_e32 v14, 24, v14
	v_and_b32_e32 v3, 0x80000000, v3
	v_lshlrev_b32_e32 v2, 16, v2
	v_lshrrev_b32_e32 v0, 24, v0
	v_or3_b32 v2, v3, v14, v2
	v_and_or_b32 v1, v11, s12, v1
	v_and_b32_e32 v3, 0xff, v12
	v_lshlrev_b32_e32 v1, 8, v1
	v_and_or_b32 v0, v0, s10, v3
	v_add_u32_e32 v8, 16, v8
	v_or3_b32 v0, v2, v1, v0
	v_cmp_le_i32_e32 vcc, s11, v8
	global_store_dword v[4:5], v0, off
	s_or_b64 s[0:1], vcc, s[0:1]
	v_add_co_u32_e32 v4, vcc, 64, v4
	v_add_u32_e32 v6, 0x100, v6
	v_addc_co_u32_e32 v5, vcc, 0, v5, vcc
	s_andn2_b64 exec, exec, s[0:1]
	s_cbranch_execz .LBB4_119
.LBB4_96:                               ; =>This Inner Loop Header: Depth=1
	ds_read_b128 v[0:3], v6
	v_mov_b32_e32 v11, 0x7f
	s_waitcnt lgkmcnt(0)
	v_div_scale_f32 v12, s[2:3], v10, v10, v0
	v_rcp_f32_e32 v13, v12
	v_div_scale_f32 v14, vcc, v0, v10, v0
	v_fma_f32 v15, -v12, v13, 1.0
	v_fmac_f32_e32 v13, v15, v13
	v_mul_f32_e32 v15, v14, v13
	v_fma_f32 v16, -v12, v15, v14
	v_fmac_f32_e32 v15, v16, v13
	v_fma_f32 v12, -v12, v15, v14
	v_div_fmas_f32 v12, v12, v13, v15
	v_div_fixup_f32 v0, v12, v10, v0
	v_max_f32_e32 v0, v0, v7
	v_min_f32_e32 v0, v0, v9
	v_and_b32_e32 v13, 0x7fffffff, v0
	v_cmp_gt_u32_e32 vcc, s6, v13
	v_mov_b32_e32 v12, 0x7f
	s_and_saveexec_b64 s[2:3], vcc
	s_cbranch_execz .LBB4_102
; %bb.97:                               ;   in Loop: Header=BB4_96 Depth=1
	v_cmp_lt_u32_e32 vcc, s7, v13
                                        ; implicit-def: $vgpr12
	s_and_saveexec_b64 s[4:5], vcc
	s_xor_b64 s[4:5], exec, s[4:5]
; %bb.98:                               ;   in Loop: Header=BB4_96 Depth=1
	v_bfe_u32 v12, v0, 20, 1
	v_add3_u32 v12, v0, v12, s8
	v_lshrrev_b32_e32 v12, 20, v12
; %bb.99:                               ;   in Loop: Header=BB4_96 Depth=1
	s_andn2_saveexec_b64 s[4:5], s[4:5]
; %bb.100:                              ;   in Loop: Header=BB4_96 Depth=1
	v_add_f32_e64 v12, |v0|, s9
; %bb.101:                              ;   in Loop: Header=BB4_96 Depth=1
	s_or_b64 exec, exec, s[4:5]
.LBB4_102:                              ;   in Loop: Header=BB4_96 Depth=1
	s_or_b64 exec, exec, s[2:3]
	v_div_scale_f32 v13, s[2:3], v10, v10, v1
	v_rcp_f32_e32 v14, v13
	v_div_scale_f32 v15, vcc, v1, v10, v1
	v_fma_f32 v16, -v13, v14, 1.0
	v_fmac_f32_e32 v14, v16, v14
	v_mul_f32_e32 v16, v15, v14
	v_fma_f32 v17, -v13, v16, v15
	v_fmac_f32_e32 v16, v17, v14
	v_fma_f32 v13, -v13, v16, v15
	v_div_fmas_f32 v13, v13, v14, v16
	v_div_fixup_f32 v1, v13, v10, v1
	v_max_f32_e32 v1, v1, v7
	v_min_f32_e32 v1, v1, v9
	v_and_b32_e32 v13, 0x7fffffff, v1
	v_cmp_gt_u32_e32 vcc, s6, v13
	s_and_saveexec_b64 s[2:3], vcc
	s_cbranch_execz .LBB4_108
; %bb.103:                              ;   in Loop: Header=BB4_96 Depth=1
	v_cmp_lt_u32_e32 vcc, s7, v13
                                        ; implicit-def: $vgpr11
	s_and_saveexec_b64 s[4:5], vcc
	s_xor_b64 s[4:5], exec, s[4:5]
; %bb.104:                              ;   in Loop: Header=BB4_96 Depth=1
	v_bfe_u32 v11, v1, 20, 1
	v_add3_u32 v11, v1, v11, s8
	v_lshrrev_b32_e32 v11, 20, v11
; %bb.105:                              ;   in Loop: Header=BB4_96 Depth=1
	s_andn2_saveexec_b64 s[4:5], s[4:5]
; %bb.106:                              ;   in Loop: Header=BB4_96 Depth=1
	v_add_f32_e64 v11, |v1|, s9
; %bb.107:                              ;   in Loop: Header=BB4_96 Depth=1
	s_or_b64 exec, exec, s[4:5]
.LBB4_108:                              ;   in Loop: Header=BB4_96 Depth=1
	s_or_b64 exec, exec, s[2:3]
	v_div_scale_f32 v13, s[2:3], v10, v10, v2
	v_rcp_f32_e32 v14, v13
	v_div_scale_f32 v15, vcc, v2, v10, v2
	v_fma_f32 v16, -v13, v14, 1.0
	v_fmac_f32_e32 v14, v16, v14
	v_mul_f32_e32 v16, v15, v14
	v_fma_f32 v17, -v13, v16, v15
	v_fmac_f32_e32 v16, v17, v14
	v_fma_f32 v13, -v13, v16, v15
	v_div_fmas_f32 v13, v13, v14, v16
	v_div_fixup_f32 v2, v13, v10, v2
	v_max_f32_e32 v2, v2, v7
	v_min_f32_e32 v2, v2, v9
	v_and_b32_e32 v15, 0x7fffffff, v2
	v_cmp_gt_u32_e32 vcc, s6, v15
	v_mov_b32_e32 v14, 0x7f
	v_mov_b32_e32 v13, 0x7f
	s_and_saveexec_b64 s[2:3], vcc
	s_cbranch_execz .LBB4_114
; %bb.109:                              ;   in Loop: Header=BB4_96 Depth=1
	v_cmp_lt_u32_e32 vcc, s7, v15
                                        ; implicit-def: $vgpr13
	s_and_saveexec_b64 s[4:5], vcc
	s_xor_b64 s[4:5], exec, s[4:5]
; %bb.110:                              ;   in Loop: Header=BB4_96 Depth=1
	v_bfe_u32 v13, v2, 20, 1
	v_add3_u32 v13, v2, v13, s8
	v_lshrrev_b32_e32 v13, 20, v13
; %bb.111:                              ;   in Loop: Header=BB4_96 Depth=1
	s_andn2_saveexec_b64 s[4:5], s[4:5]
; %bb.112:                              ;   in Loop: Header=BB4_96 Depth=1
	v_add_f32_e64 v13, |v2|, s9
; %bb.113:                              ;   in Loop: Header=BB4_96 Depth=1
	s_or_b64 exec, exec, s[4:5]
.LBB4_114:                              ;   in Loop: Header=BB4_96 Depth=1
	s_or_b64 exec, exec, s[2:3]
	v_div_scale_f32 v15, s[2:3], v10, v10, v3
	v_rcp_f32_e32 v16, v15
	v_div_scale_f32 v17, vcc, v3, v10, v3
	v_fma_f32 v18, -v15, v16, 1.0
	v_fmac_f32_e32 v16, v18, v16
	v_mul_f32_e32 v18, v17, v16
	v_fma_f32 v19, -v15, v18, v17
	v_fmac_f32_e32 v18, v19, v16
	v_fma_f32 v15, -v15, v18, v17
	v_div_fmas_f32 v15, v15, v16, v18
	v_div_fixup_f32 v3, v15, v10, v3
	v_max_f32_e32 v3, v3, v7
	v_min_f32_e32 v3, v3, v9
	v_and_b32_e32 v15, 0x7fffffff, v3
	v_cmp_gt_u32_e32 vcc, s6, v15
	s_and_saveexec_b64 s[2:3], vcc
	s_cbranch_execz .LBB4_95
; %bb.115:                              ;   in Loop: Header=BB4_96 Depth=1
	v_cmp_lt_u32_e32 vcc, s7, v15
                                        ; implicit-def: $vgpr14
	s_and_saveexec_b64 s[4:5], vcc
	s_xor_b64 s[4:5], exec, s[4:5]
; %bb.116:                              ;   in Loop: Header=BB4_96 Depth=1
	v_bfe_u32 v14, v3, 20, 1
	v_add3_u32 v14, v3, v14, s8
	v_lshrrev_b32_e32 v14, 20, v14
; %bb.117:                              ;   in Loop: Header=BB4_96 Depth=1
	s_andn2_saveexec_b64 s[4:5], s[4:5]
	s_cbranch_execz .LBB4_94
; %bb.118:                              ;   in Loop: Header=BB4_96 Depth=1
	v_add_f32_e64 v14, |v3|, s9
	s_branch .LBB4_94
.LBB4_119:
	s_endpgm
	.section	.rodata,"a",@progbits
	.p2align	6, 0x0
	.amdhsa_kernel _Z33per_token_group_quant_8bit_kernelIfN3c1013Float8_e4m3fnELb1ELb1EfEvPKT_PvPT3_iiifffii
		.amdhsa_group_segment_fixed_size 0
		.amdhsa_private_segment_fixed_size 0
		.amdhsa_kernarg_size 56
		.amdhsa_user_sgpr_count 6
		.amdhsa_user_sgpr_private_segment_buffer 1
		.amdhsa_user_sgpr_dispatch_ptr 0
		.amdhsa_user_sgpr_queue_ptr 0
		.amdhsa_user_sgpr_kernarg_segment_ptr 1
		.amdhsa_user_sgpr_dispatch_id 0
		.amdhsa_user_sgpr_flat_scratch_init 0
		.amdhsa_user_sgpr_kernarg_preload_length 0
		.amdhsa_user_sgpr_kernarg_preload_offset 0
		.amdhsa_user_sgpr_private_segment_size 0
		.amdhsa_uses_dynamic_stack 0
		.amdhsa_system_sgpr_private_segment_wavefront_offset 0
		.amdhsa_system_sgpr_workgroup_id_x 1
		.amdhsa_system_sgpr_workgroup_id_y 0
		.amdhsa_system_sgpr_workgroup_id_z 0
		.amdhsa_system_sgpr_workgroup_info 0
		.amdhsa_system_vgpr_workitem_id 0
		.amdhsa_next_free_vgpr 56
		.amdhsa_next_free_sgpr 21
		.amdhsa_accum_offset 56
		.amdhsa_reserve_vcc 1
		.amdhsa_reserve_flat_scratch 0
		.amdhsa_float_round_mode_32 0
		.amdhsa_float_round_mode_16_64 0
		.amdhsa_float_denorm_mode_32 3
		.amdhsa_float_denorm_mode_16_64 3
		.amdhsa_dx10_clamp 1
		.amdhsa_ieee_mode 1
		.amdhsa_fp16_overflow 0
		.amdhsa_tg_split 0
		.amdhsa_exception_fp_ieee_invalid_op 0
		.amdhsa_exception_fp_denorm_src 0
		.amdhsa_exception_fp_ieee_div_zero 0
		.amdhsa_exception_fp_ieee_overflow 0
		.amdhsa_exception_fp_ieee_underflow 0
		.amdhsa_exception_fp_ieee_inexact 0
		.amdhsa_exception_int_div_zero 0
	.end_amdhsa_kernel
	.section	.text._Z33per_token_group_quant_8bit_kernelIfN3c1013Float8_e4m3fnELb1ELb1EfEvPKT_PvPT3_iiifffii,"axG",@progbits,_Z33per_token_group_quant_8bit_kernelIfN3c1013Float8_e4m3fnELb1ELb1EfEvPKT_PvPT3_iiifffii,comdat
.Lfunc_end4:
	.size	_Z33per_token_group_quant_8bit_kernelIfN3c1013Float8_e4m3fnELb1ELb1EfEvPKT_PvPT3_iiifffii, .Lfunc_end4-_Z33per_token_group_quant_8bit_kernelIfN3c1013Float8_e4m3fnELb1ELb1EfEvPKT_PvPT3_iiifffii
                                        ; -- End function
	.section	.AMDGPU.csdata,"",@progbits
; Kernel info:
; codeLenInByte = 8664
; NumSgprs: 25
; NumVgprs: 56
; NumAgprs: 0
; TotalNumVgprs: 56
; ScratchSize: 0
; MemoryBound: 0
; FloatMode: 240
; IeeeMode: 1
; LDSByteSize: 0 bytes/workgroup (compile time only)
; SGPRBlocks: 3
; VGPRBlocks: 6
; NumSGPRsForWavesPerEU: 25
; NumVGPRsForWavesPerEU: 56
; AccumOffset: 56
; Occupancy: 8
; WaveLimiterHint : 0
; COMPUTE_PGM_RSRC2:SCRATCH_EN: 0
; COMPUTE_PGM_RSRC2:USER_SGPR: 6
; COMPUTE_PGM_RSRC2:TRAP_HANDLER: 0
; COMPUTE_PGM_RSRC2:TGID_X_EN: 1
; COMPUTE_PGM_RSRC2:TGID_Y_EN: 0
; COMPUTE_PGM_RSRC2:TGID_Z_EN: 0
; COMPUTE_PGM_RSRC2:TIDIG_COMP_CNT: 0
; COMPUTE_PGM_RSRC3_GFX90A:ACCUM_OFFSET: 13
; COMPUTE_PGM_RSRC3_GFX90A:TG_SPLIT: 0
	.section	.text._Z33per_token_group_quant_8bit_kernelIfN3c1013Float8_e4m3fnELb1ELb0EfEvPKT_PvPT3_iiifffii,"axG",@progbits,_Z33per_token_group_quant_8bit_kernelIfN3c1013Float8_e4m3fnELb1ELb0EfEvPKT_PvPT3_iiifffii,comdat
	.protected	_Z33per_token_group_quant_8bit_kernelIfN3c1013Float8_e4m3fnELb1ELb0EfEvPKT_PvPT3_iiifffii ; -- Begin function _Z33per_token_group_quant_8bit_kernelIfN3c1013Float8_e4m3fnELb1ELb0EfEvPKT_PvPT3_iiifffii
	.globl	_Z33per_token_group_quant_8bit_kernelIfN3c1013Float8_e4m3fnELb1ELb0EfEvPKT_PvPT3_iiifffii
	.p2align	8
	.type	_Z33per_token_group_quant_8bit_kernelIfN3c1013Float8_e4m3fnELb1ELb0EfEvPKT_PvPT3_iiifffii,@function
_Z33per_token_group_quant_8bit_kernelIfN3c1013Float8_e4m3fnELb1ELb0EfEvPKT_PvPT3_iiifffii: ; @_Z33per_token_group_quant_8bit_kernelIfN3c1013Float8_e4m3fnELb1ELb0EfEvPKT_PvPT3_iiifffii
; %bb.0:
	s_load_dword s20, s[4:5], 0x18
	s_load_dwordx2 s[12:13], s[4:5], 0x0
	s_load_dwordx4 s[0:3], s[4:5], 0x20
	s_load_dwordx2 s[10:11], s[4:5], 0x30
	v_lshrrev_b32_e32 v2, 4, v0
	s_waitcnt lgkmcnt(0)
	s_ashr_i32 s8, s20, 31
	v_and_b32_e32 v8, 15, v0
	s_mul_i32 s6, s6, s0
	v_add_co_u32_e32 v7, vcc, s6, v2
	v_addc_co_u32_e64 v9, s[6:7], 0, 0, vcc
	v_mul_lo_u32 v0, v9, s20
	v_mul_lo_u32 v1, v7, s8
	v_mad_u64_u32 v[12:13], s[6:7], v7, s20, 0
	v_add3_u32 v13, v13, v1, v0
	v_lshlrev_b64 v[0:1], 2, v[12:13]
	s_and_b32 s0, s20, 3
	v_mov_b32_e32 v4, s13
	v_add_co_u32_e32 v3, vcc, s12, v0
	s_cmp_eq_u32 s0, 0
	v_addc_co_u32_e32 v4, vcc, v4, v1, vcc
	v_mov_b32_e32 v11, 0
	v_and_b32_e32 v10, 15, v3
	s_cselect_b64 s[8:9], -1, 0
	s_cmp_lg_u32 s0, 0
	v_mul_lo_u32 v22, v2, s20
	v_cmp_ne_u64_e32 vcc, 0, v[10:11]
	s_cselect_b64 s[6:7], -1, 0
	v_lshl_add_u32 v6, v22, 2, 0
	s_or_b64 s[6:7], s[6:7], vcc
                                        ; implicit-def: $vgpr10
	s_and_saveexec_b64 s[14:15], s[6:7]
	s_xor_b64 s[6:7], exec, s[14:15]
	s_cbranch_execz .LBB5_12
; %bb.1:
	v_sub_u32_e32 v2, 0, v3
	v_bfe_u32 v2, v2, 2, 2
	v_min_i32_e32 v2, s20, v2
	v_cmp_gt_i32_e32 vcc, v2, v8
	v_mov_b32_e32 v10, s1
	s_and_saveexec_b64 s[14:15], vcc
	s_cbranch_execz .LBB5_3
; %bb.2:
	v_lshlrev_b32_e32 v5, 2, v8
	v_add_co_u32_e32 v10, vcc, v3, v5
	v_addc_co_u32_e32 v11, vcc, 0, v4, vcc
	global_load_dword v3, v[10:11], off
	v_max_f32_e64 v4, s1, s1
	v_add_u32_e32 v5, v6, v5
	s_waitcnt vmcnt(0)
	v_max_f32_e64 v10, |v3|, |v3|
	v_max_f32_e32 v10, v4, v10
	ds_write_b32 v5, v3
.LBB5_3:
	s_or_b64 exec, exec, s[14:15]
	v_sub_u32_e32 v11, s20, v2
	v_ashrrev_i32_e32 v4, 31, v11
	v_lshrrev_b32_e32 v4, 30, v4
	v_add_u32_e32 v4, v11, v4
	v_ashrrev_i32_e32 v3, 31, v2
	v_ashrrev_i32_e32 v14, 2, v4
	v_cmp_gt_i32_e32 vcc, v14, v8
	v_lshlrev_b32_e32 v15, 2, v2
	v_lshlrev_b64 v[2:3], 2, v[2:3]
	s_and_saveexec_b64 s[14:15], vcc
	s_cbranch_execz .LBB5_7
; %bb.4:
	v_lshlrev_b32_e32 v4, 4, v8
	v_lshl_add_u32 v5, v22, 2, v4
	v_add_co_u32_e32 v4, vcc, v0, v4
	v_add3_u32 v16, v5, v15, 0
	v_addc_co_u32_e32 v5, vcc, 0, v1, vcc
	v_add_co_u32_e32 v4, vcc, v4, v2
	v_addc_co_u32_e32 v5, vcc, v5, v3, vcc
	v_mov_b32_e32 v17, s13
	v_add_co_u32_e32 v4, vcc, s12, v4
	v_addc_co_u32_e32 v5, vcc, v5, v17, vcc
	v_add_co_u32_e32 v4, vcc, 8, v4
	v_addc_co_u32_e32 v5, vcc, 0, v5, vcc
	s_mov_b64 s[16:17], 0
	v_mov_b32_e32 v17, v8
.LBB5_5:                                ; =>This Inner Loop Header: Depth=1
	global_load_dwordx4 v[18:21], v[4:5], off offset:-8
	v_add_co_u32_e32 v4, vcc, 0x100, v4
	v_add_u32_e32 v17, 16, v17
	v_addc_co_u32_e32 v5, vcc, 0, v5, vcc
	v_cmp_ge_i32_e32 vcc, v17, v14
	s_or_b64 s[16:17], vcc, s[16:17]
	s_waitcnt vmcnt(0)
	v_max3_f32 v10, v10, |v18|, |v19|
	ds_write_b128 v16, v[18:21]
	v_add_u32_e32 v16, 0x100, v16
	v_max3_f32 v10, v10, |v20|, |v21|
	s_andn2_b64 exec, exec, s[16:17]
	s_cbranch_execnz .LBB5_5
; %bb.6:
	s_or_b64 exec, exec, s[16:17]
.LBB5_7:
	s_or_b64 exec, exec, s[14:15]
	v_lshl_add_u32 v4, v14, 2, v8
	v_cmp_lt_i32_e32 vcc, v4, v11
	s_and_saveexec_b64 s[14:15], vcc
	s_cbranch_execz .LBB5_11
; %bb.8:
	v_lshlrev_b32_e32 v5, 2, v22
	v_lshlrev_b32_e32 v14, 4, v14
	v_add3_u32 v5, v5, v14, v15
	v_lshlrev_b32_e32 v14, 2, v8
	v_add3_u32 v14, v5, v14, 0
	v_add_co_u32_e32 v2, vcc, v0, v2
	v_ashrrev_i32_e32 v5, 31, v4
	v_addc_co_u32_e32 v3, vcc, v1, v3, vcc
	v_lshlrev_b64 v[0:1], 2, v[4:5]
	v_add_co_u32_e32 v0, vcc, v2, v0
	v_addc_co_u32_e32 v1, vcc, v3, v1, vcc
	v_mov_b32_e32 v2, s13
	v_add_co_u32_e32 v0, vcc, s12, v0
	v_addc_co_u32_e32 v1, vcc, v2, v1, vcc
	s_mov_b64 s[16:17], 0
.LBB5_9:                                ; =>This Inner Loop Header: Depth=1
	global_load_dword v2, v[0:1], off
	v_add_co_u32_e32 v0, vcc, 64, v0
	v_add_u32_e32 v4, 16, v4
	v_addc_co_u32_e32 v1, vcc, 0, v1, vcc
	v_max_f32_e32 v3, v10, v10
	v_cmp_ge_i32_e32 vcc, v4, v11
	s_or_b64 s[16:17], vcc, s[16:17]
	s_waitcnt vmcnt(0)
	v_max_f32_e64 v5, |v2|, |v2|
	ds_write_b32 v14, v2
	v_add_u32_e32 v14, 64, v14
	v_max_f32_e32 v10, v3, v5
	s_andn2_b64 exec, exec, s[16:17]
	s_cbranch_execnz .LBB5_9
; %bb.10:
	s_or_b64 exec, exec, s[16:17]
.LBB5_11:
	s_or_b64 exec, exec, s[14:15]
                                        ; implicit-def: $vgpr0_vgpr1
.LBB5_12:
	s_andn2_saveexec_b64 s[6:7], s[6:7]
	s_cbranch_execz .LBB5_18
; %bb.13:
	s_ashr_i32 s0, s20, 2
	v_cmp_gt_i32_e32 vcc, s0, v8
	v_mov_b32_e32 v10, s1
	s_and_saveexec_b64 s[14:15], vcc
	s_cbranch_execz .LBB5_17
; %bb.14:
	v_lshlrev_b32_e32 v3, 4, v8
	v_add_co_u32_e32 v0, vcc, v0, v3
	v_lshlrev_b32_e32 v2, 2, v22
	v_addc_co_u32_e32 v1, vcc, 0, v1, vcc
	v_add3_u32 v2, v2, v3, 0
	v_mov_b32_e32 v3, s13
	v_add_co_u32_e32 v0, vcc, s12, v0
	v_addc_co_u32_e32 v1, vcc, v1, v3, vcc
	v_add_co_u32_e32 v0, vcc, 8, v0
	v_addc_co_u32_e32 v1, vcc, 0, v1, vcc
	s_mov_b64 s[12:13], 0
	v_mov_b32_e32 v10, s1
	v_mov_b32_e32 v3, v8
.LBB5_15:                               ; =>This Inner Loop Header: Depth=1
	global_load_dwordx4 v[14:17], v[0:1], off offset:-8
	v_add_co_u32_e32 v0, vcc, 0x100, v0
	v_add_u32_e32 v3, 16, v3
	v_addc_co_u32_e32 v1, vcc, 0, v1, vcc
	v_cmp_le_i32_e32 vcc, s0, v3
	s_or_b64 s[12:13], vcc, s[12:13]
	s_waitcnt vmcnt(0)
	v_max3_f32 v4, v10, |v14|, |v15|
	ds_write_b128 v2, v[14:17]
	v_add_u32_e32 v2, 0x100, v2
	v_max3_f32 v10, v4, |v16|, |v17|
	s_andn2_b64 exec, exec, s[12:13]
	s_cbranch_execnz .LBB5_15
; %bb.16:
	s_or_b64 exec, exec, s[12:13]
.LBB5_17:
	s_or_b64 exec, exec, s[14:15]
.LBB5_18:
	s_or_b64 exec, exec, s[6:7]
	v_mbcnt_lo_u32_b32 v0, -1, 0
	v_mbcnt_hi_u32_b32 v0, -1, v0
	v_and_b32_e32 v2, 0x70, v0
	v_xor_b32_e32 v1, 8, v0
	v_add_u32_e32 v2, 16, v2
	v_cmp_lt_i32_e32 vcc, v1, v2
	v_cndmask_b32_e32 v1, v0, v1, vcc
	v_lshlrev_b32_e32 v1, 2, v1
	ds_bpermute_b32 v1, v1, v10
	v_xor_b32_e32 v4, 4, v0
	v_max_f32_e32 v3, v10, v10
	v_cmp_lt_i32_e32 vcc, v4, v2
	s_load_dwordx2 s[6:7], s[4:5], 0x8
	s_waitcnt lgkmcnt(0)
	v_max_f32_e32 v1, v1, v1
	v_max_f32_e32 v1, v3, v1
	v_cndmask_b32_e32 v3, v0, v4, vcc
	v_lshlrev_b32_e32 v3, 2, v3
	ds_bpermute_b32 v3, v3, v1
	v_xor_b32_e32 v4, 2, v0
	v_cmp_lt_i32_e32 vcc, v4, v2
	s_waitcnt lgkmcnt(0)
	v_max_f32_e32 v3, v3, v3
	v_max_f32_e32 v1, v1, v3
	v_cndmask_b32_e32 v3, v0, v4, vcc
	v_lshlrev_b32_e32 v3, 2, v3
	ds_bpermute_b32 v3, v3, v1
	v_xor_b32_e32 v4, 1, v0
	v_cmp_lt_i32_e32 vcc, v4, v2
	v_cndmask_b32_e32 v0, v0, v4, vcc
	v_lshlrev_b32_e32 v0, 2, v0
	s_waitcnt lgkmcnt(0)
	v_max_f32_e32 v3, v3, v3
	v_max_f32_e32 v1, v1, v3
	ds_bpermute_b32 v0, v0, v1
	s_waitcnt lgkmcnt(0)
	v_max_f32_e32 v0, v0, v0
	v_max_f32_e32 v0, v1, v0
	v_div_scale_f32 v1, s[0:1], s3, s3, v0
	v_rcp_f32_e32 v2, v1
	v_div_scale_f32 v3, vcc, v0, s3, v0
	v_fma_f32 v4, -v1, v2, 1.0
	v_fmac_f32_e32 v2, v4, v2
	v_mul_f32_e32 v4, v3, v2
	v_fma_f32 v5, -v1, v4, v3
	v_fmac_f32_e32 v4, v5, v2
	v_fma_f32 v1, -v1, v4, v3
	v_div_fmas_f32 v1, v1, v2, v4
	v_div_fixup_f32 v10, v1, s3, v0
	v_cmp_eq_u32_e32 vcc, 0, v8
	s_and_saveexec_b64 s[12:13], vcc
	s_cbranch_execz .LBB5_24
; %bb.19:
	s_load_dwordx2 s[4:5], s[4:5], 0x10
	s_ashr_i32 s0, s10, 31
	v_or_b32_e32 v1, s0, v9
	v_mov_b32_e32 v0, 0
	v_cmp_ne_u64_e32 vcc, 0, v[0:1]
                                        ; implicit-def: $vgpr0_vgpr1
	s_and_saveexec_b64 s[14:15], vcc
	s_xor_b64 s[14:15], exec, s[14:15]
	s_cbranch_execz .LBB5_21
; %bb.20:
	s_add_u32 s18, s10, s0
	s_mov_b32 s16, s0
	s_mov_b32 s17, s0
	s_addc_u32 s19, s0, s0
	s_xor_b64 s[18:19], s[18:19], s[16:17]
	v_cvt_f32_u32_e32 v0, s18
	v_cvt_f32_u32_e32 v1, s19
	s_sub_u32 s0, 0, s18
	s_subb_u32 s1, 0, s19
	v_madmk_f32 v0, v1, 0x4f800000, v0
	v_rcp_f32_e32 v0, v0
	v_mul_f32_e32 v0, 0x5f7ffffc, v0
	v_mul_f32_e32 v1, 0x2f800000, v0
	v_trunc_f32_e32 v1, v1
	v_madmk_f32 v0, v1, 0xcf800000, v0
	v_cvt_u32_f32_e32 v1, v1
	v_cvt_u32_f32_e32 v0, v0
	v_mul_lo_u32 v2, s0, v1
	v_mul_hi_u32 v4, s0, v0
	v_mul_lo_u32 v3, s1, v0
	v_add_u32_e32 v2, v4, v2
	v_mul_lo_u32 v5, s0, v0
	v_add_u32_e32 v2, v2, v3
	v_mul_lo_u32 v4, v0, v2
	v_mul_hi_u32 v11, v0, v5
	v_mul_hi_u32 v3, v0, v2
	v_add_co_u32_e32 v4, vcc, v11, v4
	v_addc_co_u32_e32 v3, vcc, 0, v3, vcc
	v_mul_hi_u32 v14, v1, v5
	v_mul_lo_u32 v5, v1, v5
	v_add_co_u32_e32 v4, vcc, v4, v5
	v_mul_hi_u32 v11, v1, v2
	v_addc_co_u32_e32 v3, vcc, v3, v14, vcc
	v_addc_co_u32_e32 v4, vcc, 0, v11, vcc
	v_mul_lo_u32 v2, v1, v2
	v_add_co_u32_e32 v2, vcc, v3, v2
	v_addc_co_u32_e32 v3, vcc, 0, v4, vcc
	v_add_co_u32_e32 v0, vcc, v0, v2
	v_addc_co_u32_e32 v1, vcc, v1, v3, vcc
	v_mul_lo_u32 v2, s0, v1
	v_mul_hi_u32 v3, s0, v0
	v_add_u32_e32 v2, v3, v2
	v_mul_lo_u32 v3, s1, v0
	v_add_u32_e32 v2, v2, v3
	v_mul_lo_u32 v4, s0, v0
	v_mul_hi_u32 v5, v1, v4
	v_mul_lo_u32 v11, v1, v4
	v_mul_lo_u32 v15, v0, v2
	v_mul_hi_u32 v4, v0, v4
	v_mul_hi_u32 v14, v0, v2
	v_add_co_u32_e32 v4, vcc, v4, v15
	v_addc_co_u32_e32 v14, vcc, 0, v14, vcc
	v_add_co_u32_e32 v4, vcc, v4, v11
	v_mul_hi_u32 v3, v1, v2
	v_addc_co_u32_e32 v4, vcc, v14, v5, vcc
	v_addc_co_u32_e32 v3, vcc, 0, v3, vcc
	v_mul_lo_u32 v2, v1, v2
	v_add_co_u32_e32 v2, vcc, v4, v2
	v_addc_co_u32_e32 v3, vcc, 0, v3, vcc
	v_add_co_u32_e32 v2, vcc, v0, v2
	v_addc_co_u32_e32 v3, vcc, v1, v3, vcc
	v_mad_u64_u32 v[0:1], s[0:1], v7, v3, 0
	v_mul_hi_u32 v4, v7, v2
	v_add_co_u32_e32 v4, vcc, v4, v0
	v_addc_co_u32_e32 v5, vcc, 0, v1, vcc
	v_mad_u64_u32 v[0:1], s[0:1], v9, v3, 0
	v_mad_u64_u32 v[2:3], s[0:1], v9, v2, 0
	v_add_co_u32_e32 v2, vcc, v4, v2
	v_addc_co_u32_e32 v2, vcc, v5, v3, vcc
	v_addc_co_u32_e32 v1, vcc, 0, v1, vcc
	v_add_co_u32_e32 v2, vcc, v2, v0
	v_addc_co_u32_e32 v0, vcc, 0, v1, vcc
	v_mul_lo_u32 v3, s19, v2
	v_mul_lo_u32 v4, s18, v0
	v_mad_u64_u32 v[0:1], s[0:1], s18, v2, 0
	v_add3_u32 v1, v1, v4, v3
	v_sub_u32_e32 v3, v9, v1
	v_mov_b32_e32 v4, s19
	v_sub_co_u32_e32 v0, vcc, v7, v0
	v_subb_co_u32_e64 v3, s[0:1], v3, v4, vcc
	v_subrev_co_u32_e64 v4, s[0:1], s18, v0
	v_subbrev_co_u32_e64 v3, s[0:1], 0, v3, s[0:1]
	v_cmp_le_u32_e64 s[0:1], s19, v3
	v_subb_co_u32_e32 v1, vcc, v9, v1, vcc
	v_cndmask_b32_e64 v5, 0, -1, s[0:1]
	v_cmp_le_u32_e64 s[0:1], s18, v4
	v_cmp_le_u32_e32 vcc, s19, v1
	v_cndmask_b32_e64 v4, 0, -1, s[0:1]
	v_cmp_eq_u32_e64 s[0:1], s19, v3
	v_cndmask_b32_e64 v9, 0, -1, vcc
	v_cmp_le_u32_e32 vcc, s18, v0
	v_cndmask_b32_e64 v3, v5, v4, s[0:1]
	v_cndmask_b32_e64 v0, 0, -1, vcc
	v_cmp_eq_u32_e32 vcc, s19, v1
	v_add_co_u32_e64 v4, s[0:1], 2, v2
	v_add_co_u32_e64 v5, s[0:1], 1, v2
	v_cndmask_b32_e32 v0, v9, v0, vcc
	v_cmp_ne_u32_e32 vcc, 0, v3
	v_cndmask_b32_e32 v1, v5, v4, vcc
	v_cmp_ne_u32_e32 vcc, 0, v0
	v_cndmask_b32_e32 v0, v2, v1, vcc
	v_xor_b32_e32 v0, s16, v0
	v_subrev_co_u32_e32 v0, vcc, s16, v0
.LBB5_21:
	s_andn2_saveexec_b64 s[0:1], s[14:15]
	s_cbranch_execz .LBB5_23
; %bb.22:
	v_cvt_f32_u32_e32 v0, s10
	s_sub_i32 s14, 0, s10
	v_rcp_iflag_f32_e32 v0, v0
	v_mul_f32_e32 v0, 0x4f7ffffe, v0
	v_cvt_u32_f32_e32 v0, v0
	v_mul_lo_u32 v1, s14, v0
	v_mul_hi_u32 v1, v0, v1
	v_add_u32_e32 v0, v0, v1
	v_mul_hi_u32 v0, v7, v0
	v_mul_lo_u32 v1, v0, s10
	v_sub_u32_e32 v1, v7, v1
	v_add_u32_e32 v2, 1, v0
	v_subrev_u32_e32 v3, s10, v1
	v_cmp_le_u32_e32 vcc, s10, v1
	v_cndmask_b32_e32 v1, v1, v3, vcc
	v_cndmask_b32_e32 v0, v0, v2, vcc
	v_add_u32_e32 v2, 1, v0
	v_cmp_le_u32_e32 vcc, s10, v1
	v_cndmask_b32_e32 v0, v0, v2, vcc
.LBB5_23:
	s_or_b64 exec, exec, s[0:1]
	v_mul_lo_u32 v1, v0, s10
	v_sub_u32_e32 v1, v7, v1
	v_mad_u64_u32 v[0:1], s[0:1], v1, s11, v[0:1]
	v_ashrrev_i32_e32 v1, 31, v0
	v_lshlrev_b64 v[0:1], 2, v[0:1]
	s_waitcnt lgkmcnt(0)
	v_mov_b32_e32 v2, s5
	v_add_co_u32_e32 v0, vcc, s4, v0
	v_addc_co_u32_e32 v1, vcc, v2, v1, vcc
	global_store_dword v[0:1], v10, off
.LBB5_24:
	s_or_b64 exec, exec, s[12:13]
	v_mov_b32_e32 v0, s7
	v_add_co_u32_e32 v20, vcc, s6, v12
	v_addc_co_u32_e32 v21, vcc, v0, v13, vcc
	v_and_b32_e32 v0, 15, v6
	v_mov_b32_e32 v1, 0
	v_cmp_ne_u64_e32 vcc, 0, v[0:1]
	s_xor_b64 s[0:1], s[8:9], -1
	s_or_b64 s[0:1], s[0:1], vcc
	s_barrier
	s_and_saveexec_b64 s[4:5], s[0:1]
	s_xor_b64 s[4:5], exec, s[4:5]
	s_cbranch_execz .LBB5_84
; %bb.25:
	v_sub_u32_e32 v0, 0, v6
	v_bfe_u32 v0, v0, 2, 2
	v_min_i32_e32 v14, s20, v0
	v_cmp_gt_i32_e32 vcc, v14, v8
	s_and_saveexec_b64 s[0:1], vcc
	s_cbranch_execz .LBB5_33
; %bb.26:
	v_lshl_add_u32 v0, v8, 2, v6
	ds_read_b32 v0, v0
	v_max_f32_e64 v1, s2, s2
	v_max_f32_e64 v2, s3, s3
	s_waitcnt lgkmcnt(0)
	v_div_scale_f32 v3, s[8:9], v10, v10, v0
	v_rcp_f32_e32 v4, v3
	v_div_scale_f32 v5, vcc, v0, v10, v0
	s_mov_b32 s8, 0x43f00000
	v_fma_f32 v6, -v3, v4, 1.0
	v_fmac_f32_e32 v4, v6, v4
	v_mul_f32_e32 v6, v5, v4
	v_fma_f32 v7, -v3, v6, v5
	v_fmac_f32_e32 v6, v7, v4
	v_fma_f32 v3, -v3, v6, v5
	v_div_fmas_f32 v3, v3, v4, v6
	v_div_fixup_f32 v0, v3, v10, v0
	v_max_f32_e32 v0, v0, v1
	v_min_f32_e32 v0, v0, v2
	v_and_b32_e32 v2, 0x7fffffff, v0
	v_cmp_gt_u32_e32 vcc, s8, v2
	v_mov_b32_e32 v1, 0x7f
	s_and_saveexec_b64 s[8:9], vcc
	s_cbranch_execz .LBB5_32
; %bb.27:
	s_mov_b32 s10, 0x3c7fffff
	v_cmp_lt_u32_e32 vcc, s10, v2
                                        ; implicit-def: $vgpr1
	s_and_saveexec_b64 s[10:11], vcc
	s_xor_b64 s[10:11], exec, s[10:11]
; %bb.28:
	v_bfe_u32 v1, v0, 20, 1
	s_mov_b32 s12, 0x407ffff
	v_add3_u32 v1, v0, v1, s12
	v_lshrrev_b32_e32 v1, 20, v1
; %bb.29:
	s_andn2_saveexec_b64 s[10:11], s[10:11]
; %bb.30:
	s_mov_b32 s12, 0x46800000
	v_add_f32_e64 v1, |v0|, s12
; %bb.31:
	s_or_b64 exec, exec, s[10:11]
.LBB5_32:
	s_or_b64 exec, exec, s[8:9]
	v_add_co_u32_e32 v2, vcc, v20, v8
	v_lshrrev_b32_e32 v0, 24, v0
	s_movk_i32 s8, 0x80
	v_addc_co_u32_e32 v3, vcc, 0, v21, vcc
	v_and_or_b32 v0, v0, s8, v1
	global_store_byte v[2:3], v0, off
.LBB5_33:
	s_or_b64 exec, exec, s[0:1]
	v_sub_u32_e32 v23, s20, v14
	v_ashrrev_i32_e32 v0, 31, v23
	v_lshrrev_b32_e32 v0, 30, v0
	v_ashrrev_i32_e32 v11, 31, v14
	v_add_co_u32_e32 v24, vcc, v20, v14
	v_add_u32_e32 v0, v23, v0
	v_addc_co_u32_e32 v25, vcc, v21, v11, vcc
	v_ashrrev_i32_e32 v26, 2, v0
	v_cmp_gt_i32_e32 vcc, v26, v8
	s_and_saveexec_b64 s[8:9], vcc
	s_cbranch_execz .LBB5_67
; %bb.34:
	v_xad_u32 v0, v8, -1, v26
	v_cmp_lt_u32_e32 vcc, 15, v0
	s_mov_b64 s[0:1], 0
                                        ; implicit-def: $vgpr4
                                        ; implicit-def: $vgpr27
                                        ; implicit-def: $vgpr28
	s_and_saveexec_b64 s[10:11], vcc
	s_xor_b64 s[10:11], exec, s[10:11]
	s_cbranch_execnz .LBB5_37
; %bb.35:
	s_andn2_saveexec_b64 s[10:11], s[10:11]
	s_cbranch_execnz .LBB5_40
.LBB5_36:
	s_or_b64 exec, exec, s[10:11]
	s_and_b64 exec, exec, s[0:1]
	s_cbranch_execnz .LBB5_41
	s_branch .LBB5_67
.LBB5_37:
	v_lshrrev_b32_e32 v0, 4, v0
	v_add_u32_e32 v29, 1, v0
	v_lshlrev_b32_e32 v27, 2, v22
	v_and_b32_e32 v30, 0x1ffffffe, v29
	v_or_b32_e32 v9, 16, v8
	s_mov_b32 s0, s2
	s_mov_b32 s1, s2
	s_mov_b32 s14, s3
	s_mov_b32 s15, s3
	v_lshl_add_u32 v0, v8, 4, v27
	v_lshlrev_b32_e32 v28, 2, v14
	v_mov_b32_e32 v15, v10
	v_add3_u32 v31, v0, v28, 0
	s_mov_b64 s[12:13], 0
	v_max_f32_e64 v32, s1, s1
	v_max_f32_e64 v33, s0, s0
	;; [unrolled: 1-line block ×4, first 2 shown]
	s_mov_b32 s15, 0x7700000
	s_mov_b32 s16, 0x407ffff
	;; [unrolled: 1-line block ×4, first 2 shown]
	v_mov_b32_e32 v36, 0x7f000000
	v_mov_b32_e32 v37, 0x7f
	s_movk_i32 s18, 0x80
	v_mov_b32_e32 v17, 0
	v_mov_b32_e32 v38, v30
	v_pk_mov_b32 v[18:19], v[8:9], v[8:9] op_sel:[0,1]
.LBB5_38:                               ; =>This Inner Loop Header: Depth=1
	ds_read_b128 v[4:7], v31
	ds_read_b128 v[0:3], v31 offset:256
	v_add_u32_e32 v38, -2, v38
	v_add_u32_e32 v31, 0x200, v31
	s_waitcnt lgkmcnt(1)
	v_div_scale_f32 v9, s[0:1], v10, v10, v4
	v_rcp_f32_e32 v16, v9
	v_fma_f32 v20, -v9, v16, 1.0
	v_fmac_f32_e32 v16, v20, v16
	v_div_scale_f32 v20, vcc, v4, v10, v4
	v_mul_f32_e32 v21, v20, v16
	v_fma_f32 v39, -v9, v21, v20
	v_fmac_f32_e32 v21, v39, v16
	v_fma_f32 v9, -v9, v21, v20
	v_div_fmas_f32 v9, v9, v16, v21
	v_div_fixup_f32 v4, v9, v10, v4
	s_waitcnt lgkmcnt(0)
	v_div_scale_f32 v9, s[0:1], v15, v15, v0
	v_rcp_f32_e32 v16, v9
	v_max_f32_e32 v4, v4, v33
	v_min_f32_e32 v4, v4, v34
	v_fma_f32 v20, -v9, v16, 1.0
	v_fmac_f32_e32 v16, v20, v16
	v_div_scale_f32 v20, vcc, v0, v15, v0
	v_mul_f32_e32 v21, v20, v16
	v_fma_f32 v39, -v9, v21, v20
	v_fmac_f32_e32 v21, v39, v16
	v_fma_f32 v9, -v9, v21, v20
	v_div_fmas_f32 v9, v9, v16, v21
	v_div_fixup_f32 v0, v9, v15, v0
	v_max_f32_e32 v0, v0, v32
	v_min_f32_e32 v0, v0, v35
	v_and_b32_e32 v20, 0x7fffffff, v4
	v_and_b32_e32 v21, 0x7fffffff, v0
	v_add_u32_e32 v16, 0xc3800000, v20
	v_add_u32_e32 v9, 0xc3800000, v21
	v_cmp_gt_u32_e32 vcc, s15, v16
	v_bfe_u32 v16, v0, 20, 1
	v_cmp_gt_u32_e64 s[0:1], s15, v9
	v_bfe_u32 v9, v4, 20, 1
	v_add3_u32 v16, v0, v16, s16
	v_add3_u32 v9, v4, v9, s16
	v_lshrrev_b32_e32 v16, 20, v16
	v_pk_add_f32 v[40:41], v[20:21], s[14:15] op_sel_hi:[1,0]
	v_lshrrev_b32_e32 v9, 20, v9
	v_cndmask_b32_e64 v16, v41, v16, s[0:1]
	v_lshrrev_b32_e32 v39, 24, v0
	v_div_scale_f32 v0, s[0:1], v10, v10, v5
	v_cndmask_b32_e32 v9, v40, v9, vcc
	v_lshrrev_b32_e32 v40, 24, v4
	v_rcp_f32_e32 v4, v0
	v_and_b32_e32 v41, 0xff, v16
	v_and_b32_e32 v9, 0xff, v9
	v_fma_f32 v16, -v0, v4, 1.0
	v_fmac_f32_e32 v4, v16, v4
	v_div_scale_f32 v16, vcc, v5, v10, v5
	v_mul_f32_e32 v42, v16, v4
	v_fma_f32 v43, -v0, v42, v16
	v_fmac_f32_e32 v42, v43, v4
	v_fma_f32 v0, -v0, v42, v16
	v_div_fmas_f32 v0, v0, v4, v42
	v_div_scale_f32 v4, s[0:1], v15, v15, v1
	v_div_fixup_f32 v0, v0, v10, v5
	v_rcp_f32_e32 v5, v4
	v_max_f32_e32 v0, v0, v33
	v_fma_f32 v16, -v4, v5, 1.0
	v_fmac_f32_e32 v5, v16, v5
	v_div_scale_f32 v16, vcc, v1, v15, v1
	v_mul_f32_e32 v42, v16, v5
	v_fma_f32 v43, -v4, v42, v16
	v_fmac_f32_e32 v42, v43, v5
	v_fma_f32 v4, -v4, v42, v16
	v_div_fmas_f32 v4, v4, v5, v42
	v_div_fixup_f32 v1, v4, v15, v1
	v_max_f32_e32 v1, v1, v32
	v_min_f32_e32 v16, v0, v34
	v_min_f32_e32 v44, v1, v35
	v_and_b32_e32 v1, 0x7fffffff, v44
	v_and_b32_e32 v0, 0x7fffffff, v16
	v_add_u32_e32 v4, 0xc3800000, v0
	v_add_u32_e32 v5, 0xc3800000, v1
	v_cmp_gt_u32_e32 vcc, s15, v5
	v_cmp_gt_u32_e64 s[0:1], s15, v4
	v_bfe_u32 v4, v44, 20, 1
	v_bfe_u32 v5, v16, 20, 1
	v_add3_u32 v5, v16, v5, s16
	v_add3_u32 v4, v44, v4, s16
	v_lshrrev_b32_e32 v42, 20, v4
	v_lshrrev_b32_e32 v43, 20, v5
	v_pk_add_f32 v[4:5], v[0:1], s[14:15] op_sel_hi:[1,0]
	v_cndmask_b32_e64 v4, v4, v43, s[0:1]
	v_cndmask_b32_e32 v5, v5, v42, vcc
	v_and_b32_e32 v45, 0xff, v4
	v_div_scale_f32 v4, s[0:1], v10, v10, v6
	v_and_b32_e32 v42, 0xff, v5
	v_rcp_f32_e32 v5, v4
	v_lshrrev_b32_e32 v43, 24, v16
	v_lshrrev_b32_e32 v44, 24, v44
	v_fma_f32 v16, -v4, v5, 1.0
	v_fmac_f32_e32 v5, v16, v5
	v_div_scale_f32 v16, vcc, v6, v10, v6
	v_mul_f32_e32 v46, v16, v5
	v_fma_f32 v47, -v4, v46, v16
	v_fmac_f32_e32 v46, v47, v5
	v_fma_f32 v4, -v4, v46, v16
	v_div_fmas_f32 v4, v4, v5, v46
	v_div_scale_f32 v5, s[0:1], v15, v15, v2
	v_div_fixup_f32 v4, v4, v10, v6
	v_rcp_f32_e32 v6, v5
	v_max_f32_e32 v4, v4, v33
	v_fma_f32 v16, -v5, v6, 1.0
	v_fmac_f32_e32 v6, v16, v6
	v_div_scale_f32 v16, vcc, v2, v15, v2
	v_mul_f32_e32 v46, v16, v6
	v_fma_f32 v47, -v5, v46, v16
	v_fmac_f32_e32 v46, v47, v6
	v_fma_f32 v5, -v5, v46, v16
	v_div_fmas_f32 v5, v5, v6, v46
	v_div_fixup_f32 v2, v5, v15, v2
	v_max_f32_e32 v2, v2, v32
	v_min_f32_e32 v16, v4, v34
	v_min_f32_e32 v2, v2, v35
	v_and_b32_e32 v5, 0x7fffffff, v2
	v_and_b32_e32 v4, 0x7fffffff, v16
	v_add_u32_e32 v6, 0xc3800000, v5
	v_add_u32_e32 v46, 0xc3800000, v4
	v_cmp_gt_u32_e32 vcc, s15, v46
	v_cmp_gt_u32_e64 s[0:1], s15, v6
	v_bfe_u32 v6, v16, 20, 1
	v_bfe_u32 v46, v2, 20, 1
	v_add3_u32 v46, v2, v46, s16
	v_add3_u32 v6, v16, v6, s16
	v_lshrrev_b32_e32 v6, 20, v6
	v_lshrrev_b32_e32 v48, 20, v46
	v_pk_add_f32 v[46:47], v[4:5], s[14:15] op_sel_hi:[1,0]
	v_cndmask_b32_e64 v47, v47, v48, s[0:1]
	v_cndmask_b32_e32 v6, v46, v6, vcc
	v_lshrrev_b32_e32 v46, 24, v2
	v_div_scale_f32 v2, s[0:1], v10, v10, v7
	v_and_b32_e32 v48, 0xff, v47
	v_lshrrev_b32_e32 v47, 24, v16
	v_rcp_f32_e32 v16, v2
	v_and_b32_e32 v6, 0xff, v6
	v_fma_f32 v49, -v2, v16, 1.0
	v_fmac_f32_e32 v16, v49, v16
	v_div_scale_f32 v49, vcc, v7, v10, v7
	v_mul_f32_e32 v50, v49, v16
	v_fma_f32 v51, -v2, v50, v49
	v_fmac_f32_e32 v50, v51, v16
	v_fma_f32 v2, -v2, v50, v49
	v_div_fmas_f32 v2, v2, v16, v50
	v_div_fixup_f32 v2, v2, v10, v7
	v_div_scale_f32 v7, s[0:1], v15, v15, v3
	v_rcp_f32_e32 v16, v7
	v_max_f32_e32 v2, v2, v33
	v_fma_f32 v49, -v7, v16, 1.0
	v_fmac_f32_e32 v16, v49, v16
	v_div_scale_f32 v49, vcc, v3, v15, v3
	v_mul_f32_e32 v50, v49, v16
	v_fma_f32 v51, -v7, v50, v49
	v_fmac_f32_e32 v50, v51, v16
	v_fma_f32 v7, -v7, v50, v49
	v_div_fmas_f32 v7, v7, v16, v50
	v_div_fixup_f32 v3, v7, v15, v3
	v_max_f32_e32 v3, v3, v32
	v_min_f32_e32 v7, v2, v34
	v_min_f32_e32 v49, v3, v35
	v_and_b32_e32 v3, 0x7fffffff, v49
	v_and_b32_e32 v2, 0x7fffffff, v7
	v_add_u32_e32 v16, 0xc3800000, v3
	v_add_u32_e32 v50, 0xc3800000, v2
	v_cmp_gt_u32_e32 vcc, s15, v50
	v_cmp_gt_u32_e64 s[0:1], s15, v16
	v_bfe_u32 v16, v7, 20, 1
	v_bfe_u32 v50, v49, 20, 1
	v_add3_u32 v50, v49, v50, s16
	v_add3_u32 v16, v7, v16, s16
	v_lshrrev_b32_e32 v16, 20, v16
	v_lshrrev_b32_e32 v52, 20, v50
	v_pk_add_f32 v[50:51], v[2:3], s[14:15] op_sel_hi:[1,0]
	v_cndmask_b32_e32 v16, v50, v16, vcc
	v_cndmask_b32_e64 v51, v51, v52, s[0:1]
	v_lshlrev_b32_e32 v54, 24, v16
	v_mov_b32_e32 v16, v18
	v_lshlrev_b32_e32 v55, 24, v51
	v_lshlrev_b64 v[50:51], 2, v[16:17]
	v_add_co_u32_e32 v50, vcc, v24, v50
	v_mov_b32_e32 v16, v19
	v_addc_co_u32_e32 v51, vcc, v25, v51, vcc
	v_lshlrev_b64 v[52:53], 2, v[16:17]
	v_add_co_u32_e32 v52, vcc, v24, v52
	v_addc_co_u32_e32 v53, vcc, v25, v53, vcc
	v_cmp_gt_u32_e32 vcc, s17, v3
	v_cndmask_b32_e32 v3, v36, v55, vcc
	v_cmp_gt_u32_e32 vcc, s17, v2
	v_cndmask_b32_e32 v2, v36, v54, vcc
	;; [unrolled: 2-line block ×4, first 2 shown]
	v_cmp_gt_u32_e32 vcc, s17, v0
	v_and_or_b32 v4, v47, s18, v4
	v_cndmask_b32_e32 v0, v37, v45, vcc
	v_cmp_gt_u32_e32 vcc, s17, v1
	v_and_b32_e32 v7, 0x80000000, v7
	v_and_or_b32 v5, v46, s18, v5
	v_lshlrev_b32_e32 v4, 16, v4
	v_cndmask_b32_e32 v1, v37, v42, vcc
	v_cmp_gt_u32_e32 vcc, s17, v21
	v_and_b32_e32 v16, 0x80000000, v49
	v_lshlrev_b32_e32 v5, 16, v5
	v_or3_b32 v2, v7, v2, v4
	v_cndmask_b32_e32 v4, v37, v41, vcc
	v_cmp_gt_u32_e32 vcc, s17, v20
	v_or3_b32 v3, v16, v3, v5
	v_and_or_b32 v0, v43, s18, v0
	v_cndmask_b32_e32 v5, v37, v9, vcc
	v_and_or_b32 v1, v44, s18, v1
	v_lshlrev_b32_e32 v0, 8, v0
	v_and_or_b32 v5, v40, s18, v5
	v_cmp_eq_u32_e32 vcc, 0, v38
	v_lshlrev_b32_e32 v1, 8, v1
	v_and_or_b32 v4, v39, s18, v4
	v_or3_b32 v0, v2, v0, v5
	v_add_u32_e32 v19, 32, v19
	v_add_u32_e32 v18, 32, v18
	s_or_b64 s[12:13], vcc, s[12:13]
	v_or3_b32 v1, v3, v1, v4
	global_store_dword v[50:51], v0, off
	global_store_dword v[52:53], v1, off
	s_andn2_b64 exec, exec, s[12:13]
	s_cbranch_execnz .LBB5_38
; %bb.39:
	s_or_b64 exec, exec, s[12:13]
	v_cmp_ne_u32_e32 vcc, v29, v30
	v_lshl_or_b32 v4, v30, 4, v8
	s_and_b64 s[0:1], vcc, exec
	s_andn2_saveexec_b64 s[10:11], s[10:11]
	s_cbranch_execz .LBB5_36
.LBB5_40:
	v_lshlrev_b32_e32 v27, 2, v22
	v_lshlrev_b32_e32 v28, 2, v14
	s_or_b64 s[0:1], s[0:1], exec
	v_mov_b32_e32 v4, v8
	s_or_b64 exec, exec, s[10:11]
	s_and_b64 exec, exec, s[0:1]
	s_cbranch_execz .LBB5_67
.LBB5_41:
	v_lshl_add_u32 v0, v4, 4, v27
	v_add_co_u32_e32 v2, vcc, v14, v12
	v_mov_b32_e32 v5, 0
	v_add3_u32 v9, v0, v28, 0
	v_addc_co_u32_e32 v3, vcc, v11, v13, vcc
	v_lshlrev_b64 v[0:1], 2, v[4:5]
	v_add_co_u32_e32 v0, vcc, v2, v0
	v_addc_co_u32_e32 v1, vcc, v3, v1, vcc
	v_mov_b32_e32 v2, s7
	v_add_co_u32_e32 v6, vcc, s6, v0
	v_addc_co_u32_e32 v7, vcc, v2, v1, vcc
	s_mov_b64 s[0:1], 0
	v_max_f32_e64 v5, s2, s2
	v_max_f32_e64 v15, s3, s3
	s_mov_b32 s14, 0x43f00000
	s_mov_b32 s15, 0x3c7fffff
	s_mov_b32 s16, 0x407ffff
	s_mov_b32 s17, 0x46800000
	s_movk_i32 s18, 0x80
	s_movk_i32 s19, 0xff
	s_branch .LBB5_44
.LBB5_42:                               ;   in Loop: Header=BB5_44 Depth=1
	s_or_b64 exec, exec, s[12:13]
.LBB5_43:                               ;   in Loop: Header=BB5_44 Depth=1
	s_or_b64 exec, exec, s[10:11]
	v_and_b32_sdwa v2, v2, s18 dst_sel:DWORD dst_unused:UNUSED_PAD src0_sel:BYTE_3 src1_sel:DWORD
	v_and_or_b32 v2, v18, s19, v2
	v_and_b32_sdwa v1, v1, s18 dst_sel:DWORD dst_unused:UNUSED_PAD src0_sel:BYTE_3 src1_sel:DWORD
	v_lshlrev_b32_e32 v19, 24, v19
	v_and_b32_e32 v3, 0x80000000, v3
	v_lshlrev_b32_e32 v2, 16, v2
	v_lshrrev_b32_e32 v0, 24, v0
	v_or3_b32 v2, v3, v19, v2
	v_and_or_b32 v1, v16, s19, v1
	v_and_b32_e32 v3, 0xff, v17
	v_lshlrev_b32_e32 v1, 8, v1
	v_and_or_b32 v0, v0, s18, v3
	v_add_u32_e32 v4, 16, v4
	v_or3_b32 v0, v2, v1, v0
	v_cmp_ge_i32_e32 vcc, v4, v26
	global_store_dword v[6:7], v0, off
	s_or_b64 s[0:1], vcc, s[0:1]
	v_add_co_u32_e32 v6, vcc, 64, v6
	v_add_u32_e32 v9, 0x100, v9
	v_addc_co_u32_e32 v7, vcc, 0, v7, vcc
	s_andn2_b64 exec, exec, s[0:1]
	s_cbranch_execz .LBB5_67
.LBB5_44:                               ; =>This Inner Loop Header: Depth=1
	ds_read_b128 v[0:3], v9
	v_mov_b32_e32 v16, 0x7f
	s_waitcnt lgkmcnt(0)
	v_div_scale_f32 v17, s[10:11], v10, v10, v0
	v_rcp_f32_e32 v18, v17
	v_div_scale_f32 v19, vcc, v0, v10, v0
	v_fma_f32 v20, -v17, v18, 1.0
	v_fmac_f32_e32 v18, v20, v18
	v_mul_f32_e32 v20, v19, v18
	v_fma_f32 v21, -v17, v20, v19
	v_fmac_f32_e32 v20, v21, v18
	v_fma_f32 v17, -v17, v20, v19
	v_div_fmas_f32 v17, v17, v18, v20
	v_div_fixup_f32 v0, v17, v10, v0
	v_max_f32_e32 v0, v0, v5
	v_min_f32_e32 v0, v0, v15
	v_and_b32_e32 v18, 0x7fffffff, v0
	v_cmp_gt_u32_e32 vcc, s14, v18
	v_mov_b32_e32 v17, 0x7f
	s_and_saveexec_b64 s[10:11], vcc
	s_cbranch_execz .LBB5_50
; %bb.45:                               ;   in Loop: Header=BB5_44 Depth=1
	v_cmp_lt_u32_e32 vcc, s15, v18
                                        ; implicit-def: $vgpr17
	s_and_saveexec_b64 s[12:13], vcc
	s_xor_b64 s[12:13], exec, s[12:13]
; %bb.46:                               ;   in Loop: Header=BB5_44 Depth=1
	v_bfe_u32 v17, v0, 20, 1
	v_add3_u32 v17, v0, v17, s16
	v_lshrrev_b32_e32 v17, 20, v17
; %bb.47:                               ;   in Loop: Header=BB5_44 Depth=1
	s_andn2_saveexec_b64 s[12:13], s[12:13]
; %bb.48:                               ;   in Loop: Header=BB5_44 Depth=1
	v_add_f32_e64 v17, |v0|, s17
; %bb.49:                               ;   in Loop: Header=BB5_44 Depth=1
	s_or_b64 exec, exec, s[12:13]
.LBB5_50:                               ;   in Loop: Header=BB5_44 Depth=1
	s_or_b64 exec, exec, s[10:11]
	v_div_scale_f32 v18, s[10:11], v10, v10, v1
	v_rcp_f32_e32 v19, v18
	v_div_scale_f32 v20, vcc, v1, v10, v1
	v_fma_f32 v21, -v18, v19, 1.0
	v_fmac_f32_e32 v19, v21, v19
	v_mul_f32_e32 v21, v20, v19
	v_fma_f32 v27, -v18, v21, v20
	v_fmac_f32_e32 v21, v27, v19
	v_fma_f32 v18, -v18, v21, v20
	v_div_fmas_f32 v18, v18, v19, v21
	v_div_fixup_f32 v1, v18, v10, v1
	v_max_f32_e32 v1, v1, v5
	v_min_f32_e32 v1, v1, v15
	v_and_b32_e32 v18, 0x7fffffff, v1
	v_cmp_gt_u32_e32 vcc, s14, v18
	s_and_saveexec_b64 s[10:11], vcc
	s_cbranch_execz .LBB5_56
; %bb.51:                               ;   in Loop: Header=BB5_44 Depth=1
	v_cmp_lt_u32_e32 vcc, s15, v18
                                        ; implicit-def: $vgpr16
	s_and_saveexec_b64 s[12:13], vcc
	s_xor_b64 s[12:13], exec, s[12:13]
; %bb.52:                               ;   in Loop: Header=BB5_44 Depth=1
	v_bfe_u32 v16, v1, 20, 1
	v_add3_u32 v16, v1, v16, s16
	v_lshrrev_b32_e32 v16, 20, v16
; %bb.53:                               ;   in Loop: Header=BB5_44 Depth=1
	s_andn2_saveexec_b64 s[12:13], s[12:13]
; %bb.54:                               ;   in Loop: Header=BB5_44 Depth=1
	v_add_f32_e64 v16, |v1|, s17
; %bb.55:                               ;   in Loop: Header=BB5_44 Depth=1
	s_or_b64 exec, exec, s[12:13]
.LBB5_56:                               ;   in Loop: Header=BB5_44 Depth=1
	s_or_b64 exec, exec, s[10:11]
	v_div_scale_f32 v18, s[10:11], v10, v10, v2
	v_rcp_f32_e32 v19, v18
	v_div_scale_f32 v20, vcc, v2, v10, v2
	v_fma_f32 v21, -v18, v19, 1.0
	v_fmac_f32_e32 v19, v21, v19
	v_mul_f32_e32 v21, v20, v19
	v_fma_f32 v27, -v18, v21, v20
	v_fmac_f32_e32 v21, v27, v19
	v_fma_f32 v18, -v18, v21, v20
	v_div_fmas_f32 v18, v18, v19, v21
	v_div_fixup_f32 v2, v18, v10, v2
	v_max_f32_e32 v2, v2, v5
	v_min_f32_e32 v2, v2, v15
	v_and_b32_e32 v20, 0x7fffffff, v2
	v_cmp_gt_u32_e32 vcc, s14, v20
	v_mov_b32_e32 v19, 0x7f
	v_mov_b32_e32 v18, 0x7f
	s_and_saveexec_b64 s[10:11], vcc
	s_cbranch_execz .LBB5_62
; %bb.57:                               ;   in Loop: Header=BB5_44 Depth=1
	v_cmp_lt_u32_e32 vcc, s15, v20
                                        ; implicit-def: $vgpr18
	s_and_saveexec_b64 s[12:13], vcc
	s_xor_b64 s[12:13], exec, s[12:13]
; %bb.58:                               ;   in Loop: Header=BB5_44 Depth=1
	v_bfe_u32 v18, v2, 20, 1
	v_add3_u32 v18, v2, v18, s16
	v_lshrrev_b32_e32 v18, 20, v18
; %bb.59:                               ;   in Loop: Header=BB5_44 Depth=1
	s_andn2_saveexec_b64 s[12:13], s[12:13]
; %bb.60:                               ;   in Loop: Header=BB5_44 Depth=1
	v_add_f32_e64 v18, |v2|, s17
; %bb.61:                               ;   in Loop: Header=BB5_44 Depth=1
	s_or_b64 exec, exec, s[12:13]
.LBB5_62:                               ;   in Loop: Header=BB5_44 Depth=1
	s_or_b64 exec, exec, s[10:11]
	v_div_scale_f32 v20, s[10:11], v10, v10, v3
	v_rcp_f32_e32 v21, v20
	v_div_scale_f32 v27, vcc, v3, v10, v3
	v_fma_f32 v28, -v20, v21, 1.0
	v_fmac_f32_e32 v21, v28, v21
	v_mul_f32_e32 v28, v27, v21
	v_fma_f32 v29, -v20, v28, v27
	v_fmac_f32_e32 v28, v29, v21
	v_fma_f32 v20, -v20, v28, v27
	v_div_fmas_f32 v20, v20, v21, v28
	v_div_fixup_f32 v3, v20, v10, v3
	v_max_f32_e32 v3, v3, v5
	v_min_f32_e32 v3, v3, v15
	v_and_b32_e32 v20, 0x7fffffff, v3
	v_cmp_gt_u32_e32 vcc, s14, v20
	s_and_saveexec_b64 s[10:11], vcc
	s_cbranch_execz .LBB5_43
; %bb.63:                               ;   in Loop: Header=BB5_44 Depth=1
	v_cmp_lt_u32_e32 vcc, s15, v20
                                        ; implicit-def: $vgpr19
	s_and_saveexec_b64 s[12:13], vcc
	s_xor_b64 s[12:13], exec, s[12:13]
; %bb.64:                               ;   in Loop: Header=BB5_44 Depth=1
	v_bfe_u32 v19, v3, 20, 1
	v_add3_u32 v19, v3, v19, s16
	v_lshrrev_b32_e32 v19, 20, v19
; %bb.65:                               ;   in Loop: Header=BB5_44 Depth=1
	s_andn2_saveexec_b64 s[12:13], s[12:13]
	s_cbranch_execz .LBB5_42
; %bb.66:                               ;   in Loop: Header=BB5_44 Depth=1
	v_add_f32_e64 v19, |v3|, s17
	s_branch .LBB5_42
.LBB5_67:
	s_or_b64 exec, exec, s[8:9]
	v_lshlrev_b32_e32 v2, 2, v26
	v_add_u32_e32 v0, v2, v8
	v_cmp_lt_i32_e32 vcc, v0, v23
	s_and_saveexec_b64 s[8:9], vcc
	s_cbranch_execz .LBB5_83
; %bb.68:
	v_add_u32_e32 v1, 16, v0
	v_max_i32_e32 v3, v1, v23
	v_xad_u32 v3, v8, -1, v3
	v_sub_u32_e32 v3, v3, v2
	v_cmp_lt_u32_e32 vcc, 15, v3
	s_mov_b64 s[0:1], 0
	v_lshlrev_b32_e32 v2, 2, v14
                                        ; implicit-def: $vgpr6
	s_and_saveexec_b64 s[10:11], vcc
	s_xor_b64 s[10:11], exec, s[10:11]
	s_cbranch_execnz .LBB5_71
; %bb.69:
	s_andn2_saveexec_b64 s[10:11], s[10:11]
	s_cbranch_execnz .LBB5_74
.LBB5_70:
	s_or_b64 exec, exec, s[10:11]
	s_and_b64 exec, exec, s[0:1]
	s_cbranch_execnz .LBB5_75
	s_branch .LBB5_83
.LBB5_71:
	v_lshrrev_b32_e32 v2, 4, v3
	v_add_u32_e32 v7, 1, v2
	v_lshlrev_b32_e32 v6, 2, v22
	v_lshlrev_b32_e32 v4, 4, v26
	;; [unrolled: 1-line block ×3, first 2 shown]
	v_and_b32_e32 v9, 0x1ffffffe, v7
	s_mov_b32 s0, s2
	s_mov_b32 s1, s2
	s_mov_b32 s14, s3
	s_mov_b32 s15, s3
	v_add3_u32 v4, v6, v4, v2
	v_lshlrev_b32_e32 v5, 2, v8
	v_mov_b32_e32 v3, v10
	v_add3_u32 v8, v4, v5, 0
	s_mov_b64 s[12:13], 0
	v_max_f32_e64 v15, s1, s1
	v_max_f32_e64 v16, s0, s0
	;; [unrolled: 1-line block ×4, first 2 shown]
	s_mov_b32 s15, 0x43f00000
	s_mov_b32 s16, 0x7700000
	s_mov_b32 s17, 0x407ffff
	s_mov_b32 s14, 0x46800000
	v_mov_b32_e32 v19, 0x7f
	s_movk_i32 s18, 0x80
	v_mov_b32_e32 v20, v9
	v_pk_mov_b32 v[4:5], v[0:1], v[0:1] op_sel:[0,1]
.LBB5_72:                               ; =>This Inner Loop Header: Depth=1
	ds_read2_b32 v[26:27], v8 offset1:16
	v_ashrrev_i32_e32 v21, 31, v4
	v_add_co_u32_e32 v28, vcc, v24, v4
	v_mov_b32_e32 v22, v5
	v_addc_co_u32_e32 v29, vcc, v25, v21, vcc
	v_ashrrev_i32_e32 v1, 31, v5
	v_add_co_u32_e32 v30, vcc, v24, v22
	v_addc_co_u32_e32 v31, vcc, v25, v1, vcc
	s_waitcnt lgkmcnt(0)
	v_div_scale_f32 v1, s[0:1], v10, v10, v26
	v_div_scale_f32 v22, s[0:1], v3, v3, v27
	v_rcp_f32_e32 v33, v1
	v_rcp_f32_e32 v34, v22
	v_add_u32_e32 v20, -2, v20
	v_cmp_eq_u32_e32 vcc, 0, v20
	v_fma_f32 v35, -v1, v33, 1.0
	s_or_b64 s[12:13], vcc, s[12:13]
	v_div_scale_f32 v21, vcc, v26, v10, v26
	v_fma_f32 v36, -v22, v34, 1.0
	v_fmac_f32_e32 v33, v35, v33
	v_div_scale_f32 v32, s[0:1], v27, v3, v27
	v_fmac_f32_e32 v34, v36, v34
	v_mul_f32_e32 v35, v21, v33
	v_mul_f32_e32 v36, v32, v34
	v_fma_f32 v37, -v1, v35, v21
	v_fma_f32 v38, -v22, v36, v32
	v_fmac_f32_e32 v35, v37, v33
	v_fmac_f32_e32 v36, v38, v34
	v_fma_f32 v1, -v1, v35, v21
	v_fma_f32 v21, -v22, v36, v32
	v_div_fmas_f32 v1, v1, v33, v35
	s_mov_b64 vcc, s[0:1]
	v_div_fixup_f32 v1, v1, v10, v26
	v_div_fmas_f32 v21, v21, v34, v36
	v_div_fixup_f32 v21, v21, v3, v27
	v_max_f32_e32 v1, v1, v16
	v_max_f32_e32 v21, v21, v15
	v_min_f32_e32 v1, v1, v17
	v_min_f32_e32 v21, v21, v18
	v_and_b32_e32 v26, 0x7fffffff, v1
	v_bfe_u32 v22, v1, 20, 1
	v_lshrrev_b32_e32 v34, 24, v1
	v_and_b32_e32 v27, 0x7fffffff, v21
	v_add_u32_e32 v35, 0xc3800000, v26
	v_bfe_u32 v32, v21, 20, 1
	v_add3_u32 v1, v1, v22, s17
	v_lshrrev_b32_e32 v22, 24, v21
	v_add_u32_e32 v36, 0xc3800000, v27
	v_add3_u32 v21, v21, v32, s17
	v_lshrrev_b32_e32 v1, 20, v1
	v_pk_add_f32 v[32:33], v[26:27], s[14:15] op_sel_hi:[1,0]
	v_cmp_gt_u32_e32 vcc, s16, v35
	v_cndmask_b32_e32 v1, v32, v1, vcc
	v_cmp_gt_u32_e32 vcc, s15, v26
	v_lshrrev_b32_e32 v21, 20, v21
	v_cmp_gt_u32_e64 s[0:1], s16, v36
	v_cndmask_b32_e64 v21, v33, v21, s[0:1]
	v_cndmask_b32_e32 v1, v19, v1, vcc
	v_cmp_gt_u32_e32 vcc, s15, v27
	v_add_u32_e32 v5, 32, v5
	v_add_u32_e32 v4, 32, v4
	;; [unrolled: 1-line block ×3, first 2 shown]
	v_cndmask_b32_e32 v21, v19, v21, vcc
	v_and_or_b32 v1, v34, s18, v1
	v_and_or_b32 v21, v22, s18, v21
	global_store_byte v[28:29], v1, off
	global_store_byte v[30:31], v21, off
	s_andn2_b64 exec, exec, s[12:13]
	s_cbranch_execnz .LBB5_72
; %bb.73:
	s_or_b64 exec, exec, s[12:13]
	v_cmp_ne_u32_e32 vcc, v7, v9
	v_lshl_add_u32 v0, v9, 4, v0
	s_and_b64 s[0:1], vcc, exec
                                        ; implicit-def: $vgpr22
	s_andn2_saveexec_b64 s[10:11], s[10:11]
	s_cbranch_execz .LBB5_70
.LBB5_74:
	v_lshlrev_b32_e32 v6, 2, v22
	s_or_b64 s[0:1], s[0:1], exec
	s_or_b64 exec, exec, s[10:11]
	s_and_b64 exec, exec, s[0:1]
	s_cbranch_execz .LBB5_83
.LBB5_75:
	v_lshl_add_u32 v1, v0, 2, v6
	v_add3_u32 v1, v1, v2, 0
	v_add_co_u32_e32 v2, vcc, v14, v12
	v_addc_co_u32_e32 v3, vcc, v11, v13, vcc
	v_ashrrev_i32_e32 v4, 31, v0
	v_add_co_u32_e32 v2, vcc, v2, v0
	v_addc_co_u32_e32 v3, vcc, v3, v4, vcc
	v_mov_b32_e32 v4, s7
	v_add_co_u32_e32 v2, vcc, s6, v2
	v_addc_co_u32_e32 v3, vcc, v4, v3, vcc
	s_mov_b64 s[0:1], 0
	v_max_f32_e64 v4, s2, s2
	v_max_f32_e64 v5, s3, s3
	s_mov_b32 s14, 0x43f00000
	s_mov_b32 s15, 0x3c7fffff
	;; [unrolled: 1-line block ×4, first 2 shown]
	s_movk_i32 s18, 0x80
	s_branch .LBB5_78
.LBB5_76:                               ;   in Loop: Header=BB5_78 Depth=1
	s_or_b64 exec, exec, s[12:13]
.LBB5_77:                               ;   in Loop: Header=BB5_78 Depth=1
	s_or_b64 exec, exec, s[10:11]
	v_lshrrev_b32_e32 v6, 24, v6
	v_add_u32_e32 v0, 16, v0
	v_and_or_b32 v6, v6, s18, v7
	v_cmp_ge_i32_e32 vcc, v0, v23
	global_store_byte v[2:3], v6, off
	s_or_b64 s[0:1], vcc, s[0:1]
	v_add_co_u32_e32 v2, vcc, 16, v2
	v_add_u32_e32 v1, 64, v1
	v_addc_co_u32_e32 v3, vcc, 0, v3, vcc
	s_andn2_b64 exec, exec, s[0:1]
	s_cbranch_execz .LBB5_83
.LBB5_78:                               ; =>This Inner Loop Header: Depth=1
	ds_read_b32 v6, v1
	s_waitcnt lgkmcnt(0)
	v_div_scale_f32 v7, s[10:11], v10, v10, v6
	v_rcp_f32_e32 v8, v7
	v_div_scale_f32 v9, vcc, v6, v10, v6
	v_fma_f32 v11, -v7, v8, 1.0
	v_fmac_f32_e32 v8, v11, v8
	v_mul_f32_e32 v11, v9, v8
	v_fma_f32 v12, -v7, v11, v9
	v_fmac_f32_e32 v11, v12, v8
	v_fma_f32 v7, -v7, v11, v9
	v_div_fmas_f32 v7, v7, v8, v11
	v_div_fixup_f32 v6, v7, v10, v6
	v_max_f32_e32 v6, v6, v4
	v_min_f32_e32 v6, v6, v5
	v_and_b32_e32 v8, 0x7fffffff, v6
	v_cmp_gt_u32_e32 vcc, s14, v8
	v_mov_b32_e32 v7, 0x7f
	s_and_saveexec_b64 s[10:11], vcc
	s_cbranch_execz .LBB5_77
; %bb.79:                               ;   in Loop: Header=BB5_78 Depth=1
	v_cmp_lt_u32_e32 vcc, s15, v8
                                        ; implicit-def: $vgpr7
	s_and_saveexec_b64 s[12:13], vcc
	s_xor_b64 s[12:13], exec, s[12:13]
; %bb.80:                               ;   in Loop: Header=BB5_78 Depth=1
	v_bfe_u32 v7, v6, 20, 1
	v_add3_u32 v7, v6, v7, s16
	v_lshrrev_b32_e32 v7, 20, v7
; %bb.81:                               ;   in Loop: Header=BB5_78 Depth=1
	s_andn2_saveexec_b64 s[12:13], s[12:13]
	s_cbranch_execz .LBB5_76
; %bb.82:                               ;   in Loop: Header=BB5_78 Depth=1
	v_add_f32_e64 v7, |v6|, s17
	s_branch .LBB5_76
.LBB5_83:
	s_or_b64 exec, exec, s[8:9]
                                        ; implicit-def: $vgpr8
                                        ; implicit-def: $vgpr22
                                        ; implicit-def: $vgpr10
                                        ; implicit-def: $vgpr20
                                        ; implicit-def: $vgpr21
                                        ; implicit-def: $vgpr12_vgpr13
.LBB5_84:
	s_andn2_saveexec_b64 s[0:1], s[4:5]
	s_cbranch_execz .LBB5_119
; %bb.85:
	s_ashr_i32 s11, s20, 2
	v_cmp_gt_i32_e32 vcc, s11, v8
	s_and_saveexec_b64 s[0:1], vcc
	s_cbranch_execz .LBB5_119
; %bb.86:
	v_xad_u32 v0, v8, -1, s11
	v_cmp_lt_u32_e32 vcc, 15, v0
	s_mov_b64 s[0:1], 0
	v_lshlrev_b32_e32 v23, 2, v22
	s_and_saveexec_b64 s[4:5], vcc
	s_xor_b64 s[4:5], exec, s[4:5]
	s_cbranch_execnz .LBB5_89
; %bb.87:
	s_andn2_saveexec_b64 s[4:5], s[4:5]
	s_cbranch_execnz .LBB5_92
.LBB5_88:
	s_or_b64 exec, exec, s[4:5]
	s_and_b64 exec, exec, s[0:1]
	s_cbranch_execnz .LBB5_93
	s_branch .LBB5_119
.LBB5_89:
	v_lshrrev_b32_e32 v0, 4, v0
	v_add_u32_e32 v24, 1, v0
	v_and_b32_e32 v25, 0x1ffffffe, v24
	v_or_b32_e32 v9, 16, v8
	s_mov_b32 s0, s2
	s_mov_b32 s1, s2
	;; [unrolled: 1-line block ×4, first 2 shown]
	v_lshlrev_b32_e32 v23, 2, v22
	v_lshlrev_b32_e32 v0, 4, v8
	v_mov_b32_e32 v11, v10
	v_add3_u32 v22, v23, v0, 0
	s_mov_b64 s[8:9], 0
	v_max_f32_e64 v26, s1, s1
	v_max_f32_e64 v27, s0, s0
	;; [unrolled: 1-line block ×4, first 2 shown]
	s_mov_b32 s12, 0x7700000
	s_mov_b32 s13, 0x407ffff
	;; [unrolled: 1-line block ×4, first 2 shown]
	v_mov_b32_e32 v30, 0x7f000000
	v_mov_b32_e32 v31, 0x7f
	s_movk_i32 s15, 0x80
	v_mov_b32_e32 v15, 0
	v_mov_b32_e32 v32, v25
	v_pk_mov_b32 v[16:17], v[8:9], v[8:9] op_sel:[0,1]
.LBB5_90:                               ; =>This Inner Loop Header: Depth=1
	ds_read_b128 v[4:7], v22
	ds_read_b128 v[0:3], v22 offset:256
	v_add_u32_e32 v32, -2, v32
	v_add_u32_e32 v22, 0x200, v22
	s_waitcnt lgkmcnt(1)
	v_div_scale_f32 v9, s[0:1], v10, v10, v4
	v_rcp_f32_e32 v14, v9
	v_fma_f32 v18, -v9, v14, 1.0
	v_fmac_f32_e32 v14, v18, v14
	v_div_scale_f32 v18, vcc, v4, v10, v4
	v_mul_f32_e32 v19, v18, v14
	v_fma_f32 v33, -v9, v19, v18
	v_fmac_f32_e32 v19, v33, v14
	v_fma_f32 v9, -v9, v19, v18
	v_div_fmas_f32 v9, v9, v14, v19
	v_div_fixup_f32 v4, v9, v10, v4
	s_waitcnt lgkmcnt(0)
	v_div_scale_f32 v9, s[0:1], v11, v11, v0
	v_rcp_f32_e32 v14, v9
	v_max_f32_e32 v4, v4, v27
	v_min_f32_e32 v4, v4, v28
	v_fma_f32 v18, -v9, v14, 1.0
	v_fmac_f32_e32 v14, v18, v14
	v_div_scale_f32 v18, vcc, v0, v11, v0
	v_mul_f32_e32 v19, v18, v14
	v_fma_f32 v33, -v9, v19, v18
	v_fmac_f32_e32 v19, v33, v14
	v_fma_f32 v9, -v9, v19, v18
	v_div_fmas_f32 v9, v9, v14, v19
	v_div_fixup_f32 v0, v9, v11, v0
	v_max_f32_e32 v0, v0, v26
	v_min_f32_e32 v0, v0, v29
	v_and_b32_e32 v18, 0x7fffffff, v4
	v_and_b32_e32 v19, 0x7fffffff, v0
	v_add_u32_e32 v14, 0xc3800000, v18
	v_add_u32_e32 v9, 0xc3800000, v19
	v_cmp_gt_u32_e32 vcc, s12, v14
	v_bfe_u32 v14, v0, 20, 1
	v_cmp_gt_u32_e64 s[0:1], s12, v9
	v_bfe_u32 v9, v4, 20, 1
	v_add3_u32 v14, v0, v14, s13
	v_add3_u32 v9, v4, v9, s13
	v_lshrrev_b32_e32 v14, 20, v14
	v_pk_add_f32 v[34:35], v[18:19], s[10:11] op_sel_hi:[1,0]
	v_lshrrev_b32_e32 v9, 20, v9
	v_cndmask_b32_e64 v14, v35, v14, s[0:1]
	v_lshrrev_b32_e32 v33, 24, v0
	v_div_scale_f32 v0, s[0:1], v10, v10, v5
	v_cndmask_b32_e32 v9, v34, v9, vcc
	v_lshrrev_b32_e32 v34, 24, v4
	v_rcp_f32_e32 v4, v0
	v_and_b32_e32 v35, 0xff, v14
	v_and_b32_e32 v9, 0xff, v9
	v_fma_f32 v14, -v0, v4, 1.0
	v_fmac_f32_e32 v4, v14, v4
	v_div_scale_f32 v14, vcc, v5, v10, v5
	v_mul_f32_e32 v36, v14, v4
	v_fma_f32 v37, -v0, v36, v14
	v_fmac_f32_e32 v36, v37, v4
	v_fma_f32 v0, -v0, v36, v14
	v_div_fmas_f32 v0, v0, v4, v36
	v_div_scale_f32 v4, s[0:1], v11, v11, v1
	v_div_fixup_f32 v0, v0, v10, v5
	v_rcp_f32_e32 v5, v4
	v_max_f32_e32 v0, v0, v27
	v_fma_f32 v14, -v4, v5, 1.0
	v_fmac_f32_e32 v5, v14, v5
	v_div_scale_f32 v14, vcc, v1, v11, v1
	v_mul_f32_e32 v36, v14, v5
	v_fma_f32 v37, -v4, v36, v14
	v_fmac_f32_e32 v36, v37, v5
	v_fma_f32 v4, -v4, v36, v14
	v_div_fmas_f32 v4, v4, v5, v36
	v_div_fixup_f32 v1, v4, v11, v1
	v_max_f32_e32 v1, v1, v26
	v_min_f32_e32 v14, v0, v28
	v_min_f32_e32 v38, v1, v29
	v_and_b32_e32 v1, 0x7fffffff, v38
	v_and_b32_e32 v0, 0x7fffffff, v14
	v_add_u32_e32 v4, 0xc3800000, v0
	v_add_u32_e32 v5, 0xc3800000, v1
	v_cmp_gt_u32_e32 vcc, s12, v5
	v_cmp_gt_u32_e64 s[0:1], s12, v4
	v_bfe_u32 v4, v38, 20, 1
	v_bfe_u32 v5, v14, 20, 1
	v_add3_u32 v5, v14, v5, s13
	v_add3_u32 v4, v38, v4, s13
	v_lshrrev_b32_e32 v36, 20, v4
	v_lshrrev_b32_e32 v37, 20, v5
	v_pk_add_f32 v[4:5], v[0:1], s[10:11] op_sel_hi:[1,0]
	v_cndmask_b32_e64 v4, v4, v37, s[0:1]
	v_cndmask_b32_e32 v5, v5, v36, vcc
	v_and_b32_e32 v39, 0xff, v4
	v_div_scale_f32 v4, s[0:1], v10, v10, v6
	v_and_b32_e32 v36, 0xff, v5
	v_rcp_f32_e32 v5, v4
	v_lshrrev_b32_e32 v37, 24, v14
	v_lshrrev_b32_e32 v38, 24, v38
	v_fma_f32 v14, -v4, v5, 1.0
	v_fmac_f32_e32 v5, v14, v5
	v_div_scale_f32 v14, vcc, v6, v10, v6
	v_mul_f32_e32 v40, v14, v5
	v_fma_f32 v41, -v4, v40, v14
	v_fmac_f32_e32 v40, v41, v5
	v_fma_f32 v4, -v4, v40, v14
	v_div_fmas_f32 v4, v4, v5, v40
	v_div_scale_f32 v5, s[0:1], v11, v11, v2
	v_div_fixup_f32 v4, v4, v10, v6
	v_rcp_f32_e32 v6, v5
	v_max_f32_e32 v4, v4, v27
	v_fma_f32 v14, -v5, v6, 1.0
	v_fmac_f32_e32 v6, v14, v6
	v_div_scale_f32 v14, vcc, v2, v11, v2
	v_mul_f32_e32 v40, v14, v6
	v_fma_f32 v41, -v5, v40, v14
	v_fmac_f32_e32 v40, v41, v6
	v_fma_f32 v5, -v5, v40, v14
	v_div_fmas_f32 v5, v5, v6, v40
	v_div_fixup_f32 v2, v5, v11, v2
	v_max_f32_e32 v2, v2, v26
	v_min_f32_e32 v14, v4, v28
	v_min_f32_e32 v2, v2, v29
	v_and_b32_e32 v5, 0x7fffffff, v2
	v_and_b32_e32 v4, 0x7fffffff, v14
	v_add_u32_e32 v6, 0xc3800000, v5
	v_add_u32_e32 v40, 0xc3800000, v4
	v_cmp_gt_u32_e32 vcc, s12, v40
	v_cmp_gt_u32_e64 s[0:1], s12, v6
	v_bfe_u32 v6, v14, 20, 1
	v_bfe_u32 v40, v2, 20, 1
	v_add3_u32 v40, v2, v40, s13
	v_add3_u32 v6, v14, v6, s13
	v_lshrrev_b32_e32 v6, 20, v6
	v_lshrrev_b32_e32 v42, 20, v40
	v_pk_add_f32 v[40:41], v[4:5], s[10:11] op_sel_hi:[1,0]
	v_cndmask_b32_e64 v41, v41, v42, s[0:1]
	v_cndmask_b32_e32 v6, v40, v6, vcc
	v_lshrrev_b32_e32 v40, 24, v2
	v_div_scale_f32 v2, s[0:1], v10, v10, v7
	v_and_b32_e32 v42, 0xff, v41
	v_lshrrev_b32_e32 v41, 24, v14
	v_rcp_f32_e32 v14, v2
	v_and_b32_e32 v6, 0xff, v6
	v_fma_f32 v43, -v2, v14, 1.0
	v_fmac_f32_e32 v14, v43, v14
	v_div_scale_f32 v43, vcc, v7, v10, v7
	v_mul_f32_e32 v44, v43, v14
	v_fma_f32 v45, -v2, v44, v43
	v_fmac_f32_e32 v44, v45, v14
	v_fma_f32 v2, -v2, v44, v43
	v_div_fmas_f32 v2, v2, v14, v44
	v_div_fixup_f32 v2, v2, v10, v7
	v_div_scale_f32 v7, s[0:1], v11, v11, v3
	v_rcp_f32_e32 v14, v7
	v_max_f32_e32 v2, v2, v27
	v_fma_f32 v43, -v7, v14, 1.0
	v_fmac_f32_e32 v14, v43, v14
	v_div_scale_f32 v43, vcc, v3, v11, v3
	v_mul_f32_e32 v44, v43, v14
	v_fma_f32 v45, -v7, v44, v43
	v_fmac_f32_e32 v44, v45, v14
	v_fma_f32 v7, -v7, v44, v43
	v_div_fmas_f32 v7, v7, v14, v44
	v_div_fixup_f32 v3, v7, v11, v3
	v_max_f32_e32 v3, v3, v26
	v_min_f32_e32 v7, v2, v28
	v_min_f32_e32 v43, v3, v29
	v_and_b32_e32 v3, 0x7fffffff, v43
	v_and_b32_e32 v2, 0x7fffffff, v7
	v_add_u32_e32 v14, 0xc3800000, v3
	v_add_u32_e32 v44, 0xc3800000, v2
	v_cmp_gt_u32_e32 vcc, s12, v44
	v_cmp_gt_u32_e64 s[0:1], s12, v14
	v_bfe_u32 v14, v7, 20, 1
	v_bfe_u32 v44, v43, 20, 1
	v_add3_u32 v44, v43, v44, s13
	v_add3_u32 v14, v7, v14, s13
	v_lshrrev_b32_e32 v14, 20, v14
	v_lshrrev_b32_e32 v46, 20, v44
	v_pk_add_f32 v[44:45], v[2:3], s[10:11] op_sel_hi:[1,0]
	v_cndmask_b32_e32 v14, v44, v14, vcc
	v_cndmask_b32_e64 v45, v45, v46, s[0:1]
	v_lshlrev_b32_e32 v48, 24, v14
	v_mov_b32_e32 v14, v16
	v_lshlrev_b32_e32 v49, 24, v45
	v_lshlrev_b64 v[44:45], 2, v[14:15]
	v_add_co_u32_e32 v44, vcc, v20, v44
	v_mov_b32_e32 v14, v17
	v_addc_co_u32_e32 v45, vcc, v21, v45, vcc
	v_lshlrev_b64 v[46:47], 2, v[14:15]
	v_add_co_u32_e32 v46, vcc, v20, v46
	v_addc_co_u32_e32 v47, vcc, v21, v47, vcc
	v_cmp_gt_u32_e32 vcc, s14, v3
	v_cndmask_b32_e32 v3, v30, v49, vcc
	v_cmp_gt_u32_e32 vcc, s14, v2
	v_cndmask_b32_e32 v2, v30, v48, vcc
	;; [unrolled: 2-line block ×4, first 2 shown]
	v_cmp_gt_u32_e32 vcc, s14, v0
	v_and_or_b32 v4, v41, s15, v4
	v_cndmask_b32_e32 v0, v31, v39, vcc
	v_cmp_gt_u32_e32 vcc, s14, v1
	v_and_b32_e32 v7, 0x80000000, v7
	v_and_or_b32 v5, v40, s15, v5
	v_lshlrev_b32_e32 v4, 16, v4
	v_cndmask_b32_e32 v1, v31, v36, vcc
	v_cmp_gt_u32_e32 vcc, s14, v19
	v_and_b32_e32 v14, 0x80000000, v43
	v_lshlrev_b32_e32 v5, 16, v5
	v_or3_b32 v2, v7, v2, v4
	v_cndmask_b32_e32 v4, v31, v35, vcc
	v_cmp_gt_u32_e32 vcc, s14, v18
	v_or3_b32 v3, v14, v3, v5
	v_and_or_b32 v0, v37, s15, v0
	v_cndmask_b32_e32 v5, v31, v9, vcc
	v_and_or_b32 v1, v38, s15, v1
	v_lshlrev_b32_e32 v0, 8, v0
	v_and_or_b32 v5, v34, s15, v5
	v_cmp_eq_u32_e32 vcc, 0, v32
	v_lshlrev_b32_e32 v1, 8, v1
	v_and_or_b32 v4, v33, s15, v4
	v_or3_b32 v0, v2, v0, v5
	v_add_u32_e32 v17, 32, v17
	v_add_u32_e32 v16, 32, v16
	s_or_b64 s[8:9], vcc, s[8:9]
	v_or3_b32 v1, v3, v1, v4
	global_store_dword v[44:45], v0, off
	global_store_dword v[46:47], v1, off
	s_andn2_b64 exec, exec, s[8:9]
	s_cbranch_execnz .LBB5_90
; %bb.91:
	s_or_b64 exec, exec, s[8:9]
	v_cmp_ne_u32_e32 vcc, v24, v25
	v_lshl_or_b32 v8, v25, 4, v8
	s_and_b64 s[0:1], vcc, exec
	s_andn2_saveexec_b64 s[4:5], s[4:5]
	s_cbranch_execz .LBB5_88
.LBB5_92:
	s_or_b64 s[0:1], s[0:1], exec
	s_or_b64 exec, exec, s[4:5]
	s_and_b64 exec, exec, s[0:1]
	s_cbranch_execz .LBB5_119
.LBB5_93:
	v_lshlrev_b32_e32 v0, 4, v8
	v_mov_b32_e32 v9, 0
	v_add3_u32 v6, v23, v0, 0
	v_lshlrev_b64 v[0:1], 2, v[8:9]
	v_add_co_u32_e32 v0, vcc, v12, v0
	v_addc_co_u32_e32 v1, vcc, v13, v1, vcc
	v_mov_b32_e32 v2, s7
	v_add_co_u32_e32 v4, vcc, s6, v0
	v_addc_co_u32_e32 v5, vcc, v2, v1, vcc
	s_mov_b64 s[0:1], 0
	v_max_f32_e64 v7, s2, s2
	v_max_f32_e64 v9, s3, s3
	s_mov_b32 s6, 0x43f00000
	s_mov_b32 s7, 0x3c7fffff
	;; [unrolled: 1-line block ×4, first 2 shown]
	s_movk_i32 s10, 0x80
	s_movk_i32 s12, 0xff
	s_branch .LBB5_96
.LBB5_94:                               ;   in Loop: Header=BB5_96 Depth=1
	s_or_b64 exec, exec, s[4:5]
.LBB5_95:                               ;   in Loop: Header=BB5_96 Depth=1
	s_or_b64 exec, exec, s[2:3]
	v_and_b32_sdwa v2, v2, s10 dst_sel:DWORD dst_unused:UNUSED_PAD src0_sel:BYTE_3 src1_sel:DWORD
	v_and_or_b32 v2, v13, s12, v2
	v_and_b32_sdwa v1, v1, s10 dst_sel:DWORD dst_unused:UNUSED_PAD src0_sel:BYTE_3 src1_sel:DWORD
	v_lshlrev_b32_e32 v14, 24, v14
	v_and_b32_e32 v3, 0x80000000, v3
	v_lshlrev_b32_e32 v2, 16, v2
	v_lshrrev_b32_e32 v0, 24, v0
	v_or3_b32 v2, v3, v14, v2
	v_and_or_b32 v1, v11, s12, v1
	v_and_b32_e32 v3, 0xff, v12
	v_lshlrev_b32_e32 v1, 8, v1
	v_and_or_b32 v0, v0, s10, v3
	v_add_u32_e32 v8, 16, v8
	v_or3_b32 v0, v2, v1, v0
	v_cmp_le_i32_e32 vcc, s11, v8
	global_store_dword v[4:5], v0, off
	s_or_b64 s[0:1], vcc, s[0:1]
	v_add_co_u32_e32 v4, vcc, 64, v4
	v_add_u32_e32 v6, 0x100, v6
	v_addc_co_u32_e32 v5, vcc, 0, v5, vcc
	s_andn2_b64 exec, exec, s[0:1]
	s_cbranch_execz .LBB5_119
.LBB5_96:                               ; =>This Inner Loop Header: Depth=1
	ds_read_b128 v[0:3], v6
	v_mov_b32_e32 v11, 0x7f
	s_waitcnt lgkmcnt(0)
	v_div_scale_f32 v12, s[2:3], v10, v10, v0
	v_rcp_f32_e32 v13, v12
	v_div_scale_f32 v14, vcc, v0, v10, v0
	v_fma_f32 v15, -v12, v13, 1.0
	v_fmac_f32_e32 v13, v15, v13
	v_mul_f32_e32 v15, v14, v13
	v_fma_f32 v16, -v12, v15, v14
	v_fmac_f32_e32 v15, v16, v13
	v_fma_f32 v12, -v12, v15, v14
	v_div_fmas_f32 v12, v12, v13, v15
	v_div_fixup_f32 v0, v12, v10, v0
	v_max_f32_e32 v0, v0, v7
	v_min_f32_e32 v0, v0, v9
	v_and_b32_e32 v13, 0x7fffffff, v0
	v_cmp_gt_u32_e32 vcc, s6, v13
	v_mov_b32_e32 v12, 0x7f
	s_and_saveexec_b64 s[2:3], vcc
	s_cbranch_execz .LBB5_102
; %bb.97:                               ;   in Loop: Header=BB5_96 Depth=1
	v_cmp_lt_u32_e32 vcc, s7, v13
                                        ; implicit-def: $vgpr12
	s_and_saveexec_b64 s[4:5], vcc
	s_xor_b64 s[4:5], exec, s[4:5]
; %bb.98:                               ;   in Loop: Header=BB5_96 Depth=1
	v_bfe_u32 v12, v0, 20, 1
	v_add3_u32 v12, v0, v12, s8
	v_lshrrev_b32_e32 v12, 20, v12
; %bb.99:                               ;   in Loop: Header=BB5_96 Depth=1
	s_andn2_saveexec_b64 s[4:5], s[4:5]
; %bb.100:                              ;   in Loop: Header=BB5_96 Depth=1
	v_add_f32_e64 v12, |v0|, s9
; %bb.101:                              ;   in Loop: Header=BB5_96 Depth=1
	s_or_b64 exec, exec, s[4:5]
.LBB5_102:                              ;   in Loop: Header=BB5_96 Depth=1
	s_or_b64 exec, exec, s[2:3]
	v_div_scale_f32 v13, s[2:3], v10, v10, v1
	v_rcp_f32_e32 v14, v13
	v_div_scale_f32 v15, vcc, v1, v10, v1
	v_fma_f32 v16, -v13, v14, 1.0
	v_fmac_f32_e32 v14, v16, v14
	v_mul_f32_e32 v16, v15, v14
	v_fma_f32 v17, -v13, v16, v15
	v_fmac_f32_e32 v16, v17, v14
	v_fma_f32 v13, -v13, v16, v15
	v_div_fmas_f32 v13, v13, v14, v16
	v_div_fixup_f32 v1, v13, v10, v1
	v_max_f32_e32 v1, v1, v7
	v_min_f32_e32 v1, v1, v9
	v_and_b32_e32 v13, 0x7fffffff, v1
	v_cmp_gt_u32_e32 vcc, s6, v13
	s_and_saveexec_b64 s[2:3], vcc
	s_cbranch_execz .LBB5_108
; %bb.103:                              ;   in Loop: Header=BB5_96 Depth=1
	v_cmp_lt_u32_e32 vcc, s7, v13
                                        ; implicit-def: $vgpr11
	s_and_saveexec_b64 s[4:5], vcc
	s_xor_b64 s[4:5], exec, s[4:5]
; %bb.104:                              ;   in Loop: Header=BB5_96 Depth=1
	v_bfe_u32 v11, v1, 20, 1
	v_add3_u32 v11, v1, v11, s8
	v_lshrrev_b32_e32 v11, 20, v11
; %bb.105:                              ;   in Loop: Header=BB5_96 Depth=1
	s_andn2_saveexec_b64 s[4:5], s[4:5]
; %bb.106:                              ;   in Loop: Header=BB5_96 Depth=1
	v_add_f32_e64 v11, |v1|, s9
; %bb.107:                              ;   in Loop: Header=BB5_96 Depth=1
	s_or_b64 exec, exec, s[4:5]
.LBB5_108:                              ;   in Loop: Header=BB5_96 Depth=1
	s_or_b64 exec, exec, s[2:3]
	v_div_scale_f32 v13, s[2:3], v10, v10, v2
	v_rcp_f32_e32 v14, v13
	v_div_scale_f32 v15, vcc, v2, v10, v2
	v_fma_f32 v16, -v13, v14, 1.0
	v_fmac_f32_e32 v14, v16, v14
	v_mul_f32_e32 v16, v15, v14
	v_fma_f32 v17, -v13, v16, v15
	v_fmac_f32_e32 v16, v17, v14
	v_fma_f32 v13, -v13, v16, v15
	v_div_fmas_f32 v13, v13, v14, v16
	v_div_fixup_f32 v2, v13, v10, v2
	v_max_f32_e32 v2, v2, v7
	v_min_f32_e32 v2, v2, v9
	v_and_b32_e32 v15, 0x7fffffff, v2
	v_cmp_gt_u32_e32 vcc, s6, v15
	v_mov_b32_e32 v14, 0x7f
	v_mov_b32_e32 v13, 0x7f
	s_and_saveexec_b64 s[2:3], vcc
	s_cbranch_execz .LBB5_114
; %bb.109:                              ;   in Loop: Header=BB5_96 Depth=1
	v_cmp_lt_u32_e32 vcc, s7, v15
                                        ; implicit-def: $vgpr13
	s_and_saveexec_b64 s[4:5], vcc
	s_xor_b64 s[4:5], exec, s[4:5]
; %bb.110:                              ;   in Loop: Header=BB5_96 Depth=1
	v_bfe_u32 v13, v2, 20, 1
	v_add3_u32 v13, v2, v13, s8
	v_lshrrev_b32_e32 v13, 20, v13
; %bb.111:                              ;   in Loop: Header=BB5_96 Depth=1
	s_andn2_saveexec_b64 s[4:5], s[4:5]
; %bb.112:                              ;   in Loop: Header=BB5_96 Depth=1
	v_add_f32_e64 v13, |v2|, s9
; %bb.113:                              ;   in Loop: Header=BB5_96 Depth=1
	s_or_b64 exec, exec, s[4:5]
.LBB5_114:                              ;   in Loop: Header=BB5_96 Depth=1
	s_or_b64 exec, exec, s[2:3]
	v_div_scale_f32 v15, s[2:3], v10, v10, v3
	v_rcp_f32_e32 v16, v15
	v_div_scale_f32 v17, vcc, v3, v10, v3
	v_fma_f32 v18, -v15, v16, 1.0
	v_fmac_f32_e32 v16, v18, v16
	v_mul_f32_e32 v18, v17, v16
	v_fma_f32 v19, -v15, v18, v17
	v_fmac_f32_e32 v18, v19, v16
	v_fma_f32 v15, -v15, v18, v17
	v_div_fmas_f32 v15, v15, v16, v18
	v_div_fixup_f32 v3, v15, v10, v3
	v_max_f32_e32 v3, v3, v7
	v_min_f32_e32 v3, v3, v9
	v_and_b32_e32 v15, 0x7fffffff, v3
	v_cmp_gt_u32_e32 vcc, s6, v15
	s_and_saveexec_b64 s[2:3], vcc
	s_cbranch_execz .LBB5_95
; %bb.115:                              ;   in Loop: Header=BB5_96 Depth=1
	v_cmp_lt_u32_e32 vcc, s7, v15
                                        ; implicit-def: $vgpr14
	s_and_saveexec_b64 s[4:5], vcc
	s_xor_b64 s[4:5], exec, s[4:5]
; %bb.116:                              ;   in Loop: Header=BB5_96 Depth=1
	v_bfe_u32 v14, v3, 20, 1
	v_add3_u32 v14, v3, v14, s8
	v_lshrrev_b32_e32 v14, 20, v14
; %bb.117:                              ;   in Loop: Header=BB5_96 Depth=1
	s_andn2_saveexec_b64 s[4:5], s[4:5]
	s_cbranch_execz .LBB5_94
; %bb.118:                              ;   in Loop: Header=BB5_96 Depth=1
	v_add_f32_e64 v14, |v3|, s9
	s_branch .LBB5_94
.LBB5_119:
	s_endpgm
	.section	.rodata,"a",@progbits
	.p2align	6, 0x0
	.amdhsa_kernel _Z33per_token_group_quant_8bit_kernelIfN3c1013Float8_e4m3fnELb1ELb0EfEvPKT_PvPT3_iiifffii
		.amdhsa_group_segment_fixed_size 0
		.amdhsa_private_segment_fixed_size 0
		.amdhsa_kernarg_size 56
		.amdhsa_user_sgpr_count 6
		.amdhsa_user_sgpr_private_segment_buffer 1
		.amdhsa_user_sgpr_dispatch_ptr 0
		.amdhsa_user_sgpr_queue_ptr 0
		.amdhsa_user_sgpr_kernarg_segment_ptr 1
		.amdhsa_user_sgpr_dispatch_id 0
		.amdhsa_user_sgpr_flat_scratch_init 0
		.amdhsa_user_sgpr_kernarg_preload_length 0
		.amdhsa_user_sgpr_kernarg_preload_offset 0
		.amdhsa_user_sgpr_private_segment_size 0
		.amdhsa_uses_dynamic_stack 0
		.amdhsa_system_sgpr_private_segment_wavefront_offset 0
		.amdhsa_system_sgpr_workgroup_id_x 1
		.amdhsa_system_sgpr_workgroup_id_y 0
		.amdhsa_system_sgpr_workgroup_id_z 0
		.amdhsa_system_sgpr_workgroup_info 0
		.amdhsa_system_vgpr_workitem_id 0
		.amdhsa_next_free_vgpr 56
		.amdhsa_next_free_sgpr 21
		.amdhsa_accum_offset 56
		.amdhsa_reserve_vcc 1
		.amdhsa_reserve_flat_scratch 0
		.amdhsa_float_round_mode_32 0
		.amdhsa_float_round_mode_16_64 0
		.amdhsa_float_denorm_mode_32 3
		.amdhsa_float_denorm_mode_16_64 3
		.amdhsa_dx10_clamp 1
		.amdhsa_ieee_mode 1
		.amdhsa_fp16_overflow 0
		.amdhsa_tg_split 0
		.amdhsa_exception_fp_ieee_invalid_op 0
		.amdhsa_exception_fp_denorm_src 0
		.amdhsa_exception_fp_ieee_div_zero 0
		.amdhsa_exception_fp_ieee_overflow 0
		.amdhsa_exception_fp_ieee_underflow 0
		.amdhsa_exception_fp_ieee_inexact 0
		.amdhsa_exception_int_div_zero 0
	.end_amdhsa_kernel
	.section	.text._Z33per_token_group_quant_8bit_kernelIfN3c1013Float8_e4m3fnELb1ELb0EfEvPKT_PvPT3_iiifffii,"axG",@progbits,_Z33per_token_group_quant_8bit_kernelIfN3c1013Float8_e4m3fnELb1ELb0EfEvPKT_PvPT3_iiifffii,comdat
.Lfunc_end5:
	.size	_Z33per_token_group_quant_8bit_kernelIfN3c1013Float8_e4m3fnELb1ELb0EfEvPKT_PvPT3_iiifffii, .Lfunc_end5-_Z33per_token_group_quant_8bit_kernelIfN3c1013Float8_e4m3fnELb1ELb0EfEvPKT_PvPT3_iiifffii
                                        ; -- End function
	.section	.AMDGPU.csdata,"",@progbits
; Kernel info:
; codeLenInByte = 8548
; NumSgprs: 25
; NumVgprs: 56
; NumAgprs: 0
; TotalNumVgprs: 56
; ScratchSize: 0
; MemoryBound: 0
; FloatMode: 240
; IeeeMode: 1
; LDSByteSize: 0 bytes/workgroup (compile time only)
; SGPRBlocks: 3
; VGPRBlocks: 6
; NumSGPRsForWavesPerEU: 25
; NumVGPRsForWavesPerEU: 56
; AccumOffset: 56
; Occupancy: 8
; WaveLimiterHint : 0
; COMPUTE_PGM_RSRC2:SCRATCH_EN: 0
; COMPUTE_PGM_RSRC2:USER_SGPR: 6
; COMPUTE_PGM_RSRC2:TRAP_HANDLER: 0
; COMPUTE_PGM_RSRC2:TGID_X_EN: 1
; COMPUTE_PGM_RSRC2:TGID_Y_EN: 0
; COMPUTE_PGM_RSRC2:TGID_Z_EN: 0
; COMPUTE_PGM_RSRC2:TIDIG_COMP_CNT: 0
; COMPUTE_PGM_RSRC3_GFX90A:ACCUM_OFFSET: 13
; COMPUTE_PGM_RSRC3_GFX90A:TG_SPLIT: 0
	.section	.text._Z33per_token_group_quant_8bit_kernelIfN3c1013Float8_e4m3fnELb0ELb1EfEvPKT_PvPT3_iiifffii,"axG",@progbits,_Z33per_token_group_quant_8bit_kernelIfN3c1013Float8_e4m3fnELb0ELb1EfEvPKT_PvPT3_iiifffii,comdat
	.protected	_Z33per_token_group_quant_8bit_kernelIfN3c1013Float8_e4m3fnELb0ELb1EfEvPKT_PvPT3_iiifffii ; -- Begin function _Z33per_token_group_quant_8bit_kernelIfN3c1013Float8_e4m3fnELb0ELb1EfEvPKT_PvPT3_iiifffii
	.globl	_Z33per_token_group_quant_8bit_kernelIfN3c1013Float8_e4m3fnELb0ELb1EfEvPKT_PvPT3_iiifffii
	.p2align	8
	.type	_Z33per_token_group_quant_8bit_kernelIfN3c1013Float8_e4m3fnELb0ELb1EfEvPKT_PvPT3_iiifffii,@function
_Z33per_token_group_quant_8bit_kernelIfN3c1013Float8_e4m3fnELb0ELb1EfEvPKT_PvPT3_iiifffii: ; @_Z33per_token_group_quant_8bit_kernelIfN3c1013Float8_e4m3fnELb0ELb1EfEvPKT_PvPT3_iiifffii
; %bb.0:
	s_load_dword s16, s[4:5], 0x18
	s_load_dwordx4 s[0:3], s[4:5], 0x20
	s_load_dwordx2 s[10:11], s[4:5], 0x0
	v_lshrrev_b32_e32 v4, 4, v0
	v_and_b32_e32 v8, 15, v0
	s_waitcnt lgkmcnt(0)
	s_ashr_i32 s8, s16, 31
	s_mul_i32 s6, s6, s0
	v_add_co_u32_e32 v0, vcc, s6, v4
	v_addc_co_u32_e64 v1, s[6:7], 0, 0, vcc
	v_mul_lo_u32 v2, v1, s16
	v_mul_lo_u32 v3, v0, s8
	v_mad_u64_u32 v[12:13], s[6:7], v0, s16, 0
	v_add3_u32 v13, v13, v3, v2
	v_lshlrev_b64 v[2:3], 2, v[12:13]
	s_and_b32 s0, s16, 3
	v_mov_b32_e32 v6, s11
	v_add_co_u32_e32 v5, vcc, s10, v2
	s_cmp_eq_u32 s0, 0
	v_addc_co_u32_e32 v6, vcc, v6, v3, vcc
	v_mov_b32_e32 v11, 0
	v_and_b32_e32 v10, 15, v5
	s_cselect_b64 s[8:9], -1, 0
	s_cmp_lg_u32 s0, 0
	v_mul_lo_u32 v22, v4, s16
	v_cmp_ne_u64_e32 vcc, 0, v[10:11]
	s_cselect_b64 s[6:7], -1, 0
	v_lshl_add_u32 v9, v22, 2, 0
	s_or_b64 s[6:7], s[6:7], vcc
                                        ; implicit-def: $vgpr10
	s_and_saveexec_b64 s[12:13], s[6:7]
	s_xor_b64 s[6:7], exec, s[12:13]
	s_cbranch_execz .LBB6_12
; %bb.1:
	v_sub_u32_e32 v4, 0, v5
	v_bfe_u32 v4, v4, 2, 2
	v_min_i32_e32 v4, s16, v4
	v_cmp_gt_i32_e32 vcc, v4, v8
	v_mov_b32_e32 v10, s1
	s_and_saveexec_b64 s[12:13], vcc
	s_cbranch_execz .LBB6_3
; %bb.2:
	v_lshlrev_b32_e32 v7, 2, v8
	v_add_co_u32_e32 v10, vcc, v5, v7
	v_addc_co_u32_e32 v11, vcc, 0, v6, vcc
	global_load_dword v5, v[10:11], off
	v_max_f32_e64 v6, s1, s1
	v_add_u32_e32 v7, v9, v7
	s_waitcnt vmcnt(0)
	v_max_f32_e64 v10, |v5|, |v5|
	v_max_f32_e32 v10, v6, v10
	ds_write_b32 v7, v5
.LBB6_3:
	s_or_b64 exec, exec, s[12:13]
	v_sub_u32_e32 v11, s16, v4
	v_ashrrev_i32_e32 v6, 31, v11
	v_lshrrev_b32_e32 v6, 30, v6
	v_add_u32_e32 v6, v11, v6
	v_ashrrev_i32_e32 v5, 31, v4
	v_ashrrev_i32_e32 v14, 2, v6
	v_cmp_gt_i32_e32 vcc, v14, v8
	v_lshlrev_b32_e32 v15, 2, v4
	v_lshlrev_b64 v[4:5], 2, v[4:5]
	s_and_saveexec_b64 s[12:13], vcc
	s_cbranch_execz .LBB6_7
; %bb.4:
	v_lshlrev_b32_e32 v6, 4, v8
	v_lshl_add_u32 v7, v22, 2, v6
	v_add_co_u32_e32 v6, vcc, v2, v6
	v_add3_u32 v16, v7, v15, 0
	v_addc_co_u32_e32 v7, vcc, 0, v3, vcc
	v_add_co_u32_e32 v6, vcc, v6, v4
	v_addc_co_u32_e32 v7, vcc, v7, v5, vcc
	v_mov_b32_e32 v17, s11
	v_add_co_u32_e32 v6, vcc, s10, v6
	v_addc_co_u32_e32 v7, vcc, v7, v17, vcc
	v_add_co_u32_e32 v6, vcc, 8, v6
	v_addc_co_u32_e32 v7, vcc, 0, v7, vcc
	s_mov_b64 s[14:15], 0
	v_mov_b32_e32 v17, v8
.LBB6_5:                                ; =>This Inner Loop Header: Depth=1
	global_load_dwordx4 v[18:21], v[6:7], off offset:-8
	v_add_co_u32_e32 v6, vcc, 0x100, v6
	v_add_u32_e32 v17, 16, v17
	v_addc_co_u32_e32 v7, vcc, 0, v7, vcc
	v_cmp_ge_i32_e32 vcc, v17, v14
	s_or_b64 s[14:15], vcc, s[14:15]
	s_waitcnt vmcnt(0)
	v_max3_f32 v10, v10, |v18|, |v19|
	ds_write_b128 v16, v[18:21]
	v_add_u32_e32 v16, 0x100, v16
	v_max3_f32 v10, v10, |v20|, |v21|
	s_andn2_b64 exec, exec, s[14:15]
	s_cbranch_execnz .LBB6_5
; %bb.6:
	s_or_b64 exec, exec, s[14:15]
.LBB6_7:
	s_or_b64 exec, exec, s[12:13]
	v_lshl_add_u32 v6, v14, 2, v8
	v_cmp_lt_i32_e32 vcc, v6, v11
	s_and_saveexec_b64 s[12:13], vcc
	s_cbranch_execz .LBB6_11
; %bb.8:
	v_lshlrev_b32_e32 v7, 2, v22
	v_lshlrev_b32_e32 v14, 4, v14
	v_add3_u32 v7, v7, v14, v15
	v_lshlrev_b32_e32 v14, 2, v8
	v_add3_u32 v14, v7, v14, 0
	v_add_co_u32_e32 v4, vcc, v2, v4
	v_ashrrev_i32_e32 v7, 31, v6
	v_addc_co_u32_e32 v5, vcc, v3, v5, vcc
	v_lshlrev_b64 v[2:3], 2, v[6:7]
	v_add_co_u32_e32 v2, vcc, v4, v2
	v_addc_co_u32_e32 v3, vcc, v5, v3, vcc
	v_mov_b32_e32 v4, s11
	v_add_co_u32_e32 v2, vcc, s10, v2
	v_addc_co_u32_e32 v3, vcc, v4, v3, vcc
	s_mov_b64 s[14:15], 0
.LBB6_9:                                ; =>This Inner Loop Header: Depth=1
	global_load_dword v4, v[2:3], off
	v_add_co_u32_e32 v2, vcc, 64, v2
	v_add_u32_e32 v6, 16, v6
	v_addc_co_u32_e32 v3, vcc, 0, v3, vcc
	v_max_f32_e32 v5, v10, v10
	v_cmp_ge_i32_e32 vcc, v6, v11
	s_or_b64 s[14:15], vcc, s[14:15]
	s_waitcnt vmcnt(0)
	v_max_f32_e64 v7, |v4|, |v4|
	ds_write_b32 v14, v4
	v_add_u32_e32 v14, 64, v14
	v_max_f32_e32 v10, v5, v7
	s_andn2_b64 exec, exec, s[14:15]
	s_cbranch_execnz .LBB6_9
; %bb.10:
	s_or_b64 exec, exec, s[14:15]
.LBB6_11:
	s_or_b64 exec, exec, s[12:13]
                                        ; implicit-def: $vgpr2_vgpr3
.LBB6_12:
	s_or_saveexec_b64 s[12:13], s[6:7]
	s_load_dwordx2 s[6:7], s[4:5], 0x8
	s_xor_b64 exec, exec, s[12:13]
	s_cbranch_execz .LBB6_18
; %bb.13:
	s_ashr_i32 s0, s16, 2
	v_cmp_gt_i32_e32 vcc, s0, v8
	v_mov_b32_e32 v10, s1
	s_and_saveexec_b64 s[14:15], vcc
	s_cbranch_execz .LBB6_17
; %bb.14:
	v_lshlrev_b32_e32 v5, 4, v8
	v_add_co_u32_e32 v2, vcc, v2, v5
	v_lshlrev_b32_e32 v4, 2, v22
	v_addc_co_u32_e32 v3, vcc, 0, v3, vcc
	v_add3_u32 v4, v4, v5, 0
	v_mov_b32_e32 v5, s11
	v_add_co_u32_e32 v2, vcc, s10, v2
	v_addc_co_u32_e32 v3, vcc, v3, v5, vcc
	v_add_co_u32_e32 v2, vcc, 8, v2
	v_addc_co_u32_e32 v3, vcc, 0, v3, vcc
	s_mov_b64 s[10:11], 0
	v_mov_b32_e32 v10, s1
	v_mov_b32_e32 v5, v8
.LBB6_15:                               ; =>This Inner Loop Header: Depth=1
	global_load_dwordx4 v[14:17], v[2:3], off offset:-8
	v_add_co_u32_e32 v2, vcc, 0x100, v2
	v_add_u32_e32 v5, 16, v5
	v_addc_co_u32_e32 v3, vcc, 0, v3, vcc
	v_cmp_le_i32_e32 vcc, s0, v5
	s_or_b64 s[10:11], vcc, s[10:11]
	s_waitcnt vmcnt(0)
	v_max3_f32 v6, v10, |v14|, |v15|
	ds_write_b128 v4, v[14:17]
	v_add_u32_e32 v4, 0x100, v4
	v_max3_f32 v10, v6, |v16|, |v17|
	s_andn2_b64 exec, exec, s[10:11]
	s_cbranch_execnz .LBB6_15
; %bb.16:
	s_or_b64 exec, exec, s[10:11]
.LBB6_17:
	s_or_b64 exec, exec, s[14:15]
.LBB6_18:
	s_or_b64 exec, exec, s[12:13]
	v_mbcnt_lo_u32_b32 v2, -1, 0
	v_mbcnt_hi_u32_b32 v2, -1, v2
	v_and_b32_e32 v4, 0x70, v2
	v_xor_b32_e32 v3, 8, v2
	v_add_u32_e32 v4, 16, v4
	v_cmp_lt_i32_e32 vcc, v3, v4
	v_cndmask_b32_e32 v3, v2, v3, vcc
	v_lshlrev_b32_e32 v3, 2, v3
	ds_bpermute_b32 v3, v3, v10
	v_xor_b32_e32 v6, 4, v2
	v_max_f32_e32 v5, v10, v10
	v_cmp_lt_i32_e32 vcc, v6, v4
	s_waitcnt lgkmcnt(0)
	v_max_f32_e32 v3, v3, v3
	v_max_f32_e32 v3, v5, v3
	v_cndmask_b32_e32 v5, v2, v6, vcc
	v_lshlrev_b32_e32 v5, 2, v5
	ds_bpermute_b32 v5, v5, v3
	v_xor_b32_e32 v6, 2, v2
	v_cmp_lt_i32_e32 vcc, v6, v4
	s_waitcnt lgkmcnt(0)
	v_max_f32_e32 v5, v5, v5
	v_max_f32_e32 v3, v3, v5
	v_cndmask_b32_e32 v5, v2, v6, vcc
	v_lshlrev_b32_e32 v5, 2, v5
	ds_bpermute_b32 v5, v5, v3
	v_xor_b32_e32 v6, 1, v2
	v_cmp_lt_i32_e32 vcc, v6, v4
	v_cndmask_b32_e32 v2, v2, v6, vcc
	v_lshlrev_b32_e32 v2, 2, v2
	s_waitcnt lgkmcnt(0)
	v_max_f32_e32 v5, v5, v5
	v_max_f32_e32 v3, v3, v5
	ds_bpermute_b32 v2, v2, v3
	s_waitcnt lgkmcnt(0)
	v_max_f32_e32 v2, v2, v2
	v_max_f32_e32 v2, v3, v2
	v_div_scale_f32 v3, s[0:1], s3, s3, v2
	v_rcp_f32_e32 v4, v3
	v_div_scale_f32 v5, vcc, v2, s3, v2
	s_mov_b32 s0, 0x2edbe6ff
	v_fma_f32 v6, -v3, v4, 1.0
	v_fmac_f32_e32 v4, v6, v4
	v_mul_f32_e32 v6, v5, v4
	v_fma_f32 v7, -v3, v6, v5
	v_fmac_f32_e32 v6, v7, v4
	v_fma_f32 v3, -v3, v6, v5
	v_div_fmas_f32 v3, v3, v4, v6
	v_div_fixup_f32 v2, v3, s3, v2
	v_max_f32_e64 v2, |v2|, s0
	s_mov_b32 s0, 0x800000
	v_mov_b32_e32 v3, 0x4f800000
	v_cmp_gt_f32_e32 vcc, s0, v2
	v_cndmask_b32_e32 v3, 1.0, v3, vcc
	v_mul_f32_e32 v2, v2, v3
	v_log_f32_e32 v2, v2
	v_mov_b32_e32 v3, 0x42000000
	v_cndmask_b32_e32 v3, 0, v3, vcc
	s_mov_b32 s0, 0xc2fc0000
	v_sub_f32_e32 v2, v2, v3
	v_ceil_f32_e32 v2, v2
	v_mov_b32_e32 v3, 0x42800000
	v_cmp_gt_f32_e32 vcc, s0, v2
	v_cndmask_b32_e32 v3, 0, v3, vcc
	v_add_f32_e32 v2, v2, v3
	v_exp_f32_e32 v2, v2
	v_mov_b32_e32 v3, 0x1f800000
	v_cndmask_b32_e32 v3, 1.0, v3, vcc
	v_cmp_eq_u32_e32 vcc, 0, v8
	v_mul_f32_e32 v10, v2, v3
	s_and_saveexec_b64 s[0:1], vcc
	s_cbranch_execz .LBB6_20
; %bb.19:
	s_load_dwordx2 s[4:5], s[4:5], 0x10
	v_lshlrev_b64 v[0:1], 2, v[0:1]
	s_waitcnt lgkmcnt(0)
	v_mov_b32_e32 v2, s5
	v_add_co_u32_e32 v0, vcc, s4, v0
	v_addc_co_u32_e32 v1, vcc, v2, v1, vcc
	global_store_dword v[0:1], v10, off
.LBB6_20:
	s_or_b64 exec, exec, s[0:1]
	v_mov_b32_e32 v0, s7
	v_add_co_u32_e32 v20, vcc, s6, v12
	v_addc_co_u32_e32 v21, vcc, v0, v13, vcc
	v_and_b32_e32 v0, 15, v9
	v_mov_b32_e32 v1, 0
	v_cmp_ne_u64_e32 vcc, 0, v[0:1]
	s_xor_b64 s[0:1], s[8:9], -1
	s_or_b64 s[0:1], s[0:1], vcc
	s_barrier
	s_and_saveexec_b64 s[4:5], s[0:1]
	s_xor_b64 s[4:5], exec, s[4:5]
	s_cbranch_execz .LBB6_80
; %bb.21:
	v_sub_u32_e32 v0, 0, v9
	v_bfe_u32 v0, v0, 2, 2
	v_min_i32_e32 v14, s16, v0
	v_cmp_gt_i32_e32 vcc, v14, v8
	s_and_saveexec_b64 s[0:1], vcc
	s_cbranch_execz .LBB6_29
; %bb.22:
	v_lshl_add_u32 v0, v8, 2, v9
	ds_read_b32 v0, v0
	v_max_f32_e64 v1, s2, s2
	v_max_f32_e64 v2, s3, s3
	s_waitcnt lgkmcnt(0)
	v_div_scale_f32 v3, s[8:9], v10, v10, v0
	v_rcp_f32_e32 v4, v3
	v_div_scale_f32 v5, vcc, v0, v10, v0
	s_mov_b32 s8, 0x43f00000
	v_fma_f32 v6, -v3, v4, 1.0
	v_fmac_f32_e32 v4, v6, v4
	v_mul_f32_e32 v6, v5, v4
	v_fma_f32 v7, -v3, v6, v5
	v_fmac_f32_e32 v6, v7, v4
	v_fma_f32 v3, -v3, v6, v5
	v_div_fmas_f32 v3, v3, v4, v6
	v_div_fixup_f32 v0, v3, v10, v0
	v_max_f32_e32 v0, v0, v1
	v_min_f32_e32 v0, v0, v2
	v_and_b32_e32 v2, 0x7fffffff, v0
	v_cmp_gt_u32_e32 vcc, s8, v2
	v_mov_b32_e32 v1, 0x7f
	s_and_saveexec_b64 s[8:9], vcc
	s_cbranch_execz .LBB6_28
; %bb.23:
	s_mov_b32 s10, 0x3c7fffff
	v_cmp_lt_u32_e32 vcc, s10, v2
                                        ; implicit-def: $vgpr1
	s_and_saveexec_b64 s[10:11], vcc
	s_xor_b64 s[10:11], exec, s[10:11]
; %bb.24:
	v_bfe_u32 v1, v0, 20, 1
	s_mov_b32 s12, 0x407ffff
	v_add3_u32 v1, v0, v1, s12
	v_lshrrev_b32_e32 v1, 20, v1
; %bb.25:
	s_andn2_saveexec_b64 s[10:11], s[10:11]
; %bb.26:
	s_mov_b32 s12, 0x46800000
	v_add_f32_e64 v1, |v0|, s12
; %bb.27:
	s_or_b64 exec, exec, s[10:11]
.LBB6_28:
	s_or_b64 exec, exec, s[8:9]
	v_add_co_u32_e32 v2, vcc, v20, v8
	v_lshrrev_b32_e32 v0, 24, v0
	s_movk_i32 s8, 0x80
	v_addc_co_u32_e32 v3, vcc, 0, v21, vcc
	v_and_or_b32 v0, v0, s8, v1
	global_store_byte v[2:3], v0, off
.LBB6_29:
	s_or_b64 exec, exec, s[0:1]
	v_sub_u32_e32 v23, s16, v14
	v_ashrrev_i32_e32 v0, 31, v23
	v_lshrrev_b32_e32 v0, 30, v0
	v_ashrrev_i32_e32 v11, 31, v14
	v_add_co_u32_e32 v24, vcc, v20, v14
	v_add_u32_e32 v0, v23, v0
	v_addc_co_u32_e32 v25, vcc, v21, v11, vcc
	v_ashrrev_i32_e32 v26, 2, v0
	v_cmp_gt_i32_e32 vcc, v26, v8
	s_and_saveexec_b64 s[8:9], vcc
	s_cbranch_execz .LBB6_63
; %bb.30:
	v_xad_u32 v0, v8, -1, v26
	v_cmp_lt_u32_e32 vcc, 15, v0
	s_mov_b64 s[0:1], 0
                                        ; implicit-def: $vgpr4
                                        ; implicit-def: $vgpr27
                                        ; implicit-def: $vgpr28
	s_and_saveexec_b64 s[10:11], vcc
	s_xor_b64 s[10:11], exec, s[10:11]
	s_cbranch_execnz .LBB6_33
; %bb.31:
	s_andn2_saveexec_b64 s[10:11], s[10:11]
	s_cbranch_execnz .LBB6_36
.LBB6_32:
	s_or_b64 exec, exec, s[10:11]
	s_and_b64 exec, exec, s[0:1]
	s_cbranch_execnz .LBB6_37
	s_branch .LBB6_63
.LBB6_33:
	v_lshrrev_b32_e32 v0, 4, v0
	v_add_u32_e32 v29, 1, v0
	v_lshlrev_b32_e32 v27, 2, v22
	v_and_b32_e32 v30, 0x1ffffffe, v29
	v_or_b32_e32 v9, 16, v8
	s_mov_b32 s0, s2
	s_mov_b32 s1, s2
	;; [unrolled: 1-line block ×4, first 2 shown]
	v_lshl_add_u32 v0, v8, 4, v27
	v_lshlrev_b32_e32 v28, 2, v14
	v_mov_b32_e32 v15, v10
	v_add3_u32 v31, v0, v28, 0
	s_mov_b64 s[12:13], 0
	v_max_f32_e64 v32, s1, s1
	v_max_f32_e64 v33, s0, s0
	;; [unrolled: 1-line block ×4, first 2 shown]
	s_mov_b32 s15, 0x7700000
	s_mov_b32 s17, 0x407ffff
	;; [unrolled: 1-line block ×4, first 2 shown]
	v_mov_b32_e32 v36, 0x7f000000
	v_mov_b32_e32 v37, 0x7f
	s_movk_i32 s19, 0x80
	v_mov_b32_e32 v17, 0
	v_mov_b32_e32 v38, v30
	v_pk_mov_b32 v[18:19], v[8:9], v[8:9] op_sel:[0,1]
.LBB6_34:                               ; =>This Inner Loop Header: Depth=1
	ds_read_b128 v[4:7], v31
	ds_read_b128 v[0:3], v31 offset:256
	v_add_u32_e32 v38, -2, v38
	v_add_u32_e32 v31, 0x200, v31
	s_waitcnt lgkmcnt(1)
	v_div_scale_f32 v9, s[0:1], v10, v10, v4
	v_rcp_f32_e32 v16, v9
	v_fma_f32 v20, -v9, v16, 1.0
	v_fmac_f32_e32 v16, v20, v16
	v_div_scale_f32 v20, vcc, v4, v10, v4
	v_mul_f32_e32 v21, v20, v16
	v_fma_f32 v39, -v9, v21, v20
	v_fmac_f32_e32 v21, v39, v16
	v_fma_f32 v9, -v9, v21, v20
	v_div_fmas_f32 v9, v9, v16, v21
	v_div_fixup_f32 v4, v9, v10, v4
	s_waitcnt lgkmcnt(0)
	v_div_scale_f32 v9, s[0:1], v15, v15, v0
	v_rcp_f32_e32 v16, v9
	v_max_f32_e32 v4, v4, v33
	v_min_f32_e32 v4, v4, v34
	v_fma_f32 v20, -v9, v16, 1.0
	v_fmac_f32_e32 v16, v20, v16
	v_div_scale_f32 v20, vcc, v0, v15, v0
	v_mul_f32_e32 v21, v20, v16
	v_fma_f32 v39, -v9, v21, v20
	v_fmac_f32_e32 v21, v39, v16
	v_fma_f32 v9, -v9, v21, v20
	v_div_fmas_f32 v9, v9, v16, v21
	v_div_fixup_f32 v0, v9, v15, v0
	v_max_f32_e32 v0, v0, v32
	v_min_f32_e32 v0, v0, v35
	v_and_b32_e32 v20, 0x7fffffff, v4
	v_and_b32_e32 v21, 0x7fffffff, v0
	v_add_u32_e32 v16, 0xc3800000, v20
	v_add_u32_e32 v9, 0xc3800000, v21
	v_cmp_gt_u32_e32 vcc, s15, v16
	v_bfe_u32 v16, v0, 20, 1
	v_cmp_gt_u32_e64 s[0:1], s15, v9
	v_bfe_u32 v9, v4, 20, 1
	v_add3_u32 v16, v0, v16, s17
	v_add3_u32 v9, v4, v9, s17
	v_lshrrev_b32_e32 v16, 20, v16
	v_pk_add_f32 v[40:41], v[20:21], s[14:15] op_sel_hi:[1,0]
	v_lshrrev_b32_e32 v9, 20, v9
	v_cndmask_b32_e64 v16, v41, v16, s[0:1]
	v_lshrrev_b32_e32 v39, 24, v0
	v_div_scale_f32 v0, s[0:1], v10, v10, v5
	v_cndmask_b32_e32 v9, v40, v9, vcc
	v_lshrrev_b32_e32 v40, 24, v4
	v_rcp_f32_e32 v4, v0
	v_and_b32_e32 v41, 0xff, v16
	v_and_b32_e32 v9, 0xff, v9
	v_fma_f32 v16, -v0, v4, 1.0
	v_fmac_f32_e32 v4, v16, v4
	v_div_scale_f32 v16, vcc, v5, v10, v5
	v_mul_f32_e32 v42, v16, v4
	v_fma_f32 v43, -v0, v42, v16
	v_fmac_f32_e32 v42, v43, v4
	v_fma_f32 v0, -v0, v42, v16
	v_div_fmas_f32 v0, v0, v4, v42
	v_div_scale_f32 v4, s[0:1], v15, v15, v1
	v_div_fixup_f32 v0, v0, v10, v5
	v_rcp_f32_e32 v5, v4
	v_max_f32_e32 v0, v0, v33
	v_fma_f32 v16, -v4, v5, 1.0
	v_fmac_f32_e32 v5, v16, v5
	v_div_scale_f32 v16, vcc, v1, v15, v1
	v_mul_f32_e32 v42, v16, v5
	v_fma_f32 v43, -v4, v42, v16
	v_fmac_f32_e32 v42, v43, v5
	v_fma_f32 v4, -v4, v42, v16
	v_div_fmas_f32 v4, v4, v5, v42
	v_div_fixup_f32 v1, v4, v15, v1
	v_max_f32_e32 v1, v1, v32
	v_min_f32_e32 v16, v0, v34
	v_min_f32_e32 v44, v1, v35
	v_and_b32_e32 v1, 0x7fffffff, v44
	v_and_b32_e32 v0, 0x7fffffff, v16
	v_add_u32_e32 v4, 0xc3800000, v0
	v_add_u32_e32 v5, 0xc3800000, v1
	v_cmp_gt_u32_e32 vcc, s15, v5
	v_cmp_gt_u32_e64 s[0:1], s15, v4
	v_bfe_u32 v4, v44, 20, 1
	v_bfe_u32 v5, v16, 20, 1
	v_add3_u32 v5, v16, v5, s17
	v_add3_u32 v4, v44, v4, s17
	v_lshrrev_b32_e32 v42, 20, v4
	v_lshrrev_b32_e32 v43, 20, v5
	v_pk_add_f32 v[4:5], v[0:1], s[14:15] op_sel_hi:[1,0]
	v_cndmask_b32_e64 v4, v4, v43, s[0:1]
	v_cndmask_b32_e32 v5, v5, v42, vcc
	v_and_b32_e32 v45, 0xff, v4
	v_div_scale_f32 v4, s[0:1], v10, v10, v6
	v_and_b32_e32 v42, 0xff, v5
	v_rcp_f32_e32 v5, v4
	v_lshrrev_b32_e32 v43, 24, v16
	v_lshrrev_b32_e32 v44, 24, v44
	v_fma_f32 v16, -v4, v5, 1.0
	v_fmac_f32_e32 v5, v16, v5
	v_div_scale_f32 v16, vcc, v6, v10, v6
	v_mul_f32_e32 v46, v16, v5
	v_fma_f32 v47, -v4, v46, v16
	v_fmac_f32_e32 v46, v47, v5
	v_fma_f32 v4, -v4, v46, v16
	v_div_fmas_f32 v4, v4, v5, v46
	v_div_scale_f32 v5, s[0:1], v15, v15, v2
	v_div_fixup_f32 v4, v4, v10, v6
	v_rcp_f32_e32 v6, v5
	v_max_f32_e32 v4, v4, v33
	v_fma_f32 v16, -v5, v6, 1.0
	v_fmac_f32_e32 v6, v16, v6
	v_div_scale_f32 v16, vcc, v2, v15, v2
	v_mul_f32_e32 v46, v16, v6
	v_fma_f32 v47, -v5, v46, v16
	v_fmac_f32_e32 v46, v47, v6
	v_fma_f32 v5, -v5, v46, v16
	v_div_fmas_f32 v5, v5, v6, v46
	v_div_fixup_f32 v2, v5, v15, v2
	v_max_f32_e32 v2, v2, v32
	v_min_f32_e32 v16, v4, v34
	v_min_f32_e32 v2, v2, v35
	v_and_b32_e32 v5, 0x7fffffff, v2
	v_and_b32_e32 v4, 0x7fffffff, v16
	v_add_u32_e32 v6, 0xc3800000, v5
	v_add_u32_e32 v46, 0xc3800000, v4
	v_cmp_gt_u32_e32 vcc, s15, v46
	v_cmp_gt_u32_e64 s[0:1], s15, v6
	v_bfe_u32 v6, v16, 20, 1
	v_bfe_u32 v46, v2, 20, 1
	v_add3_u32 v46, v2, v46, s17
	v_add3_u32 v6, v16, v6, s17
	v_lshrrev_b32_e32 v6, 20, v6
	v_lshrrev_b32_e32 v48, 20, v46
	v_pk_add_f32 v[46:47], v[4:5], s[14:15] op_sel_hi:[1,0]
	v_cndmask_b32_e64 v47, v47, v48, s[0:1]
	v_cndmask_b32_e32 v6, v46, v6, vcc
	v_lshrrev_b32_e32 v46, 24, v2
	v_div_scale_f32 v2, s[0:1], v10, v10, v7
	v_and_b32_e32 v48, 0xff, v47
	v_lshrrev_b32_e32 v47, 24, v16
	v_rcp_f32_e32 v16, v2
	v_and_b32_e32 v6, 0xff, v6
	v_fma_f32 v49, -v2, v16, 1.0
	v_fmac_f32_e32 v16, v49, v16
	v_div_scale_f32 v49, vcc, v7, v10, v7
	v_mul_f32_e32 v50, v49, v16
	v_fma_f32 v51, -v2, v50, v49
	v_fmac_f32_e32 v50, v51, v16
	v_fma_f32 v2, -v2, v50, v49
	v_div_fmas_f32 v2, v2, v16, v50
	v_div_fixup_f32 v2, v2, v10, v7
	v_div_scale_f32 v7, s[0:1], v15, v15, v3
	v_rcp_f32_e32 v16, v7
	v_max_f32_e32 v2, v2, v33
	v_fma_f32 v49, -v7, v16, 1.0
	v_fmac_f32_e32 v16, v49, v16
	v_div_scale_f32 v49, vcc, v3, v15, v3
	v_mul_f32_e32 v50, v49, v16
	v_fma_f32 v51, -v7, v50, v49
	v_fmac_f32_e32 v50, v51, v16
	v_fma_f32 v7, -v7, v50, v49
	v_div_fmas_f32 v7, v7, v16, v50
	v_div_fixup_f32 v3, v7, v15, v3
	v_max_f32_e32 v3, v3, v32
	v_min_f32_e32 v7, v2, v34
	v_min_f32_e32 v49, v3, v35
	v_and_b32_e32 v3, 0x7fffffff, v49
	v_and_b32_e32 v2, 0x7fffffff, v7
	v_add_u32_e32 v16, 0xc3800000, v3
	v_add_u32_e32 v50, 0xc3800000, v2
	v_cmp_gt_u32_e32 vcc, s15, v50
	v_cmp_gt_u32_e64 s[0:1], s15, v16
	v_bfe_u32 v16, v7, 20, 1
	v_bfe_u32 v50, v49, 20, 1
	v_add3_u32 v50, v49, v50, s17
	v_add3_u32 v16, v7, v16, s17
	v_lshrrev_b32_e32 v16, 20, v16
	v_lshrrev_b32_e32 v52, 20, v50
	v_pk_add_f32 v[50:51], v[2:3], s[14:15] op_sel_hi:[1,0]
	v_cndmask_b32_e32 v16, v50, v16, vcc
	v_cndmask_b32_e64 v51, v51, v52, s[0:1]
	v_lshlrev_b32_e32 v54, 24, v16
	v_mov_b32_e32 v16, v18
	v_lshlrev_b32_e32 v55, 24, v51
	v_lshlrev_b64 v[50:51], 2, v[16:17]
	v_add_co_u32_e32 v50, vcc, v24, v50
	v_mov_b32_e32 v16, v19
	v_addc_co_u32_e32 v51, vcc, v25, v51, vcc
	v_lshlrev_b64 v[52:53], 2, v[16:17]
	v_add_co_u32_e32 v52, vcc, v24, v52
	v_addc_co_u32_e32 v53, vcc, v25, v53, vcc
	v_cmp_gt_u32_e32 vcc, s18, v3
	v_cndmask_b32_e32 v3, v36, v55, vcc
	v_cmp_gt_u32_e32 vcc, s18, v2
	v_cndmask_b32_e32 v2, v36, v54, vcc
	;; [unrolled: 2-line block ×4, first 2 shown]
	v_cmp_gt_u32_e32 vcc, s18, v0
	v_and_or_b32 v4, v47, s19, v4
	v_cndmask_b32_e32 v0, v37, v45, vcc
	v_cmp_gt_u32_e32 vcc, s18, v1
	v_and_b32_e32 v7, 0x80000000, v7
	v_and_or_b32 v5, v46, s19, v5
	v_lshlrev_b32_e32 v4, 16, v4
	v_cndmask_b32_e32 v1, v37, v42, vcc
	v_cmp_gt_u32_e32 vcc, s18, v21
	v_and_b32_e32 v16, 0x80000000, v49
	v_lshlrev_b32_e32 v5, 16, v5
	v_or3_b32 v2, v7, v2, v4
	v_cndmask_b32_e32 v4, v37, v41, vcc
	v_cmp_gt_u32_e32 vcc, s18, v20
	v_or3_b32 v3, v16, v3, v5
	v_and_or_b32 v0, v43, s19, v0
	v_cndmask_b32_e32 v5, v37, v9, vcc
	v_and_or_b32 v1, v44, s19, v1
	v_lshlrev_b32_e32 v0, 8, v0
	v_and_or_b32 v5, v40, s19, v5
	v_cmp_eq_u32_e32 vcc, 0, v38
	v_lshlrev_b32_e32 v1, 8, v1
	v_and_or_b32 v4, v39, s19, v4
	v_or3_b32 v0, v2, v0, v5
	v_add_u32_e32 v19, 32, v19
	v_add_u32_e32 v18, 32, v18
	s_or_b64 s[12:13], vcc, s[12:13]
	v_or3_b32 v1, v3, v1, v4
	global_store_dword v[50:51], v0, off
	global_store_dword v[52:53], v1, off
	s_andn2_b64 exec, exec, s[12:13]
	s_cbranch_execnz .LBB6_34
; %bb.35:
	s_or_b64 exec, exec, s[12:13]
	v_cmp_ne_u32_e32 vcc, v29, v30
	v_lshl_or_b32 v4, v30, 4, v8
	s_and_b64 s[0:1], vcc, exec
	s_andn2_saveexec_b64 s[10:11], s[10:11]
	s_cbranch_execz .LBB6_32
.LBB6_36:
	v_lshlrev_b32_e32 v27, 2, v22
	v_lshlrev_b32_e32 v28, 2, v14
	s_or_b64 s[0:1], s[0:1], exec
	v_mov_b32_e32 v4, v8
	s_or_b64 exec, exec, s[10:11]
	s_and_b64 exec, exec, s[0:1]
	s_cbranch_execz .LBB6_63
.LBB6_37:
	v_lshl_add_u32 v0, v4, 4, v27
	v_add_co_u32_e32 v2, vcc, v14, v12
	v_mov_b32_e32 v5, 0
	v_add3_u32 v9, v0, v28, 0
	v_addc_co_u32_e32 v3, vcc, v11, v13, vcc
	v_lshlrev_b64 v[0:1], 2, v[4:5]
	v_add_co_u32_e32 v0, vcc, v2, v0
	v_addc_co_u32_e32 v1, vcc, v3, v1, vcc
	v_mov_b32_e32 v2, s7
	v_add_co_u32_e32 v6, vcc, s6, v0
	v_addc_co_u32_e32 v7, vcc, v2, v1, vcc
	s_mov_b64 s[0:1], 0
	v_max_f32_e64 v5, s2, s2
	v_max_f32_e64 v15, s3, s3
	s_mov_b32 s14, 0x43f00000
	s_mov_b32 s15, 0x3c7fffff
	;; [unrolled: 1-line block ×4, first 2 shown]
	s_movk_i32 s19, 0x80
	s_movk_i32 s20, 0xff
	s_branch .LBB6_40
.LBB6_38:                               ;   in Loop: Header=BB6_40 Depth=1
	s_or_b64 exec, exec, s[12:13]
.LBB6_39:                               ;   in Loop: Header=BB6_40 Depth=1
	s_or_b64 exec, exec, s[10:11]
	v_and_b32_sdwa v2, v2, s19 dst_sel:DWORD dst_unused:UNUSED_PAD src0_sel:BYTE_3 src1_sel:DWORD
	v_and_or_b32 v2, v18, s20, v2
	v_and_b32_sdwa v1, v1, s19 dst_sel:DWORD dst_unused:UNUSED_PAD src0_sel:BYTE_3 src1_sel:DWORD
	v_lshlrev_b32_e32 v19, 24, v19
	v_and_b32_e32 v3, 0x80000000, v3
	v_lshlrev_b32_e32 v2, 16, v2
	v_lshrrev_b32_e32 v0, 24, v0
	v_or3_b32 v2, v3, v19, v2
	v_and_or_b32 v1, v16, s20, v1
	v_and_b32_e32 v3, 0xff, v17
	v_lshlrev_b32_e32 v1, 8, v1
	v_and_or_b32 v0, v0, s19, v3
	v_add_u32_e32 v4, 16, v4
	v_or3_b32 v0, v2, v1, v0
	v_cmp_ge_i32_e32 vcc, v4, v26
	global_store_dword v[6:7], v0, off
	s_or_b64 s[0:1], vcc, s[0:1]
	v_add_co_u32_e32 v6, vcc, 64, v6
	v_add_u32_e32 v9, 0x100, v9
	v_addc_co_u32_e32 v7, vcc, 0, v7, vcc
	s_andn2_b64 exec, exec, s[0:1]
	s_cbranch_execz .LBB6_63
.LBB6_40:                               ; =>This Inner Loop Header: Depth=1
	ds_read_b128 v[0:3], v9
	v_mov_b32_e32 v16, 0x7f
	s_waitcnt lgkmcnt(0)
	v_div_scale_f32 v17, s[10:11], v10, v10, v0
	v_rcp_f32_e32 v18, v17
	v_div_scale_f32 v19, vcc, v0, v10, v0
	v_fma_f32 v20, -v17, v18, 1.0
	v_fmac_f32_e32 v18, v20, v18
	v_mul_f32_e32 v20, v19, v18
	v_fma_f32 v21, -v17, v20, v19
	v_fmac_f32_e32 v20, v21, v18
	v_fma_f32 v17, -v17, v20, v19
	v_div_fmas_f32 v17, v17, v18, v20
	v_div_fixup_f32 v0, v17, v10, v0
	v_max_f32_e32 v0, v0, v5
	v_min_f32_e32 v0, v0, v15
	v_and_b32_e32 v18, 0x7fffffff, v0
	v_cmp_gt_u32_e32 vcc, s14, v18
	v_mov_b32_e32 v17, 0x7f
	s_and_saveexec_b64 s[10:11], vcc
	s_cbranch_execz .LBB6_46
; %bb.41:                               ;   in Loop: Header=BB6_40 Depth=1
	v_cmp_lt_u32_e32 vcc, s15, v18
                                        ; implicit-def: $vgpr17
	s_and_saveexec_b64 s[12:13], vcc
	s_xor_b64 s[12:13], exec, s[12:13]
; %bb.42:                               ;   in Loop: Header=BB6_40 Depth=1
	v_bfe_u32 v17, v0, 20, 1
	v_add3_u32 v17, v0, v17, s17
	v_lshrrev_b32_e32 v17, 20, v17
; %bb.43:                               ;   in Loop: Header=BB6_40 Depth=1
	s_andn2_saveexec_b64 s[12:13], s[12:13]
; %bb.44:                               ;   in Loop: Header=BB6_40 Depth=1
	v_add_f32_e64 v17, |v0|, s18
; %bb.45:                               ;   in Loop: Header=BB6_40 Depth=1
	s_or_b64 exec, exec, s[12:13]
.LBB6_46:                               ;   in Loop: Header=BB6_40 Depth=1
	s_or_b64 exec, exec, s[10:11]
	v_div_scale_f32 v18, s[10:11], v10, v10, v1
	v_rcp_f32_e32 v19, v18
	v_div_scale_f32 v20, vcc, v1, v10, v1
	v_fma_f32 v21, -v18, v19, 1.0
	v_fmac_f32_e32 v19, v21, v19
	v_mul_f32_e32 v21, v20, v19
	v_fma_f32 v27, -v18, v21, v20
	v_fmac_f32_e32 v21, v27, v19
	v_fma_f32 v18, -v18, v21, v20
	v_div_fmas_f32 v18, v18, v19, v21
	v_div_fixup_f32 v1, v18, v10, v1
	v_max_f32_e32 v1, v1, v5
	v_min_f32_e32 v1, v1, v15
	v_and_b32_e32 v18, 0x7fffffff, v1
	v_cmp_gt_u32_e32 vcc, s14, v18
	s_and_saveexec_b64 s[10:11], vcc
	s_cbranch_execz .LBB6_52
; %bb.47:                               ;   in Loop: Header=BB6_40 Depth=1
	v_cmp_lt_u32_e32 vcc, s15, v18
                                        ; implicit-def: $vgpr16
	s_and_saveexec_b64 s[12:13], vcc
	s_xor_b64 s[12:13], exec, s[12:13]
; %bb.48:                               ;   in Loop: Header=BB6_40 Depth=1
	v_bfe_u32 v16, v1, 20, 1
	v_add3_u32 v16, v1, v16, s17
	v_lshrrev_b32_e32 v16, 20, v16
; %bb.49:                               ;   in Loop: Header=BB6_40 Depth=1
	s_andn2_saveexec_b64 s[12:13], s[12:13]
; %bb.50:                               ;   in Loop: Header=BB6_40 Depth=1
	v_add_f32_e64 v16, |v1|, s18
; %bb.51:                               ;   in Loop: Header=BB6_40 Depth=1
	s_or_b64 exec, exec, s[12:13]
.LBB6_52:                               ;   in Loop: Header=BB6_40 Depth=1
	s_or_b64 exec, exec, s[10:11]
	v_div_scale_f32 v18, s[10:11], v10, v10, v2
	v_rcp_f32_e32 v19, v18
	v_div_scale_f32 v20, vcc, v2, v10, v2
	v_fma_f32 v21, -v18, v19, 1.0
	v_fmac_f32_e32 v19, v21, v19
	v_mul_f32_e32 v21, v20, v19
	v_fma_f32 v27, -v18, v21, v20
	v_fmac_f32_e32 v21, v27, v19
	v_fma_f32 v18, -v18, v21, v20
	v_div_fmas_f32 v18, v18, v19, v21
	v_div_fixup_f32 v2, v18, v10, v2
	v_max_f32_e32 v2, v2, v5
	v_min_f32_e32 v2, v2, v15
	v_and_b32_e32 v20, 0x7fffffff, v2
	v_cmp_gt_u32_e32 vcc, s14, v20
	v_mov_b32_e32 v19, 0x7f
	v_mov_b32_e32 v18, 0x7f
	s_and_saveexec_b64 s[10:11], vcc
	s_cbranch_execz .LBB6_58
; %bb.53:                               ;   in Loop: Header=BB6_40 Depth=1
	v_cmp_lt_u32_e32 vcc, s15, v20
                                        ; implicit-def: $vgpr18
	s_and_saveexec_b64 s[12:13], vcc
	s_xor_b64 s[12:13], exec, s[12:13]
; %bb.54:                               ;   in Loop: Header=BB6_40 Depth=1
	v_bfe_u32 v18, v2, 20, 1
	v_add3_u32 v18, v2, v18, s17
	v_lshrrev_b32_e32 v18, 20, v18
; %bb.55:                               ;   in Loop: Header=BB6_40 Depth=1
	s_andn2_saveexec_b64 s[12:13], s[12:13]
; %bb.56:                               ;   in Loop: Header=BB6_40 Depth=1
	v_add_f32_e64 v18, |v2|, s18
; %bb.57:                               ;   in Loop: Header=BB6_40 Depth=1
	s_or_b64 exec, exec, s[12:13]
.LBB6_58:                               ;   in Loop: Header=BB6_40 Depth=1
	s_or_b64 exec, exec, s[10:11]
	v_div_scale_f32 v20, s[10:11], v10, v10, v3
	v_rcp_f32_e32 v21, v20
	v_div_scale_f32 v27, vcc, v3, v10, v3
	v_fma_f32 v28, -v20, v21, 1.0
	v_fmac_f32_e32 v21, v28, v21
	v_mul_f32_e32 v28, v27, v21
	v_fma_f32 v29, -v20, v28, v27
	v_fmac_f32_e32 v28, v29, v21
	v_fma_f32 v20, -v20, v28, v27
	v_div_fmas_f32 v20, v20, v21, v28
	v_div_fixup_f32 v3, v20, v10, v3
	v_max_f32_e32 v3, v3, v5
	v_min_f32_e32 v3, v3, v15
	v_and_b32_e32 v20, 0x7fffffff, v3
	v_cmp_gt_u32_e32 vcc, s14, v20
	s_and_saveexec_b64 s[10:11], vcc
	s_cbranch_execz .LBB6_39
; %bb.59:                               ;   in Loop: Header=BB6_40 Depth=1
	v_cmp_lt_u32_e32 vcc, s15, v20
                                        ; implicit-def: $vgpr19
	s_and_saveexec_b64 s[12:13], vcc
	s_xor_b64 s[12:13], exec, s[12:13]
; %bb.60:                               ;   in Loop: Header=BB6_40 Depth=1
	v_bfe_u32 v19, v3, 20, 1
	v_add3_u32 v19, v3, v19, s17
	v_lshrrev_b32_e32 v19, 20, v19
; %bb.61:                               ;   in Loop: Header=BB6_40 Depth=1
	s_andn2_saveexec_b64 s[12:13], s[12:13]
	s_cbranch_execz .LBB6_38
; %bb.62:                               ;   in Loop: Header=BB6_40 Depth=1
	v_add_f32_e64 v19, |v3|, s18
	s_branch .LBB6_38
.LBB6_63:
	s_or_b64 exec, exec, s[8:9]
	v_lshlrev_b32_e32 v2, 2, v26
	v_add_u32_e32 v0, v2, v8
	v_cmp_lt_i32_e32 vcc, v0, v23
	s_and_saveexec_b64 s[8:9], vcc
	s_cbranch_execz .LBB6_79
; %bb.64:
	v_add_u32_e32 v1, 16, v0
	v_max_i32_e32 v3, v1, v23
	v_xad_u32 v3, v8, -1, v3
	v_sub_u32_e32 v3, v3, v2
	v_cmp_lt_u32_e32 vcc, 15, v3
	s_mov_b64 s[0:1], 0
	v_lshlrev_b32_e32 v2, 2, v14
                                        ; implicit-def: $vgpr6
	s_and_saveexec_b64 s[10:11], vcc
	s_xor_b64 s[10:11], exec, s[10:11]
	s_cbranch_execnz .LBB6_67
; %bb.65:
	s_andn2_saveexec_b64 s[10:11], s[10:11]
	s_cbranch_execnz .LBB6_70
.LBB6_66:
	s_or_b64 exec, exec, s[10:11]
	s_and_b64 exec, exec, s[0:1]
	s_cbranch_execnz .LBB6_71
	s_branch .LBB6_79
.LBB6_67:
	v_lshrrev_b32_e32 v2, 4, v3
	v_add_u32_e32 v7, 1, v2
	v_lshlrev_b32_e32 v6, 2, v22
	v_lshlrev_b32_e32 v4, 4, v26
	;; [unrolled: 1-line block ×3, first 2 shown]
	v_and_b32_e32 v9, 0x1ffffffe, v7
	s_mov_b32 s0, s2
	s_mov_b32 s1, s2
	;; [unrolled: 1-line block ×4, first 2 shown]
	v_add3_u32 v4, v6, v4, v2
	v_lshlrev_b32_e32 v5, 2, v8
	v_mov_b32_e32 v3, v10
	v_add3_u32 v8, v4, v5, 0
	s_mov_b64 s[12:13], 0
	v_max_f32_e64 v15, s1, s1
	v_max_f32_e64 v16, s0, s0
	;; [unrolled: 1-line block ×4, first 2 shown]
	s_mov_b32 s15, 0x43f00000
	s_mov_b32 s17, 0x7700000
	;; [unrolled: 1-line block ×4, first 2 shown]
	v_mov_b32_e32 v19, 0x7f
	s_movk_i32 s19, 0x80
	v_mov_b32_e32 v20, v9
	v_pk_mov_b32 v[4:5], v[0:1], v[0:1] op_sel:[0,1]
.LBB6_68:                               ; =>This Inner Loop Header: Depth=1
	ds_read2_b32 v[26:27], v8 offset1:16
	v_ashrrev_i32_e32 v21, 31, v4
	v_add_co_u32_e32 v28, vcc, v24, v4
	v_mov_b32_e32 v22, v5
	v_addc_co_u32_e32 v29, vcc, v25, v21, vcc
	v_ashrrev_i32_e32 v1, 31, v5
	v_add_co_u32_e32 v30, vcc, v24, v22
	v_addc_co_u32_e32 v31, vcc, v25, v1, vcc
	s_waitcnt lgkmcnt(0)
	v_div_scale_f32 v1, s[0:1], v10, v10, v26
	v_div_scale_f32 v22, s[0:1], v3, v3, v27
	v_rcp_f32_e32 v33, v1
	v_rcp_f32_e32 v34, v22
	v_add_u32_e32 v20, -2, v20
	v_cmp_eq_u32_e32 vcc, 0, v20
	v_fma_f32 v35, -v1, v33, 1.0
	s_or_b64 s[12:13], vcc, s[12:13]
	v_div_scale_f32 v21, vcc, v26, v10, v26
	v_fma_f32 v36, -v22, v34, 1.0
	v_fmac_f32_e32 v33, v35, v33
	v_div_scale_f32 v32, s[0:1], v27, v3, v27
	v_fmac_f32_e32 v34, v36, v34
	v_mul_f32_e32 v35, v21, v33
	v_mul_f32_e32 v36, v32, v34
	v_fma_f32 v37, -v1, v35, v21
	v_fma_f32 v38, -v22, v36, v32
	v_fmac_f32_e32 v35, v37, v33
	v_fmac_f32_e32 v36, v38, v34
	v_fma_f32 v1, -v1, v35, v21
	v_fma_f32 v21, -v22, v36, v32
	v_div_fmas_f32 v1, v1, v33, v35
	s_mov_b64 vcc, s[0:1]
	v_div_fixup_f32 v1, v1, v10, v26
	v_div_fmas_f32 v21, v21, v34, v36
	v_div_fixup_f32 v21, v21, v3, v27
	v_max_f32_e32 v1, v1, v16
	v_max_f32_e32 v21, v21, v15
	v_min_f32_e32 v1, v1, v17
	v_min_f32_e32 v21, v21, v18
	v_and_b32_e32 v26, 0x7fffffff, v1
	v_bfe_u32 v22, v1, 20, 1
	v_lshrrev_b32_e32 v34, 24, v1
	v_and_b32_e32 v27, 0x7fffffff, v21
	v_add_u32_e32 v35, 0xc3800000, v26
	v_bfe_u32 v32, v21, 20, 1
	v_add3_u32 v1, v1, v22, s18
	v_lshrrev_b32_e32 v22, 24, v21
	v_add_u32_e32 v36, 0xc3800000, v27
	v_add3_u32 v21, v21, v32, s18
	v_lshrrev_b32_e32 v1, 20, v1
	v_pk_add_f32 v[32:33], v[26:27], s[14:15] op_sel_hi:[1,0]
	v_cmp_gt_u32_e32 vcc, s17, v35
	v_cndmask_b32_e32 v1, v32, v1, vcc
	v_cmp_gt_u32_e32 vcc, s15, v26
	v_lshrrev_b32_e32 v21, 20, v21
	v_cmp_gt_u32_e64 s[0:1], s17, v36
	v_cndmask_b32_e64 v21, v33, v21, s[0:1]
	v_cndmask_b32_e32 v1, v19, v1, vcc
	v_cmp_gt_u32_e32 vcc, s15, v27
	v_add_u32_e32 v5, 32, v5
	v_add_u32_e32 v4, 32, v4
	;; [unrolled: 1-line block ×3, first 2 shown]
	v_cndmask_b32_e32 v21, v19, v21, vcc
	v_and_or_b32 v1, v34, s19, v1
	v_and_or_b32 v21, v22, s19, v21
	global_store_byte v[28:29], v1, off
	global_store_byte v[30:31], v21, off
	s_andn2_b64 exec, exec, s[12:13]
	s_cbranch_execnz .LBB6_68
; %bb.69:
	s_or_b64 exec, exec, s[12:13]
	v_cmp_ne_u32_e32 vcc, v7, v9
	v_lshl_add_u32 v0, v9, 4, v0
	s_and_b64 s[0:1], vcc, exec
                                        ; implicit-def: $vgpr22
	s_andn2_saveexec_b64 s[10:11], s[10:11]
	s_cbranch_execz .LBB6_66
.LBB6_70:
	v_lshlrev_b32_e32 v6, 2, v22
	s_or_b64 s[0:1], s[0:1], exec
	s_or_b64 exec, exec, s[10:11]
	s_and_b64 exec, exec, s[0:1]
	s_cbranch_execz .LBB6_79
.LBB6_71:
	v_lshl_add_u32 v1, v0, 2, v6
	v_add3_u32 v1, v1, v2, 0
	v_add_co_u32_e32 v2, vcc, v14, v12
	v_addc_co_u32_e32 v3, vcc, v11, v13, vcc
	v_ashrrev_i32_e32 v4, 31, v0
	v_add_co_u32_e32 v2, vcc, v2, v0
	v_addc_co_u32_e32 v3, vcc, v3, v4, vcc
	v_mov_b32_e32 v4, s7
	v_add_co_u32_e32 v2, vcc, s6, v2
	v_addc_co_u32_e32 v3, vcc, v4, v3, vcc
	s_mov_b64 s[0:1], 0
	v_max_f32_e64 v4, s2, s2
	v_max_f32_e64 v5, s3, s3
	s_mov_b32 s14, 0x43f00000
	s_mov_b32 s15, 0x3c7fffff
	;; [unrolled: 1-line block ×4, first 2 shown]
	s_movk_i32 s19, 0x80
	s_branch .LBB6_74
.LBB6_72:                               ;   in Loop: Header=BB6_74 Depth=1
	s_or_b64 exec, exec, s[12:13]
.LBB6_73:                               ;   in Loop: Header=BB6_74 Depth=1
	s_or_b64 exec, exec, s[10:11]
	v_lshrrev_b32_e32 v6, 24, v6
	v_add_u32_e32 v0, 16, v0
	v_and_or_b32 v6, v6, s19, v7
	v_cmp_ge_i32_e32 vcc, v0, v23
	global_store_byte v[2:3], v6, off
	s_or_b64 s[0:1], vcc, s[0:1]
	v_add_co_u32_e32 v2, vcc, 16, v2
	v_add_u32_e32 v1, 64, v1
	v_addc_co_u32_e32 v3, vcc, 0, v3, vcc
	s_andn2_b64 exec, exec, s[0:1]
	s_cbranch_execz .LBB6_79
.LBB6_74:                               ; =>This Inner Loop Header: Depth=1
	ds_read_b32 v6, v1
	s_waitcnt lgkmcnt(0)
	v_div_scale_f32 v7, s[10:11], v10, v10, v6
	v_rcp_f32_e32 v8, v7
	v_div_scale_f32 v9, vcc, v6, v10, v6
	v_fma_f32 v11, -v7, v8, 1.0
	v_fmac_f32_e32 v8, v11, v8
	v_mul_f32_e32 v11, v9, v8
	v_fma_f32 v12, -v7, v11, v9
	v_fmac_f32_e32 v11, v12, v8
	v_fma_f32 v7, -v7, v11, v9
	v_div_fmas_f32 v7, v7, v8, v11
	v_div_fixup_f32 v6, v7, v10, v6
	v_max_f32_e32 v6, v6, v4
	v_min_f32_e32 v6, v6, v5
	v_and_b32_e32 v8, 0x7fffffff, v6
	v_cmp_gt_u32_e32 vcc, s14, v8
	v_mov_b32_e32 v7, 0x7f
	s_and_saveexec_b64 s[10:11], vcc
	s_cbranch_execz .LBB6_73
; %bb.75:                               ;   in Loop: Header=BB6_74 Depth=1
	v_cmp_lt_u32_e32 vcc, s15, v8
                                        ; implicit-def: $vgpr7
	s_and_saveexec_b64 s[12:13], vcc
	s_xor_b64 s[12:13], exec, s[12:13]
; %bb.76:                               ;   in Loop: Header=BB6_74 Depth=1
	v_bfe_u32 v7, v6, 20, 1
	v_add3_u32 v7, v6, v7, s17
	v_lshrrev_b32_e32 v7, 20, v7
; %bb.77:                               ;   in Loop: Header=BB6_74 Depth=1
	s_andn2_saveexec_b64 s[12:13], s[12:13]
	s_cbranch_execz .LBB6_72
; %bb.78:                               ;   in Loop: Header=BB6_74 Depth=1
	v_add_f32_e64 v7, |v6|, s18
	s_branch .LBB6_72
.LBB6_79:
	s_or_b64 exec, exec, s[8:9]
                                        ; implicit-def: $vgpr8
                                        ; implicit-def: $vgpr22
                                        ; implicit-def: $vgpr10
                                        ; implicit-def: $vgpr20
                                        ; implicit-def: $vgpr21
                                        ; implicit-def: $vgpr12_vgpr13
.LBB6_80:
	s_andn2_saveexec_b64 s[0:1], s[4:5]
	s_cbranch_execz .LBB6_115
; %bb.81:
	s_ashr_i32 s11, s16, 2
	v_cmp_gt_i32_e32 vcc, s11, v8
	s_and_saveexec_b64 s[0:1], vcc
	s_cbranch_execz .LBB6_115
; %bb.82:
	v_xad_u32 v0, v8, -1, s11
	v_cmp_lt_u32_e32 vcc, 15, v0
	s_mov_b64 s[0:1], 0
	v_lshlrev_b32_e32 v23, 2, v22
	s_and_saveexec_b64 s[4:5], vcc
	s_xor_b64 s[4:5], exec, s[4:5]
	s_cbranch_execnz .LBB6_85
; %bb.83:
	s_andn2_saveexec_b64 s[4:5], s[4:5]
	s_cbranch_execnz .LBB6_88
.LBB6_84:
	s_or_b64 exec, exec, s[4:5]
	s_and_b64 exec, exec, s[0:1]
	s_cbranch_execnz .LBB6_89
	s_branch .LBB6_115
.LBB6_85:
	v_lshrrev_b32_e32 v0, 4, v0
	v_add_u32_e32 v24, 1, v0
	v_and_b32_e32 v25, 0x1ffffffe, v24
	v_or_b32_e32 v9, 16, v8
	s_mov_b32 s0, s2
	s_mov_b32 s1, s2
	;; [unrolled: 1-line block ×4, first 2 shown]
	v_lshlrev_b32_e32 v23, 2, v22
	v_lshlrev_b32_e32 v0, 4, v8
	v_mov_b32_e32 v11, v10
	v_add3_u32 v22, v23, v0, 0
	s_mov_b64 s[8:9], 0
	v_max_f32_e64 v26, s1, s1
	v_max_f32_e64 v27, s0, s0
	;; [unrolled: 1-line block ×4, first 2 shown]
	s_mov_b32 s12, 0x7700000
	s_mov_b32 s13, 0x407ffff
	;; [unrolled: 1-line block ×4, first 2 shown]
	v_mov_b32_e32 v30, 0x7f000000
	v_mov_b32_e32 v31, 0x7f
	s_movk_i32 s15, 0x80
	v_mov_b32_e32 v15, 0
	v_mov_b32_e32 v32, v25
	v_pk_mov_b32 v[16:17], v[8:9], v[8:9] op_sel:[0,1]
.LBB6_86:                               ; =>This Inner Loop Header: Depth=1
	ds_read_b128 v[4:7], v22
	ds_read_b128 v[0:3], v22 offset:256
	v_add_u32_e32 v32, -2, v32
	v_add_u32_e32 v22, 0x200, v22
	s_waitcnt lgkmcnt(1)
	v_div_scale_f32 v9, s[0:1], v10, v10, v4
	v_rcp_f32_e32 v14, v9
	v_fma_f32 v18, -v9, v14, 1.0
	v_fmac_f32_e32 v14, v18, v14
	v_div_scale_f32 v18, vcc, v4, v10, v4
	v_mul_f32_e32 v19, v18, v14
	v_fma_f32 v33, -v9, v19, v18
	v_fmac_f32_e32 v19, v33, v14
	v_fma_f32 v9, -v9, v19, v18
	v_div_fmas_f32 v9, v9, v14, v19
	v_div_fixup_f32 v4, v9, v10, v4
	s_waitcnt lgkmcnt(0)
	v_div_scale_f32 v9, s[0:1], v11, v11, v0
	v_rcp_f32_e32 v14, v9
	v_max_f32_e32 v4, v4, v27
	v_min_f32_e32 v4, v4, v28
	v_fma_f32 v18, -v9, v14, 1.0
	v_fmac_f32_e32 v14, v18, v14
	v_div_scale_f32 v18, vcc, v0, v11, v0
	v_mul_f32_e32 v19, v18, v14
	v_fma_f32 v33, -v9, v19, v18
	v_fmac_f32_e32 v19, v33, v14
	v_fma_f32 v9, -v9, v19, v18
	v_div_fmas_f32 v9, v9, v14, v19
	v_div_fixup_f32 v0, v9, v11, v0
	v_max_f32_e32 v0, v0, v26
	v_min_f32_e32 v0, v0, v29
	v_and_b32_e32 v18, 0x7fffffff, v4
	v_and_b32_e32 v19, 0x7fffffff, v0
	v_add_u32_e32 v14, 0xc3800000, v18
	v_add_u32_e32 v9, 0xc3800000, v19
	v_cmp_gt_u32_e32 vcc, s12, v14
	v_bfe_u32 v14, v0, 20, 1
	v_cmp_gt_u32_e64 s[0:1], s12, v9
	v_bfe_u32 v9, v4, 20, 1
	v_add3_u32 v14, v0, v14, s13
	v_add3_u32 v9, v4, v9, s13
	v_lshrrev_b32_e32 v14, 20, v14
	v_pk_add_f32 v[34:35], v[18:19], s[10:11] op_sel_hi:[1,0]
	v_lshrrev_b32_e32 v9, 20, v9
	v_cndmask_b32_e64 v14, v35, v14, s[0:1]
	v_lshrrev_b32_e32 v33, 24, v0
	v_div_scale_f32 v0, s[0:1], v10, v10, v5
	v_cndmask_b32_e32 v9, v34, v9, vcc
	v_lshrrev_b32_e32 v34, 24, v4
	v_rcp_f32_e32 v4, v0
	v_and_b32_e32 v35, 0xff, v14
	v_and_b32_e32 v9, 0xff, v9
	v_fma_f32 v14, -v0, v4, 1.0
	v_fmac_f32_e32 v4, v14, v4
	v_div_scale_f32 v14, vcc, v5, v10, v5
	v_mul_f32_e32 v36, v14, v4
	v_fma_f32 v37, -v0, v36, v14
	v_fmac_f32_e32 v36, v37, v4
	v_fma_f32 v0, -v0, v36, v14
	v_div_fmas_f32 v0, v0, v4, v36
	v_div_scale_f32 v4, s[0:1], v11, v11, v1
	v_div_fixup_f32 v0, v0, v10, v5
	v_rcp_f32_e32 v5, v4
	v_max_f32_e32 v0, v0, v27
	v_fma_f32 v14, -v4, v5, 1.0
	v_fmac_f32_e32 v5, v14, v5
	v_div_scale_f32 v14, vcc, v1, v11, v1
	v_mul_f32_e32 v36, v14, v5
	v_fma_f32 v37, -v4, v36, v14
	v_fmac_f32_e32 v36, v37, v5
	v_fma_f32 v4, -v4, v36, v14
	v_div_fmas_f32 v4, v4, v5, v36
	v_div_fixup_f32 v1, v4, v11, v1
	v_max_f32_e32 v1, v1, v26
	v_min_f32_e32 v14, v0, v28
	v_min_f32_e32 v38, v1, v29
	v_and_b32_e32 v1, 0x7fffffff, v38
	v_and_b32_e32 v0, 0x7fffffff, v14
	v_add_u32_e32 v4, 0xc3800000, v0
	v_add_u32_e32 v5, 0xc3800000, v1
	v_cmp_gt_u32_e32 vcc, s12, v5
	v_cmp_gt_u32_e64 s[0:1], s12, v4
	v_bfe_u32 v4, v38, 20, 1
	v_bfe_u32 v5, v14, 20, 1
	v_add3_u32 v5, v14, v5, s13
	v_add3_u32 v4, v38, v4, s13
	v_lshrrev_b32_e32 v36, 20, v4
	v_lshrrev_b32_e32 v37, 20, v5
	v_pk_add_f32 v[4:5], v[0:1], s[10:11] op_sel_hi:[1,0]
	v_cndmask_b32_e64 v4, v4, v37, s[0:1]
	v_cndmask_b32_e32 v5, v5, v36, vcc
	v_and_b32_e32 v39, 0xff, v4
	v_div_scale_f32 v4, s[0:1], v10, v10, v6
	v_and_b32_e32 v36, 0xff, v5
	v_rcp_f32_e32 v5, v4
	v_lshrrev_b32_e32 v37, 24, v14
	v_lshrrev_b32_e32 v38, 24, v38
	v_fma_f32 v14, -v4, v5, 1.0
	v_fmac_f32_e32 v5, v14, v5
	v_div_scale_f32 v14, vcc, v6, v10, v6
	v_mul_f32_e32 v40, v14, v5
	v_fma_f32 v41, -v4, v40, v14
	v_fmac_f32_e32 v40, v41, v5
	v_fma_f32 v4, -v4, v40, v14
	v_div_fmas_f32 v4, v4, v5, v40
	v_div_scale_f32 v5, s[0:1], v11, v11, v2
	v_div_fixup_f32 v4, v4, v10, v6
	v_rcp_f32_e32 v6, v5
	v_max_f32_e32 v4, v4, v27
	v_fma_f32 v14, -v5, v6, 1.0
	v_fmac_f32_e32 v6, v14, v6
	v_div_scale_f32 v14, vcc, v2, v11, v2
	v_mul_f32_e32 v40, v14, v6
	v_fma_f32 v41, -v5, v40, v14
	v_fmac_f32_e32 v40, v41, v6
	v_fma_f32 v5, -v5, v40, v14
	v_div_fmas_f32 v5, v5, v6, v40
	v_div_fixup_f32 v2, v5, v11, v2
	v_max_f32_e32 v2, v2, v26
	v_min_f32_e32 v14, v4, v28
	v_min_f32_e32 v2, v2, v29
	v_and_b32_e32 v5, 0x7fffffff, v2
	v_and_b32_e32 v4, 0x7fffffff, v14
	v_add_u32_e32 v6, 0xc3800000, v5
	v_add_u32_e32 v40, 0xc3800000, v4
	v_cmp_gt_u32_e32 vcc, s12, v40
	v_cmp_gt_u32_e64 s[0:1], s12, v6
	v_bfe_u32 v6, v14, 20, 1
	v_bfe_u32 v40, v2, 20, 1
	v_add3_u32 v40, v2, v40, s13
	v_add3_u32 v6, v14, v6, s13
	v_lshrrev_b32_e32 v6, 20, v6
	v_lshrrev_b32_e32 v42, 20, v40
	v_pk_add_f32 v[40:41], v[4:5], s[10:11] op_sel_hi:[1,0]
	v_cndmask_b32_e64 v41, v41, v42, s[0:1]
	v_cndmask_b32_e32 v6, v40, v6, vcc
	v_lshrrev_b32_e32 v40, 24, v2
	v_div_scale_f32 v2, s[0:1], v10, v10, v7
	v_and_b32_e32 v42, 0xff, v41
	v_lshrrev_b32_e32 v41, 24, v14
	v_rcp_f32_e32 v14, v2
	v_and_b32_e32 v6, 0xff, v6
	v_fma_f32 v43, -v2, v14, 1.0
	v_fmac_f32_e32 v14, v43, v14
	v_div_scale_f32 v43, vcc, v7, v10, v7
	v_mul_f32_e32 v44, v43, v14
	v_fma_f32 v45, -v2, v44, v43
	v_fmac_f32_e32 v44, v45, v14
	v_fma_f32 v2, -v2, v44, v43
	v_div_fmas_f32 v2, v2, v14, v44
	v_div_fixup_f32 v2, v2, v10, v7
	v_div_scale_f32 v7, s[0:1], v11, v11, v3
	v_rcp_f32_e32 v14, v7
	v_max_f32_e32 v2, v2, v27
	v_fma_f32 v43, -v7, v14, 1.0
	v_fmac_f32_e32 v14, v43, v14
	v_div_scale_f32 v43, vcc, v3, v11, v3
	v_mul_f32_e32 v44, v43, v14
	v_fma_f32 v45, -v7, v44, v43
	v_fmac_f32_e32 v44, v45, v14
	v_fma_f32 v7, -v7, v44, v43
	v_div_fmas_f32 v7, v7, v14, v44
	v_div_fixup_f32 v3, v7, v11, v3
	v_max_f32_e32 v3, v3, v26
	v_min_f32_e32 v7, v2, v28
	v_min_f32_e32 v43, v3, v29
	v_and_b32_e32 v3, 0x7fffffff, v43
	v_and_b32_e32 v2, 0x7fffffff, v7
	v_add_u32_e32 v14, 0xc3800000, v3
	v_add_u32_e32 v44, 0xc3800000, v2
	v_cmp_gt_u32_e32 vcc, s12, v44
	v_cmp_gt_u32_e64 s[0:1], s12, v14
	v_bfe_u32 v14, v7, 20, 1
	v_bfe_u32 v44, v43, 20, 1
	v_add3_u32 v44, v43, v44, s13
	v_add3_u32 v14, v7, v14, s13
	v_lshrrev_b32_e32 v14, 20, v14
	v_lshrrev_b32_e32 v46, 20, v44
	v_pk_add_f32 v[44:45], v[2:3], s[10:11] op_sel_hi:[1,0]
	v_cndmask_b32_e32 v14, v44, v14, vcc
	v_cndmask_b32_e64 v45, v45, v46, s[0:1]
	v_lshlrev_b32_e32 v48, 24, v14
	v_mov_b32_e32 v14, v16
	v_lshlrev_b32_e32 v49, 24, v45
	v_lshlrev_b64 v[44:45], 2, v[14:15]
	v_add_co_u32_e32 v44, vcc, v20, v44
	v_mov_b32_e32 v14, v17
	v_addc_co_u32_e32 v45, vcc, v21, v45, vcc
	v_lshlrev_b64 v[46:47], 2, v[14:15]
	v_add_co_u32_e32 v46, vcc, v20, v46
	v_addc_co_u32_e32 v47, vcc, v21, v47, vcc
	v_cmp_gt_u32_e32 vcc, s14, v3
	v_cndmask_b32_e32 v3, v30, v49, vcc
	v_cmp_gt_u32_e32 vcc, s14, v2
	v_cndmask_b32_e32 v2, v30, v48, vcc
	;; [unrolled: 2-line block ×4, first 2 shown]
	v_cmp_gt_u32_e32 vcc, s14, v0
	v_and_or_b32 v4, v41, s15, v4
	v_cndmask_b32_e32 v0, v31, v39, vcc
	v_cmp_gt_u32_e32 vcc, s14, v1
	v_and_b32_e32 v7, 0x80000000, v7
	v_and_or_b32 v5, v40, s15, v5
	v_lshlrev_b32_e32 v4, 16, v4
	v_cndmask_b32_e32 v1, v31, v36, vcc
	v_cmp_gt_u32_e32 vcc, s14, v19
	v_and_b32_e32 v14, 0x80000000, v43
	v_lshlrev_b32_e32 v5, 16, v5
	v_or3_b32 v2, v7, v2, v4
	v_cndmask_b32_e32 v4, v31, v35, vcc
	v_cmp_gt_u32_e32 vcc, s14, v18
	v_or3_b32 v3, v14, v3, v5
	v_and_or_b32 v0, v37, s15, v0
	v_cndmask_b32_e32 v5, v31, v9, vcc
	v_and_or_b32 v1, v38, s15, v1
	v_lshlrev_b32_e32 v0, 8, v0
	v_and_or_b32 v5, v34, s15, v5
	v_cmp_eq_u32_e32 vcc, 0, v32
	v_lshlrev_b32_e32 v1, 8, v1
	v_and_or_b32 v4, v33, s15, v4
	v_or3_b32 v0, v2, v0, v5
	v_add_u32_e32 v17, 32, v17
	v_add_u32_e32 v16, 32, v16
	s_or_b64 s[8:9], vcc, s[8:9]
	v_or3_b32 v1, v3, v1, v4
	global_store_dword v[44:45], v0, off
	global_store_dword v[46:47], v1, off
	s_andn2_b64 exec, exec, s[8:9]
	s_cbranch_execnz .LBB6_86
; %bb.87:
	s_or_b64 exec, exec, s[8:9]
	v_cmp_ne_u32_e32 vcc, v24, v25
	v_lshl_or_b32 v8, v25, 4, v8
	s_and_b64 s[0:1], vcc, exec
	s_andn2_saveexec_b64 s[4:5], s[4:5]
	s_cbranch_execz .LBB6_84
.LBB6_88:
	s_or_b64 s[0:1], s[0:1], exec
	s_or_b64 exec, exec, s[4:5]
	s_and_b64 exec, exec, s[0:1]
	s_cbranch_execz .LBB6_115
.LBB6_89:
	v_lshlrev_b32_e32 v0, 4, v8
	v_mov_b32_e32 v9, 0
	v_add3_u32 v6, v23, v0, 0
	v_lshlrev_b64 v[0:1], 2, v[8:9]
	v_add_co_u32_e32 v0, vcc, v12, v0
	v_addc_co_u32_e32 v1, vcc, v13, v1, vcc
	v_mov_b32_e32 v2, s7
	v_add_co_u32_e32 v4, vcc, s6, v0
	v_addc_co_u32_e32 v5, vcc, v2, v1, vcc
	s_mov_b64 s[0:1], 0
	v_max_f32_e64 v7, s2, s2
	v_max_f32_e64 v9, s3, s3
	s_mov_b32 s6, 0x43f00000
	s_mov_b32 s7, 0x3c7fffff
	s_mov_b32 s8, 0x407ffff
	s_mov_b32 s9, 0x46800000
	s_movk_i32 s10, 0x80
	s_movk_i32 s12, 0xff
	s_branch .LBB6_92
.LBB6_90:                               ;   in Loop: Header=BB6_92 Depth=1
	s_or_b64 exec, exec, s[4:5]
.LBB6_91:                               ;   in Loop: Header=BB6_92 Depth=1
	s_or_b64 exec, exec, s[2:3]
	v_and_b32_sdwa v2, v2, s10 dst_sel:DWORD dst_unused:UNUSED_PAD src0_sel:BYTE_3 src1_sel:DWORD
	v_and_or_b32 v2, v13, s12, v2
	v_and_b32_sdwa v1, v1, s10 dst_sel:DWORD dst_unused:UNUSED_PAD src0_sel:BYTE_3 src1_sel:DWORD
	v_lshlrev_b32_e32 v14, 24, v14
	v_and_b32_e32 v3, 0x80000000, v3
	v_lshlrev_b32_e32 v2, 16, v2
	v_lshrrev_b32_e32 v0, 24, v0
	v_or3_b32 v2, v3, v14, v2
	v_and_or_b32 v1, v11, s12, v1
	v_and_b32_e32 v3, 0xff, v12
	v_lshlrev_b32_e32 v1, 8, v1
	v_and_or_b32 v0, v0, s10, v3
	v_add_u32_e32 v8, 16, v8
	v_or3_b32 v0, v2, v1, v0
	v_cmp_le_i32_e32 vcc, s11, v8
	global_store_dword v[4:5], v0, off
	s_or_b64 s[0:1], vcc, s[0:1]
	v_add_co_u32_e32 v4, vcc, 64, v4
	v_add_u32_e32 v6, 0x100, v6
	v_addc_co_u32_e32 v5, vcc, 0, v5, vcc
	s_andn2_b64 exec, exec, s[0:1]
	s_cbranch_execz .LBB6_115
.LBB6_92:                               ; =>This Inner Loop Header: Depth=1
	ds_read_b128 v[0:3], v6
	v_mov_b32_e32 v11, 0x7f
	s_waitcnt lgkmcnt(0)
	v_div_scale_f32 v12, s[2:3], v10, v10, v0
	v_rcp_f32_e32 v13, v12
	v_div_scale_f32 v14, vcc, v0, v10, v0
	v_fma_f32 v15, -v12, v13, 1.0
	v_fmac_f32_e32 v13, v15, v13
	v_mul_f32_e32 v15, v14, v13
	v_fma_f32 v16, -v12, v15, v14
	v_fmac_f32_e32 v15, v16, v13
	v_fma_f32 v12, -v12, v15, v14
	v_div_fmas_f32 v12, v12, v13, v15
	v_div_fixup_f32 v0, v12, v10, v0
	v_max_f32_e32 v0, v0, v7
	v_min_f32_e32 v0, v0, v9
	v_and_b32_e32 v13, 0x7fffffff, v0
	v_cmp_gt_u32_e32 vcc, s6, v13
	v_mov_b32_e32 v12, 0x7f
	s_and_saveexec_b64 s[2:3], vcc
	s_cbranch_execz .LBB6_98
; %bb.93:                               ;   in Loop: Header=BB6_92 Depth=1
	v_cmp_lt_u32_e32 vcc, s7, v13
                                        ; implicit-def: $vgpr12
	s_and_saveexec_b64 s[4:5], vcc
	s_xor_b64 s[4:5], exec, s[4:5]
; %bb.94:                               ;   in Loop: Header=BB6_92 Depth=1
	v_bfe_u32 v12, v0, 20, 1
	v_add3_u32 v12, v0, v12, s8
	v_lshrrev_b32_e32 v12, 20, v12
; %bb.95:                               ;   in Loop: Header=BB6_92 Depth=1
	s_andn2_saveexec_b64 s[4:5], s[4:5]
; %bb.96:                               ;   in Loop: Header=BB6_92 Depth=1
	v_add_f32_e64 v12, |v0|, s9
; %bb.97:                               ;   in Loop: Header=BB6_92 Depth=1
	s_or_b64 exec, exec, s[4:5]
.LBB6_98:                               ;   in Loop: Header=BB6_92 Depth=1
	s_or_b64 exec, exec, s[2:3]
	v_div_scale_f32 v13, s[2:3], v10, v10, v1
	v_rcp_f32_e32 v14, v13
	v_div_scale_f32 v15, vcc, v1, v10, v1
	v_fma_f32 v16, -v13, v14, 1.0
	v_fmac_f32_e32 v14, v16, v14
	v_mul_f32_e32 v16, v15, v14
	v_fma_f32 v17, -v13, v16, v15
	v_fmac_f32_e32 v16, v17, v14
	v_fma_f32 v13, -v13, v16, v15
	v_div_fmas_f32 v13, v13, v14, v16
	v_div_fixup_f32 v1, v13, v10, v1
	v_max_f32_e32 v1, v1, v7
	v_min_f32_e32 v1, v1, v9
	v_and_b32_e32 v13, 0x7fffffff, v1
	v_cmp_gt_u32_e32 vcc, s6, v13
	s_and_saveexec_b64 s[2:3], vcc
	s_cbranch_execz .LBB6_104
; %bb.99:                               ;   in Loop: Header=BB6_92 Depth=1
	v_cmp_lt_u32_e32 vcc, s7, v13
                                        ; implicit-def: $vgpr11
	s_and_saveexec_b64 s[4:5], vcc
	s_xor_b64 s[4:5], exec, s[4:5]
; %bb.100:                              ;   in Loop: Header=BB6_92 Depth=1
	v_bfe_u32 v11, v1, 20, 1
	v_add3_u32 v11, v1, v11, s8
	v_lshrrev_b32_e32 v11, 20, v11
; %bb.101:                              ;   in Loop: Header=BB6_92 Depth=1
	s_andn2_saveexec_b64 s[4:5], s[4:5]
; %bb.102:                              ;   in Loop: Header=BB6_92 Depth=1
	v_add_f32_e64 v11, |v1|, s9
; %bb.103:                              ;   in Loop: Header=BB6_92 Depth=1
	s_or_b64 exec, exec, s[4:5]
.LBB6_104:                              ;   in Loop: Header=BB6_92 Depth=1
	s_or_b64 exec, exec, s[2:3]
	v_div_scale_f32 v13, s[2:3], v10, v10, v2
	v_rcp_f32_e32 v14, v13
	v_div_scale_f32 v15, vcc, v2, v10, v2
	v_fma_f32 v16, -v13, v14, 1.0
	v_fmac_f32_e32 v14, v16, v14
	v_mul_f32_e32 v16, v15, v14
	v_fma_f32 v17, -v13, v16, v15
	v_fmac_f32_e32 v16, v17, v14
	v_fma_f32 v13, -v13, v16, v15
	v_div_fmas_f32 v13, v13, v14, v16
	v_div_fixup_f32 v2, v13, v10, v2
	v_max_f32_e32 v2, v2, v7
	v_min_f32_e32 v2, v2, v9
	v_and_b32_e32 v15, 0x7fffffff, v2
	v_cmp_gt_u32_e32 vcc, s6, v15
	v_mov_b32_e32 v14, 0x7f
	v_mov_b32_e32 v13, 0x7f
	s_and_saveexec_b64 s[2:3], vcc
	s_cbranch_execz .LBB6_110
; %bb.105:                              ;   in Loop: Header=BB6_92 Depth=1
	v_cmp_lt_u32_e32 vcc, s7, v15
                                        ; implicit-def: $vgpr13
	s_and_saveexec_b64 s[4:5], vcc
	s_xor_b64 s[4:5], exec, s[4:5]
; %bb.106:                              ;   in Loop: Header=BB6_92 Depth=1
	v_bfe_u32 v13, v2, 20, 1
	v_add3_u32 v13, v2, v13, s8
	v_lshrrev_b32_e32 v13, 20, v13
; %bb.107:                              ;   in Loop: Header=BB6_92 Depth=1
	s_andn2_saveexec_b64 s[4:5], s[4:5]
; %bb.108:                              ;   in Loop: Header=BB6_92 Depth=1
	v_add_f32_e64 v13, |v2|, s9
; %bb.109:                              ;   in Loop: Header=BB6_92 Depth=1
	s_or_b64 exec, exec, s[4:5]
.LBB6_110:                              ;   in Loop: Header=BB6_92 Depth=1
	s_or_b64 exec, exec, s[2:3]
	v_div_scale_f32 v15, s[2:3], v10, v10, v3
	v_rcp_f32_e32 v16, v15
	v_div_scale_f32 v17, vcc, v3, v10, v3
	v_fma_f32 v18, -v15, v16, 1.0
	v_fmac_f32_e32 v16, v18, v16
	v_mul_f32_e32 v18, v17, v16
	v_fma_f32 v19, -v15, v18, v17
	v_fmac_f32_e32 v18, v19, v16
	v_fma_f32 v15, -v15, v18, v17
	v_div_fmas_f32 v15, v15, v16, v18
	v_div_fixup_f32 v3, v15, v10, v3
	v_max_f32_e32 v3, v3, v7
	v_min_f32_e32 v3, v3, v9
	v_and_b32_e32 v15, 0x7fffffff, v3
	v_cmp_gt_u32_e32 vcc, s6, v15
	s_and_saveexec_b64 s[2:3], vcc
	s_cbranch_execz .LBB6_91
; %bb.111:                              ;   in Loop: Header=BB6_92 Depth=1
	v_cmp_lt_u32_e32 vcc, s7, v15
                                        ; implicit-def: $vgpr14
	s_and_saveexec_b64 s[4:5], vcc
	s_xor_b64 s[4:5], exec, s[4:5]
; %bb.112:                              ;   in Loop: Header=BB6_92 Depth=1
	v_bfe_u32 v14, v3, 20, 1
	v_add3_u32 v14, v3, v14, s8
	v_lshrrev_b32_e32 v14, 20, v14
; %bb.113:                              ;   in Loop: Header=BB6_92 Depth=1
	s_andn2_saveexec_b64 s[4:5], s[4:5]
	s_cbranch_execz .LBB6_90
; %bb.114:                              ;   in Loop: Header=BB6_92 Depth=1
	v_add_f32_e64 v14, |v3|, s9
	s_branch .LBB6_90
.LBB6_115:
	s_endpgm
	.section	.rodata,"a",@progbits
	.p2align	6, 0x0
	.amdhsa_kernel _Z33per_token_group_quant_8bit_kernelIfN3c1013Float8_e4m3fnELb0ELb1EfEvPKT_PvPT3_iiifffii
		.amdhsa_group_segment_fixed_size 0
		.amdhsa_private_segment_fixed_size 0
		.amdhsa_kernarg_size 56
		.amdhsa_user_sgpr_count 6
		.amdhsa_user_sgpr_private_segment_buffer 1
		.amdhsa_user_sgpr_dispatch_ptr 0
		.amdhsa_user_sgpr_queue_ptr 0
		.amdhsa_user_sgpr_kernarg_segment_ptr 1
		.amdhsa_user_sgpr_dispatch_id 0
		.amdhsa_user_sgpr_flat_scratch_init 0
		.amdhsa_user_sgpr_kernarg_preload_length 0
		.amdhsa_user_sgpr_kernarg_preload_offset 0
		.amdhsa_user_sgpr_private_segment_size 0
		.amdhsa_uses_dynamic_stack 0
		.amdhsa_system_sgpr_private_segment_wavefront_offset 0
		.amdhsa_system_sgpr_workgroup_id_x 1
		.amdhsa_system_sgpr_workgroup_id_y 0
		.amdhsa_system_sgpr_workgroup_id_z 0
		.amdhsa_system_sgpr_workgroup_info 0
		.amdhsa_system_vgpr_workitem_id 0
		.amdhsa_next_free_vgpr 56
		.amdhsa_next_free_sgpr 21
		.amdhsa_accum_offset 56
		.amdhsa_reserve_vcc 1
		.amdhsa_reserve_flat_scratch 0
		.amdhsa_float_round_mode_32 0
		.amdhsa_float_round_mode_16_64 0
		.amdhsa_float_denorm_mode_32 3
		.amdhsa_float_denorm_mode_16_64 3
		.amdhsa_dx10_clamp 1
		.amdhsa_ieee_mode 1
		.amdhsa_fp16_overflow 0
		.amdhsa_tg_split 0
		.amdhsa_exception_fp_ieee_invalid_op 0
		.amdhsa_exception_fp_denorm_src 0
		.amdhsa_exception_fp_ieee_div_zero 0
		.amdhsa_exception_fp_ieee_overflow 0
		.amdhsa_exception_fp_ieee_underflow 0
		.amdhsa_exception_fp_ieee_inexact 0
		.amdhsa_exception_int_div_zero 0
	.end_amdhsa_kernel
	.section	.text._Z33per_token_group_quant_8bit_kernelIfN3c1013Float8_e4m3fnELb0ELb1EfEvPKT_PvPT3_iiifffii,"axG",@progbits,_Z33per_token_group_quant_8bit_kernelIfN3c1013Float8_e4m3fnELb0ELb1EfEvPKT_PvPT3_iiifffii,comdat
.Lfunc_end6:
	.size	_Z33per_token_group_quant_8bit_kernelIfN3c1013Float8_e4m3fnELb0ELb1EfEvPKT_PvPT3_iiifffii, .Lfunc_end6-_Z33per_token_group_quant_8bit_kernelIfN3c1013Float8_e4m3fnELb0ELb1EfEvPKT_PvPT3_iiifffii
                                        ; -- End function
	.section	.AMDGPU.csdata,"",@progbits
; Kernel info:
; codeLenInByte = 7892
; NumSgprs: 25
; NumVgprs: 56
; NumAgprs: 0
; TotalNumVgprs: 56
; ScratchSize: 0
; MemoryBound: 0
; FloatMode: 240
; IeeeMode: 1
; LDSByteSize: 0 bytes/workgroup (compile time only)
; SGPRBlocks: 3
; VGPRBlocks: 6
; NumSGPRsForWavesPerEU: 25
; NumVGPRsForWavesPerEU: 56
; AccumOffset: 56
; Occupancy: 8
; WaveLimiterHint : 0
; COMPUTE_PGM_RSRC2:SCRATCH_EN: 0
; COMPUTE_PGM_RSRC2:USER_SGPR: 6
; COMPUTE_PGM_RSRC2:TRAP_HANDLER: 0
; COMPUTE_PGM_RSRC2:TGID_X_EN: 1
; COMPUTE_PGM_RSRC2:TGID_Y_EN: 0
; COMPUTE_PGM_RSRC2:TGID_Z_EN: 0
; COMPUTE_PGM_RSRC2:TIDIG_COMP_CNT: 0
; COMPUTE_PGM_RSRC3_GFX90A:ACCUM_OFFSET: 13
; COMPUTE_PGM_RSRC3_GFX90A:TG_SPLIT: 0
	.section	.text._Z33per_token_group_quant_8bit_kernelIfN3c1013Float8_e4m3fnELb0ELb0EfEvPKT_PvPT3_iiifffii,"axG",@progbits,_Z33per_token_group_quant_8bit_kernelIfN3c1013Float8_e4m3fnELb0ELb0EfEvPKT_PvPT3_iiifffii,comdat
	.protected	_Z33per_token_group_quant_8bit_kernelIfN3c1013Float8_e4m3fnELb0ELb0EfEvPKT_PvPT3_iiifffii ; -- Begin function _Z33per_token_group_quant_8bit_kernelIfN3c1013Float8_e4m3fnELb0ELb0EfEvPKT_PvPT3_iiifffii
	.globl	_Z33per_token_group_quant_8bit_kernelIfN3c1013Float8_e4m3fnELb0ELb0EfEvPKT_PvPT3_iiifffii
	.p2align	8
	.type	_Z33per_token_group_quant_8bit_kernelIfN3c1013Float8_e4m3fnELb0ELb0EfEvPKT_PvPT3_iiifffii,@function
_Z33per_token_group_quant_8bit_kernelIfN3c1013Float8_e4m3fnELb0ELb0EfEvPKT_PvPT3_iiifffii: ; @_Z33per_token_group_quant_8bit_kernelIfN3c1013Float8_e4m3fnELb0ELb0EfEvPKT_PvPT3_iiifffii
; %bb.0:
	s_load_dword s16, s[4:5], 0x18
	s_load_dwordx4 s[0:3], s[4:5], 0x20
	s_load_dwordx2 s[10:11], s[4:5], 0x0
	v_lshrrev_b32_e32 v4, 4, v0
	v_and_b32_e32 v8, 15, v0
	s_waitcnt lgkmcnt(0)
	s_ashr_i32 s8, s16, 31
	s_mul_i32 s6, s6, s0
	v_add_co_u32_e32 v0, vcc, s6, v4
	v_addc_co_u32_e64 v1, s[6:7], 0, 0, vcc
	v_mul_lo_u32 v2, v1, s16
	v_mul_lo_u32 v3, v0, s8
	v_mad_u64_u32 v[12:13], s[6:7], v0, s16, 0
	v_add3_u32 v13, v13, v3, v2
	v_lshlrev_b64 v[2:3], 2, v[12:13]
	s_and_b32 s0, s16, 3
	v_mov_b32_e32 v6, s11
	v_add_co_u32_e32 v5, vcc, s10, v2
	s_cmp_eq_u32 s0, 0
	v_addc_co_u32_e32 v6, vcc, v6, v3, vcc
	v_mov_b32_e32 v11, 0
	v_and_b32_e32 v10, 15, v5
	s_cselect_b64 s[8:9], -1, 0
	s_cmp_lg_u32 s0, 0
	v_mul_lo_u32 v22, v4, s16
	v_cmp_ne_u64_e32 vcc, 0, v[10:11]
	s_cselect_b64 s[6:7], -1, 0
	v_lshl_add_u32 v9, v22, 2, 0
	s_or_b64 s[6:7], s[6:7], vcc
                                        ; implicit-def: $vgpr10
	s_and_saveexec_b64 s[12:13], s[6:7]
	s_xor_b64 s[6:7], exec, s[12:13]
	s_cbranch_execz .LBB7_12
; %bb.1:
	v_sub_u32_e32 v4, 0, v5
	v_bfe_u32 v4, v4, 2, 2
	v_min_i32_e32 v4, s16, v4
	v_cmp_gt_i32_e32 vcc, v4, v8
	v_mov_b32_e32 v10, s1
	s_and_saveexec_b64 s[12:13], vcc
	s_cbranch_execz .LBB7_3
; %bb.2:
	v_lshlrev_b32_e32 v7, 2, v8
	v_add_co_u32_e32 v10, vcc, v5, v7
	v_addc_co_u32_e32 v11, vcc, 0, v6, vcc
	global_load_dword v5, v[10:11], off
	v_max_f32_e64 v6, s1, s1
	v_add_u32_e32 v7, v9, v7
	s_waitcnt vmcnt(0)
	v_max_f32_e64 v10, |v5|, |v5|
	v_max_f32_e32 v10, v6, v10
	ds_write_b32 v7, v5
.LBB7_3:
	s_or_b64 exec, exec, s[12:13]
	v_sub_u32_e32 v11, s16, v4
	v_ashrrev_i32_e32 v6, 31, v11
	v_lshrrev_b32_e32 v6, 30, v6
	v_add_u32_e32 v6, v11, v6
	v_ashrrev_i32_e32 v5, 31, v4
	v_ashrrev_i32_e32 v14, 2, v6
	v_cmp_gt_i32_e32 vcc, v14, v8
	v_lshlrev_b32_e32 v15, 2, v4
	v_lshlrev_b64 v[4:5], 2, v[4:5]
	s_and_saveexec_b64 s[12:13], vcc
	s_cbranch_execz .LBB7_7
; %bb.4:
	v_lshlrev_b32_e32 v6, 4, v8
	v_lshl_add_u32 v7, v22, 2, v6
	v_add_co_u32_e32 v6, vcc, v2, v6
	v_add3_u32 v16, v7, v15, 0
	v_addc_co_u32_e32 v7, vcc, 0, v3, vcc
	v_add_co_u32_e32 v6, vcc, v6, v4
	v_addc_co_u32_e32 v7, vcc, v7, v5, vcc
	v_mov_b32_e32 v17, s11
	v_add_co_u32_e32 v6, vcc, s10, v6
	v_addc_co_u32_e32 v7, vcc, v7, v17, vcc
	v_add_co_u32_e32 v6, vcc, 8, v6
	v_addc_co_u32_e32 v7, vcc, 0, v7, vcc
	s_mov_b64 s[14:15], 0
	v_mov_b32_e32 v17, v8
.LBB7_5:                                ; =>This Inner Loop Header: Depth=1
	global_load_dwordx4 v[18:21], v[6:7], off offset:-8
	v_add_co_u32_e32 v6, vcc, 0x100, v6
	v_add_u32_e32 v17, 16, v17
	v_addc_co_u32_e32 v7, vcc, 0, v7, vcc
	v_cmp_ge_i32_e32 vcc, v17, v14
	s_or_b64 s[14:15], vcc, s[14:15]
	s_waitcnt vmcnt(0)
	v_max3_f32 v10, v10, |v18|, |v19|
	ds_write_b128 v16, v[18:21]
	v_add_u32_e32 v16, 0x100, v16
	v_max3_f32 v10, v10, |v20|, |v21|
	s_andn2_b64 exec, exec, s[14:15]
	s_cbranch_execnz .LBB7_5
; %bb.6:
	s_or_b64 exec, exec, s[14:15]
.LBB7_7:
	s_or_b64 exec, exec, s[12:13]
	v_lshl_add_u32 v6, v14, 2, v8
	v_cmp_lt_i32_e32 vcc, v6, v11
	s_and_saveexec_b64 s[12:13], vcc
	s_cbranch_execz .LBB7_11
; %bb.8:
	v_lshlrev_b32_e32 v7, 2, v22
	v_lshlrev_b32_e32 v14, 4, v14
	v_add3_u32 v7, v7, v14, v15
	v_lshlrev_b32_e32 v14, 2, v8
	v_add3_u32 v14, v7, v14, 0
	v_add_co_u32_e32 v4, vcc, v2, v4
	v_ashrrev_i32_e32 v7, 31, v6
	v_addc_co_u32_e32 v5, vcc, v3, v5, vcc
	v_lshlrev_b64 v[2:3], 2, v[6:7]
	v_add_co_u32_e32 v2, vcc, v4, v2
	v_addc_co_u32_e32 v3, vcc, v5, v3, vcc
	v_mov_b32_e32 v4, s11
	v_add_co_u32_e32 v2, vcc, s10, v2
	v_addc_co_u32_e32 v3, vcc, v4, v3, vcc
	s_mov_b64 s[14:15], 0
.LBB7_9:                                ; =>This Inner Loop Header: Depth=1
	global_load_dword v4, v[2:3], off
	v_add_co_u32_e32 v2, vcc, 64, v2
	v_add_u32_e32 v6, 16, v6
	v_addc_co_u32_e32 v3, vcc, 0, v3, vcc
	v_max_f32_e32 v5, v10, v10
	v_cmp_ge_i32_e32 vcc, v6, v11
	s_or_b64 s[14:15], vcc, s[14:15]
	s_waitcnt vmcnt(0)
	v_max_f32_e64 v7, |v4|, |v4|
	ds_write_b32 v14, v4
	v_add_u32_e32 v14, 64, v14
	v_max_f32_e32 v10, v5, v7
	s_andn2_b64 exec, exec, s[14:15]
	s_cbranch_execnz .LBB7_9
; %bb.10:
	s_or_b64 exec, exec, s[14:15]
.LBB7_11:
	s_or_b64 exec, exec, s[12:13]
                                        ; implicit-def: $vgpr2_vgpr3
.LBB7_12:
	s_or_saveexec_b64 s[12:13], s[6:7]
	s_load_dwordx2 s[6:7], s[4:5], 0x8
	s_xor_b64 exec, exec, s[12:13]
	s_cbranch_execz .LBB7_18
; %bb.13:
	s_ashr_i32 s0, s16, 2
	v_cmp_gt_i32_e32 vcc, s0, v8
	v_mov_b32_e32 v10, s1
	s_and_saveexec_b64 s[14:15], vcc
	s_cbranch_execz .LBB7_17
; %bb.14:
	v_lshlrev_b32_e32 v5, 4, v8
	v_add_co_u32_e32 v2, vcc, v2, v5
	v_lshlrev_b32_e32 v4, 2, v22
	v_addc_co_u32_e32 v3, vcc, 0, v3, vcc
	v_add3_u32 v4, v4, v5, 0
	v_mov_b32_e32 v5, s11
	v_add_co_u32_e32 v2, vcc, s10, v2
	v_addc_co_u32_e32 v3, vcc, v3, v5, vcc
	v_add_co_u32_e32 v2, vcc, 8, v2
	v_addc_co_u32_e32 v3, vcc, 0, v3, vcc
	s_mov_b64 s[10:11], 0
	v_mov_b32_e32 v10, s1
	v_mov_b32_e32 v5, v8
.LBB7_15:                               ; =>This Inner Loop Header: Depth=1
	global_load_dwordx4 v[14:17], v[2:3], off offset:-8
	v_add_co_u32_e32 v2, vcc, 0x100, v2
	v_add_u32_e32 v5, 16, v5
	v_addc_co_u32_e32 v3, vcc, 0, v3, vcc
	v_cmp_le_i32_e32 vcc, s0, v5
	s_or_b64 s[10:11], vcc, s[10:11]
	s_waitcnt vmcnt(0)
	v_max3_f32 v6, v10, |v14|, |v15|
	ds_write_b128 v4, v[14:17]
	v_add_u32_e32 v4, 0x100, v4
	v_max3_f32 v10, v6, |v16|, |v17|
	s_andn2_b64 exec, exec, s[10:11]
	s_cbranch_execnz .LBB7_15
; %bb.16:
	s_or_b64 exec, exec, s[10:11]
.LBB7_17:
	s_or_b64 exec, exec, s[14:15]
.LBB7_18:
	s_or_b64 exec, exec, s[12:13]
	v_mbcnt_lo_u32_b32 v2, -1, 0
	v_mbcnt_hi_u32_b32 v2, -1, v2
	v_and_b32_e32 v4, 0x70, v2
	v_xor_b32_e32 v3, 8, v2
	v_add_u32_e32 v4, 16, v4
	v_cmp_lt_i32_e32 vcc, v3, v4
	v_cndmask_b32_e32 v3, v2, v3, vcc
	v_lshlrev_b32_e32 v3, 2, v3
	ds_bpermute_b32 v3, v3, v10
	v_xor_b32_e32 v6, 4, v2
	v_max_f32_e32 v5, v10, v10
	v_cmp_lt_i32_e32 vcc, v6, v4
	s_waitcnt lgkmcnt(0)
	v_max_f32_e32 v3, v3, v3
	v_max_f32_e32 v3, v5, v3
	v_cndmask_b32_e32 v5, v2, v6, vcc
	v_lshlrev_b32_e32 v5, 2, v5
	ds_bpermute_b32 v5, v5, v3
	v_xor_b32_e32 v6, 2, v2
	v_cmp_lt_i32_e32 vcc, v6, v4
	s_waitcnt lgkmcnt(0)
	v_max_f32_e32 v5, v5, v5
	v_max_f32_e32 v3, v3, v5
	v_cndmask_b32_e32 v5, v2, v6, vcc
	v_lshlrev_b32_e32 v5, 2, v5
	ds_bpermute_b32 v5, v5, v3
	v_xor_b32_e32 v6, 1, v2
	v_cmp_lt_i32_e32 vcc, v6, v4
	v_cndmask_b32_e32 v2, v2, v6, vcc
	v_lshlrev_b32_e32 v2, 2, v2
	s_waitcnt lgkmcnt(0)
	v_max_f32_e32 v5, v5, v5
	v_max_f32_e32 v3, v3, v5
	ds_bpermute_b32 v2, v2, v3
	s_waitcnt lgkmcnt(0)
	v_max_f32_e32 v2, v2, v2
	v_max_f32_e32 v2, v3, v2
	v_div_scale_f32 v3, s[0:1], s3, s3, v2
	v_rcp_f32_e32 v4, v3
	v_div_scale_f32 v5, vcc, v2, s3, v2
	v_fma_f32 v6, -v3, v4, 1.0
	v_fmac_f32_e32 v4, v6, v4
	v_mul_f32_e32 v6, v5, v4
	v_fma_f32 v7, -v3, v6, v5
	v_fmac_f32_e32 v6, v7, v4
	v_fma_f32 v3, -v3, v6, v5
	v_div_fmas_f32 v3, v3, v4, v6
	v_div_fixup_f32 v10, v3, s3, v2
	v_cmp_eq_u32_e32 vcc, 0, v8
	s_and_saveexec_b64 s[0:1], vcc
	s_cbranch_execz .LBB7_20
; %bb.19:
	s_load_dwordx2 s[4:5], s[4:5], 0x10
	v_lshlrev_b64 v[0:1], 2, v[0:1]
	s_waitcnt lgkmcnt(0)
	v_mov_b32_e32 v2, s5
	v_add_co_u32_e32 v0, vcc, s4, v0
	v_addc_co_u32_e32 v1, vcc, v2, v1, vcc
	global_store_dword v[0:1], v10, off
.LBB7_20:
	s_or_b64 exec, exec, s[0:1]
	v_mov_b32_e32 v0, s7
	v_add_co_u32_e32 v20, vcc, s6, v12
	v_addc_co_u32_e32 v21, vcc, v0, v13, vcc
	v_and_b32_e32 v0, 15, v9
	v_mov_b32_e32 v1, 0
	v_cmp_ne_u64_e32 vcc, 0, v[0:1]
	s_xor_b64 s[0:1], s[8:9], -1
	s_or_b64 s[0:1], s[0:1], vcc
	s_barrier
	s_and_saveexec_b64 s[4:5], s[0:1]
	s_xor_b64 s[4:5], exec, s[4:5]
	s_cbranch_execz .LBB7_80
; %bb.21:
	v_sub_u32_e32 v0, 0, v9
	v_bfe_u32 v0, v0, 2, 2
	v_min_i32_e32 v14, s16, v0
	v_cmp_gt_i32_e32 vcc, v14, v8
	s_and_saveexec_b64 s[0:1], vcc
	s_cbranch_execz .LBB7_29
; %bb.22:
	v_lshl_add_u32 v0, v8, 2, v9
	ds_read_b32 v0, v0
	v_max_f32_e64 v1, s2, s2
	v_max_f32_e64 v2, s3, s3
	s_waitcnt lgkmcnt(0)
	v_div_scale_f32 v3, s[8:9], v10, v10, v0
	v_rcp_f32_e32 v4, v3
	v_div_scale_f32 v5, vcc, v0, v10, v0
	s_mov_b32 s8, 0x43f00000
	v_fma_f32 v6, -v3, v4, 1.0
	v_fmac_f32_e32 v4, v6, v4
	v_mul_f32_e32 v6, v5, v4
	v_fma_f32 v7, -v3, v6, v5
	v_fmac_f32_e32 v6, v7, v4
	v_fma_f32 v3, -v3, v6, v5
	v_div_fmas_f32 v3, v3, v4, v6
	v_div_fixup_f32 v0, v3, v10, v0
	v_max_f32_e32 v0, v0, v1
	v_min_f32_e32 v0, v0, v2
	v_and_b32_e32 v2, 0x7fffffff, v0
	v_cmp_gt_u32_e32 vcc, s8, v2
	v_mov_b32_e32 v1, 0x7f
	s_and_saveexec_b64 s[8:9], vcc
	s_cbranch_execz .LBB7_28
; %bb.23:
	s_mov_b32 s10, 0x3c7fffff
	v_cmp_lt_u32_e32 vcc, s10, v2
                                        ; implicit-def: $vgpr1
	s_and_saveexec_b64 s[10:11], vcc
	s_xor_b64 s[10:11], exec, s[10:11]
; %bb.24:
	v_bfe_u32 v1, v0, 20, 1
	s_mov_b32 s12, 0x407ffff
	v_add3_u32 v1, v0, v1, s12
	v_lshrrev_b32_e32 v1, 20, v1
; %bb.25:
	s_andn2_saveexec_b64 s[10:11], s[10:11]
; %bb.26:
	s_mov_b32 s12, 0x46800000
	v_add_f32_e64 v1, |v0|, s12
; %bb.27:
	s_or_b64 exec, exec, s[10:11]
.LBB7_28:
	s_or_b64 exec, exec, s[8:9]
	v_add_co_u32_e32 v2, vcc, v20, v8
	v_lshrrev_b32_e32 v0, 24, v0
	s_movk_i32 s8, 0x80
	v_addc_co_u32_e32 v3, vcc, 0, v21, vcc
	v_and_or_b32 v0, v0, s8, v1
	global_store_byte v[2:3], v0, off
.LBB7_29:
	s_or_b64 exec, exec, s[0:1]
	v_sub_u32_e32 v23, s16, v14
	v_ashrrev_i32_e32 v0, 31, v23
	v_lshrrev_b32_e32 v0, 30, v0
	v_ashrrev_i32_e32 v11, 31, v14
	v_add_co_u32_e32 v24, vcc, v20, v14
	v_add_u32_e32 v0, v23, v0
	v_addc_co_u32_e32 v25, vcc, v21, v11, vcc
	v_ashrrev_i32_e32 v26, 2, v0
	v_cmp_gt_i32_e32 vcc, v26, v8
	s_and_saveexec_b64 s[8:9], vcc
	s_cbranch_execz .LBB7_63
; %bb.30:
	v_xad_u32 v0, v8, -1, v26
	v_cmp_lt_u32_e32 vcc, 15, v0
	s_mov_b64 s[0:1], 0
                                        ; implicit-def: $vgpr4
                                        ; implicit-def: $vgpr27
                                        ; implicit-def: $vgpr28
	s_and_saveexec_b64 s[10:11], vcc
	s_xor_b64 s[10:11], exec, s[10:11]
	s_cbranch_execnz .LBB7_33
; %bb.31:
	s_andn2_saveexec_b64 s[10:11], s[10:11]
	s_cbranch_execnz .LBB7_36
.LBB7_32:
	s_or_b64 exec, exec, s[10:11]
	s_and_b64 exec, exec, s[0:1]
	s_cbranch_execnz .LBB7_37
	s_branch .LBB7_63
.LBB7_33:
	v_lshrrev_b32_e32 v0, 4, v0
	v_add_u32_e32 v29, 1, v0
	v_lshlrev_b32_e32 v27, 2, v22
	v_and_b32_e32 v30, 0x1ffffffe, v29
	v_or_b32_e32 v9, 16, v8
	s_mov_b32 s0, s2
	s_mov_b32 s1, s2
	;; [unrolled: 1-line block ×4, first 2 shown]
	v_lshl_add_u32 v0, v8, 4, v27
	v_lshlrev_b32_e32 v28, 2, v14
	v_mov_b32_e32 v15, v10
	v_add3_u32 v31, v0, v28, 0
	s_mov_b64 s[12:13], 0
	v_max_f32_e64 v32, s1, s1
	v_max_f32_e64 v33, s0, s0
	v_max_f32_e64 v34, s14, s14
	v_max_f32_e64 v35, s15, s15
	s_mov_b32 s15, 0x7700000
	s_mov_b32 s17, 0x407ffff
	;; [unrolled: 1-line block ×4, first 2 shown]
	v_mov_b32_e32 v36, 0x7f000000
	v_mov_b32_e32 v37, 0x7f
	s_movk_i32 s19, 0x80
	v_mov_b32_e32 v17, 0
	v_mov_b32_e32 v38, v30
	v_pk_mov_b32 v[18:19], v[8:9], v[8:9] op_sel:[0,1]
.LBB7_34:                               ; =>This Inner Loop Header: Depth=1
	ds_read_b128 v[4:7], v31
	ds_read_b128 v[0:3], v31 offset:256
	v_add_u32_e32 v38, -2, v38
	v_add_u32_e32 v31, 0x200, v31
	s_waitcnt lgkmcnt(1)
	v_div_scale_f32 v9, s[0:1], v10, v10, v4
	v_rcp_f32_e32 v16, v9
	v_fma_f32 v20, -v9, v16, 1.0
	v_fmac_f32_e32 v16, v20, v16
	v_div_scale_f32 v20, vcc, v4, v10, v4
	v_mul_f32_e32 v21, v20, v16
	v_fma_f32 v39, -v9, v21, v20
	v_fmac_f32_e32 v21, v39, v16
	v_fma_f32 v9, -v9, v21, v20
	v_div_fmas_f32 v9, v9, v16, v21
	v_div_fixup_f32 v4, v9, v10, v4
	s_waitcnt lgkmcnt(0)
	v_div_scale_f32 v9, s[0:1], v15, v15, v0
	v_rcp_f32_e32 v16, v9
	v_max_f32_e32 v4, v4, v33
	v_min_f32_e32 v4, v4, v34
	v_fma_f32 v20, -v9, v16, 1.0
	v_fmac_f32_e32 v16, v20, v16
	v_div_scale_f32 v20, vcc, v0, v15, v0
	v_mul_f32_e32 v21, v20, v16
	v_fma_f32 v39, -v9, v21, v20
	v_fmac_f32_e32 v21, v39, v16
	v_fma_f32 v9, -v9, v21, v20
	v_div_fmas_f32 v9, v9, v16, v21
	v_div_fixup_f32 v0, v9, v15, v0
	v_max_f32_e32 v0, v0, v32
	v_min_f32_e32 v0, v0, v35
	v_and_b32_e32 v20, 0x7fffffff, v4
	v_and_b32_e32 v21, 0x7fffffff, v0
	v_add_u32_e32 v16, 0xc3800000, v20
	v_add_u32_e32 v9, 0xc3800000, v21
	v_cmp_gt_u32_e32 vcc, s15, v16
	v_bfe_u32 v16, v0, 20, 1
	v_cmp_gt_u32_e64 s[0:1], s15, v9
	v_bfe_u32 v9, v4, 20, 1
	v_add3_u32 v16, v0, v16, s17
	v_add3_u32 v9, v4, v9, s17
	v_lshrrev_b32_e32 v16, 20, v16
	v_pk_add_f32 v[40:41], v[20:21], s[14:15] op_sel_hi:[1,0]
	v_lshrrev_b32_e32 v9, 20, v9
	v_cndmask_b32_e64 v16, v41, v16, s[0:1]
	v_lshrrev_b32_e32 v39, 24, v0
	v_div_scale_f32 v0, s[0:1], v10, v10, v5
	v_cndmask_b32_e32 v9, v40, v9, vcc
	v_lshrrev_b32_e32 v40, 24, v4
	v_rcp_f32_e32 v4, v0
	v_and_b32_e32 v41, 0xff, v16
	v_and_b32_e32 v9, 0xff, v9
	v_fma_f32 v16, -v0, v4, 1.0
	v_fmac_f32_e32 v4, v16, v4
	v_div_scale_f32 v16, vcc, v5, v10, v5
	v_mul_f32_e32 v42, v16, v4
	v_fma_f32 v43, -v0, v42, v16
	v_fmac_f32_e32 v42, v43, v4
	v_fma_f32 v0, -v0, v42, v16
	v_div_fmas_f32 v0, v0, v4, v42
	v_div_scale_f32 v4, s[0:1], v15, v15, v1
	v_div_fixup_f32 v0, v0, v10, v5
	v_rcp_f32_e32 v5, v4
	v_max_f32_e32 v0, v0, v33
	v_fma_f32 v16, -v4, v5, 1.0
	v_fmac_f32_e32 v5, v16, v5
	v_div_scale_f32 v16, vcc, v1, v15, v1
	v_mul_f32_e32 v42, v16, v5
	v_fma_f32 v43, -v4, v42, v16
	v_fmac_f32_e32 v42, v43, v5
	v_fma_f32 v4, -v4, v42, v16
	v_div_fmas_f32 v4, v4, v5, v42
	v_div_fixup_f32 v1, v4, v15, v1
	v_max_f32_e32 v1, v1, v32
	v_min_f32_e32 v16, v0, v34
	v_min_f32_e32 v44, v1, v35
	v_and_b32_e32 v1, 0x7fffffff, v44
	v_and_b32_e32 v0, 0x7fffffff, v16
	v_add_u32_e32 v4, 0xc3800000, v0
	v_add_u32_e32 v5, 0xc3800000, v1
	v_cmp_gt_u32_e32 vcc, s15, v5
	v_cmp_gt_u32_e64 s[0:1], s15, v4
	v_bfe_u32 v4, v44, 20, 1
	v_bfe_u32 v5, v16, 20, 1
	v_add3_u32 v5, v16, v5, s17
	v_add3_u32 v4, v44, v4, s17
	v_lshrrev_b32_e32 v42, 20, v4
	v_lshrrev_b32_e32 v43, 20, v5
	v_pk_add_f32 v[4:5], v[0:1], s[14:15] op_sel_hi:[1,0]
	v_cndmask_b32_e64 v4, v4, v43, s[0:1]
	v_cndmask_b32_e32 v5, v5, v42, vcc
	v_and_b32_e32 v45, 0xff, v4
	v_div_scale_f32 v4, s[0:1], v10, v10, v6
	v_and_b32_e32 v42, 0xff, v5
	v_rcp_f32_e32 v5, v4
	v_lshrrev_b32_e32 v43, 24, v16
	v_lshrrev_b32_e32 v44, 24, v44
	v_fma_f32 v16, -v4, v5, 1.0
	v_fmac_f32_e32 v5, v16, v5
	v_div_scale_f32 v16, vcc, v6, v10, v6
	v_mul_f32_e32 v46, v16, v5
	v_fma_f32 v47, -v4, v46, v16
	v_fmac_f32_e32 v46, v47, v5
	v_fma_f32 v4, -v4, v46, v16
	v_div_fmas_f32 v4, v4, v5, v46
	v_div_scale_f32 v5, s[0:1], v15, v15, v2
	v_div_fixup_f32 v4, v4, v10, v6
	v_rcp_f32_e32 v6, v5
	v_max_f32_e32 v4, v4, v33
	v_fma_f32 v16, -v5, v6, 1.0
	v_fmac_f32_e32 v6, v16, v6
	v_div_scale_f32 v16, vcc, v2, v15, v2
	v_mul_f32_e32 v46, v16, v6
	v_fma_f32 v47, -v5, v46, v16
	v_fmac_f32_e32 v46, v47, v6
	v_fma_f32 v5, -v5, v46, v16
	v_div_fmas_f32 v5, v5, v6, v46
	v_div_fixup_f32 v2, v5, v15, v2
	v_max_f32_e32 v2, v2, v32
	v_min_f32_e32 v16, v4, v34
	v_min_f32_e32 v2, v2, v35
	v_and_b32_e32 v5, 0x7fffffff, v2
	v_and_b32_e32 v4, 0x7fffffff, v16
	v_add_u32_e32 v6, 0xc3800000, v5
	v_add_u32_e32 v46, 0xc3800000, v4
	v_cmp_gt_u32_e32 vcc, s15, v46
	v_cmp_gt_u32_e64 s[0:1], s15, v6
	v_bfe_u32 v6, v16, 20, 1
	v_bfe_u32 v46, v2, 20, 1
	v_add3_u32 v46, v2, v46, s17
	v_add3_u32 v6, v16, v6, s17
	v_lshrrev_b32_e32 v6, 20, v6
	v_lshrrev_b32_e32 v48, 20, v46
	v_pk_add_f32 v[46:47], v[4:5], s[14:15] op_sel_hi:[1,0]
	v_cndmask_b32_e64 v47, v47, v48, s[0:1]
	v_cndmask_b32_e32 v6, v46, v6, vcc
	v_lshrrev_b32_e32 v46, 24, v2
	v_div_scale_f32 v2, s[0:1], v10, v10, v7
	v_and_b32_e32 v48, 0xff, v47
	v_lshrrev_b32_e32 v47, 24, v16
	v_rcp_f32_e32 v16, v2
	v_and_b32_e32 v6, 0xff, v6
	v_fma_f32 v49, -v2, v16, 1.0
	v_fmac_f32_e32 v16, v49, v16
	v_div_scale_f32 v49, vcc, v7, v10, v7
	v_mul_f32_e32 v50, v49, v16
	v_fma_f32 v51, -v2, v50, v49
	v_fmac_f32_e32 v50, v51, v16
	v_fma_f32 v2, -v2, v50, v49
	v_div_fmas_f32 v2, v2, v16, v50
	v_div_fixup_f32 v2, v2, v10, v7
	v_div_scale_f32 v7, s[0:1], v15, v15, v3
	v_rcp_f32_e32 v16, v7
	v_max_f32_e32 v2, v2, v33
	v_fma_f32 v49, -v7, v16, 1.0
	v_fmac_f32_e32 v16, v49, v16
	v_div_scale_f32 v49, vcc, v3, v15, v3
	v_mul_f32_e32 v50, v49, v16
	v_fma_f32 v51, -v7, v50, v49
	v_fmac_f32_e32 v50, v51, v16
	v_fma_f32 v7, -v7, v50, v49
	v_div_fmas_f32 v7, v7, v16, v50
	v_div_fixup_f32 v3, v7, v15, v3
	v_max_f32_e32 v3, v3, v32
	v_min_f32_e32 v7, v2, v34
	v_min_f32_e32 v49, v3, v35
	v_and_b32_e32 v3, 0x7fffffff, v49
	v_and_b32_e32 v2, 0x7fffffff, v7
	v_add_u32_e32 v16, 0xc3800000, v3
	v_add_u32_e32 v50, 0xc3800000, v2
	v_cmp_gt_u32_e32 vcc, s15, v50
	v_cmp_gt_u32_e64 s[0:1], s15, v16
	v_bfe_u32 v16, v7, 20, 1
	v_bfe_u32 v50, v49, 20, 1
	v_add3_u32 v50, v49, v50, s17
	v_add3_u32 v16, v7, v16, s17
	v_lshrrev_b32_e32 v16, 20, v16
	v_lshrrev_b32_e32 v52, 20, v50
	v_pk_add_f32 v[50:51], v[2:3], s[14:15] op_sel_hi:[1,0]
	v_cndmask_b32_e32 v16, v50, v16, vcc
	v_cndmask_b32_e64 v51, v51, v52, s[0:1]
	v_lshlrev_b32_e32 v54, 24, v16
	v_mov_b32_e32 v16, v18
	v_lshlrev_b32_e32 v55, 24, v51
	v_lshlrev_b64 v[50:51], 2, v[16:17]
	v_add_co_u32_e32 v50, vcc, v24, v50
	v_mov_b32_e32 v16, v19
	v_addc_co_u32_e32 v51, vcc, v25, v51, vcc
	v_lshlrev_b64 v[52:53], 2, v[16:17]
	v_add_co_u32_e32 v52, vcc, v24, v52
	v_addc_co_u32_e32 v53, vcc, v25, v53, vcc
	v_cmp_gt_u32_e32 vcc, s18, v3
	v_cndmask_b32_e32 v3, v36, v55, vcc
	v_cmp_gt_u32_e32 vcc, s18, v2
	v_cndmask_b32_e32 v2, v36, v54, vcc
	;; [unrolled: 2-line block ×4, first 2 shown]
	v_cmp_gt_u32_e32 vcc, s18, v0
	v_and_or_b32 v4, v47, s19, v4
	v_cndmask_b32_e32 v0, v37, v45, vcc
	v_cmp_gt_u32_e32 vcc, s18, v1
	v_and_b32_e32 v7, 0x80000000, v7
	v_and_or_b32 v5, v46, s19, v5
	v_lshlrev_b32_e32 v4, 16, v4
	v_cndmask_b32_e32 v1, v37, v42, vcc
	v_cmp_gt_u32_e32 vcc, s18, v21
	v_and_b32_e32 v16, 0x80000000, v49
	v_lshlrev_b32_e32 v5, 16, v5
	v_or3_b32 v2, v7, v2, v4
	v_cndmask_b32_e32 v4, v37, v41, vcc
	v_cmp_gt_u32_e32 vcc, s18, v20
	v_or3_b32 v3, v16, v3, v5
	v_and_or_b32 v0, v43, s19, v0
	v_cndmask_b32_e32 v5, v37, v9, vcc
	v_and_or_b32 v1, v44, s19, v1
	v_lshlrev_b32_e32 v0, 8, v0
	v_and_or_b32 v5, v40, s19, v5
	v_cmp_eq_u32_e32 vcc, 0, v38
	v_lshlrev_b32_e32 v1, 8, v1
	v_and_or_b32 v4, v39, s19, v4
	v_or3_b32 v0, v2, v0, v5
	v_add_u32_e32 v19, 32, v19
	v_add_u32_e32 v18, 32, v18
	s_or_b64 s[12:13], vcc, s[12:13]
	v_or3_b32 v1, v3, v1, v4
	global_store_dword v[50:51], v0, off
	global_store_dword v[52:53], v1, off
	s_andn2_b64 exec, exec, s[12:13]
	s_cbranch_execnz .LBB7_34
; %bb.35:
	s_or_b64 exec, exec, s[12:13]
	v_cmp_ne_u32_e32 vcc, v29, v30
	v_lshl_or_b32 v4, v30, 4, v8
	s_and_b64 s[0:1], vcc, exec
	s_andn2_saveexec_b64 s[10:11], s[10:11]
	s_cbranch_execz .LBB7_32
.LBB7_36:
	v_lshlrev_b32_e32 v27, 2, v22
	v_lshlrev_b32_e32 v28, 2, v14
	s_or_b64 s[0:1], s[0:1], exec
	v_mov_b32_e32 v4, v8
	s_or_b64 exec, exec, s[10:11]
	s_and_b64 exec, exec, s[0:1]
	s_cbranch_execz .LBB7_63
.LBB7_37:
	v_lshl_add_u32 v0, v4, 4, v27
	v_add_co_u32_e32 v2, vcc, v14, v12
	v_mov_b32_e32 v5, 0
	v_add3_u32 v9, v0, v28, 0
	v_addc_co_u32_e32 v3, vcc, v11, v13, vcc
	v_lshlrev_b64 v[0:1], 2, v[4:5]
	v_add_co_u32_e32 v0, vcc, v2, v0
	v_addc_co_u32_e32 v1, vcc, v3, v1, vcc
	v_mov_b32_e32 v2, s7
	v_add_co_u32_e32 v6, vcc, s6, v0
	v_addc_co_u32_e32 v7, vcc, v2, v1, vcc
	s_mov_b64 s[0:1], 0
	v_max_f32_e64 v5, s2, s2
	v_max_f32_e64 v15, s3, s3
	s_mov_b32 s14, 0x43f00000
	s_mov_b32 s15, 0x3c7fffff
	s_mov_b32 s17, 0x407ffff
	s_mov_b32 s18, 0x46800000
	s_movk_i32 s19, 0x80
	s_movk_i32 s20, 0xff
	s_branch .LBB7_40
.LBB7_38:                               ;   in Loop: Header=BB7_40 Depth=1
	s_or_b64 exec, exec, s[12:13]
.LBB7_39:                               ;   in Loop: Header=BB7_40 Depth=1
	s_or_b64 exec, exec, s[10:11]
	v_and_b32_sdwa v2, v2, s19 dst_sel:DWORD dst_unused:UNUSED_PAD src0_sel:BYTE_3 src1_sel:DWORD
	v_and_or_b32 v2, v18, s20, v2
	v_and_b32_sdwa v1, v1, s19 dst_sel:DWORD dst_unused:UNUSED_PAD src0_sel:BYTE_3 src1_sel:DWORD
	v_lshlrev_b32_e32 v19, 24, v19
	v_and_b32_e32 v3, 0x80000000, v3
	v_lshlrev_b32_e32 v2, 16, v2
	v_lshrrev_b32_e32 v0, 24, v0
	v_or3_b32 v2, v3, v19, v2
	v_and_or_b32 v1, v16, s20, v1
	v_and_b32_e32 v3, 0xff, v17
	v_lshlrev_b32_e32 v1, 8, v1
	v_and_or_b32 v0, v0, s19, v3
	v_add_u32_e32 v4, 16, v4
	v_or3_b32 v0, v2, v1, v0
	v_cmp_ge_i32_e32 vcc, v4, v26
	global_store_dword v[6:7], v0, off
	s_or_b64 s[0:1], vcc, s[0:1]
	v_add_co_u32_e32 v6, vcc, 64, v6
	v_add_u32_e32 v9, 0x100, v9
	v_addc_co_u32_e32 v7, vcc, 0, v7, vcc
	s_andn2_b64 exec, exec, s[0:1]
	s_cbranch_execz .LBB7_63
.LBB7_40:                               ; =>This Inner Loop Header: Depth=1
	ds_read_b128 v[0:3], v9
	v_mov_b32_e32 v16, 0x7f
	s_waitcnt lgkmcnt(0)
	v_div_scale_f32 v17, s[10:11], v10, v10, v0
	v_rcp_f32_e32 v18, v17
	v_div_scale_f32 v19, vcc, v0, v10, v0
	v_fma_f32 v20, -v17, v18, 1.0
	v_fmac_f32_e32 v18, v20, v18
	v_mul_f32_e32 v20, v19, v18
	v_fma_f32 v21, -v17, v20, v19
	v_fmac_f32_e32 v20, v21, v18
	v_fma_f32 v17, -v17, v20, v19
	v_div_fmas_f32 v17, v17, v18, v20
	v_div_fixup_f32 v0, v17, v10, v0
	v_max_f32_e32 v0, v0, v5
	v_min_f32_e32 v0, v0, v15
	v_and_b32_e32 v18, 0x7fffffff, v0
	v_cmp_gt_u32_e32 vcc, s14, v18
	v_mov_b32_e32 v17, 0x7f
	s_and_saveexec_b64 s[10:11], vcc
	s_cbranch_execz .LBB7_46
; %bb.41:                               ;   in Loop: Header=BB7_40 Depth=1
	v_cmp_lt_u32_e32 vcc, s15, v18
                                        ; implicit-def: $vgpr17
	s_and_saveexec_b64 s[12:13], vcc
	s_xor_b64 s[12:13], exec, s[12:13]
; %bb.42:                               ;   in Loop: Header=BB7_40 Depth=1
	v_bfe_u32 v17, v0, 20, 1
	v_add3_u32 v17, v0, v17, s17
	v_lshrrev_b32_e32 v17, 20, v17
; %bb.43:                               ;   in Loop: Header=BB7_40 Depth=1
	s_andn2_saveexec_b64 s[12:13], s[12:13]
; %bb.44:                               ;   in Loop: Header=BB7_40 Depth=1
	v_add_f32_e64 v17, |v0|, s18
; %bb.45:                               ;   in Loop: Header=BB7_40 Depth=1
	s_or_b64 exec, exec, s[12:13]
.LBB7_46:                               ;   in Loop: Header=BB7_40 Depth=1
	s_or_b64 exec, exec, s[10:11]
	v_div_scale_f32 v18, s[10:11], v10, v10, v1
	v_rcp_f32_e32 v19, v18
	v_div_scale_f32 v20, vcc, v1, v10, v1
	v_fma_f32 v21, -v18, v19, 1.0
	v_fmac_f32_e32 v19, v21, v19
	v_mul_f32_e32 v21, v20, v19
	v_fma_f32 v27, -v18, v21, v20
	v_fmac_f32_e32 v21, v27, v19
	v_fma_f32 v18, -v18, v21, v20
	v_div_fmas_f32 v18, v18, v19, v21
	v_div_fixup_f32 v1, v18, v10, v1
	v_max_f32_e32 v1, v1, v5
	v_min_f32_e32 v1, v1, v15
	v_and_b32_e32 v18, 0x7fffffff, v1
	v_cmp_gt_u32_e32 vcc, s14, v18
	s_and_saveexec_b64 s[10:11], vcc
	s_cbranch_execz .LBB7_52
; %bb.47:                               ;   in Loop: Header=BB7_40 Depth=1
	v_cmp_lt_u32_e32 vcc, s15, v18
                                        ; implicit-def: $vgpr16
	s_and_saveexec_b64 s[12:13], vcc
	s_xor_b64 s[12:13], exec, s[12:13]
; %bb.48:                               ;   in Loop: Header=BB7_40 Depth=1
	v_bfe_u32 v16, v1, 20, 1
	v_add3_u32 v16, v1, v16, s17
	v_lshrrev_b32_e32 v16, 20, v16
; %bb.49:                               ;   in Loop: Header=BB7_40 Depth=1
	s_andn2_saveexec_b64 s[12:13], s[12:13]
; %bb.50:                               ;   in Loop: Header=BB7_40 Depth=1
	v_add_f32_e64 v16, |v1|, s18
; %bb.51:                               ;   in Loop: Header=BB7_40 Depth=1
	s_or_b64 exec, exec, s[12:13]
.LBB7_52:                               ;   in Loop: Header=BB7_40 Depth=1
	s_or_b64 exec, exec, s[10:11]
	v_div_scale_f32 v18, s[10:11], v10, v10, v2
	v_rcp_f32_e32 v19, v18
	v_div_scale_f32 v20, vcc, v2, v10, v2
	v_fma_f32 v21, -v18, v19, 1.0
	v_fmac_f32_e32 v19, v21, v19
	v_mul_f32_e32 v21, v20, v19
	v_fma_f32 v27, -v18, v21, v20
	v_fmac_f32_e32 v21, v27, v19
	v_fma_f32 v18, -v18, v21, v20
	v_div_fmas_f32 v18, v18, v19, v21
	v_div_fixup_f32 v2, v18, v10, v2
	v_max_f32_e32 v2, v2, v5
	v_min_f32_e32 v2, v2, v15
	v_and_b32_e32 v20, 0x7fffffff, v2
	v_cmp_gt_u32_e32 vcc, s14, v20
	v_mov_b32_e32 v19, 0x7f
	v_mov_b32_e32 v18, 0x7f
	s_and_saveexec_b64 s[10:11], vcc
	s_cbranch_execz .LBB7_58
; %bb.53:                               ;   in Loop: Header=BB7_40 Depth=1
	v_cmp_lt_u32_e32 vcc, s15, v20
                                        ; implicit-def: $vgpr18
	s_and_saveexec_b64 s[12:13], vcc
	s_xor_b64 s[12:13], exec, s[12:13]
; %bb.54:                               ;   in Loop: Header=BB7_40 Depth=1
	v_bfe_u32 v18, v2, 20, 1
	v_add3_u32 v18, v2, v18, s17
	v_lshrrev_b32_e32 v18, 20, v18
; %bb.55:                               ;   in Loop: Header=BB7_40 Depth=1
	s_andn2_saveexec_b64 s[12:13], s[12:13]
; %bb.56:                               ;   in Loop: Header=BB7_40 Depth=1
	v_add_f32_e64 v18, |v2|, s18
; %bb.57:                               ;   in Loop: Header=BB7_40 Depth=1
	s_or_b64 exec, exec, s[12:13]
.LBB7_58:                               ;   in Loop: Header=BB7_40 Depth=1
	s_or_b64 exec, exec, s[10:11]
	v_div_scale_f32 v20, s[10:11], v10, v10, v3
	v_rcp_f32_e32 v21, v20
	v_div_scale_f32 v27, vcc, v3, v10, v3
	v_fma_f32 v28, -v20, v21, 1.0
	v_fmac_f32_e32 v21, v28, v21
	v_mul_f32_e32 v28, v27, v21
	v_fma_f32 v29, -v20, v28, v27
	v_fmac_f32_e32 v28, v29, v21
	v_fma_f32 v20, -v20, v28, v27
	v_div_fmas_f32 v20, v20, v21, v28
	v_div_fixup_f32 v3, v20, v10, v3
	v_max_f32_e32 v3, v3, v5
	v_min_f32_e32 v3, v3, v15
	v_and_b32_e32 v20, 0x7fffffff, v3
	v_cmp_gt_u32_e32 vcc, s14, v20
	s_and_saveexec_b64 s[10:11], vcc
	s_cbranch_execz .LBB7_39
; %bb.59:                               ;   in Loop: Header=BB7_40 Depth=1
	v_cmp_lt_u32_e32 vcc, s15, v20
                                        ; implicit-def: $vgpr19
	s_and_saveexec_b64 s[12:13], vcc
	s_xor_b64 s[12:13], exec, s[12:13]
; %bb.60:                               ;   in Loop: Header=BB7_40 Depth=1
	v_bfe_u32 v19, v3, 20, 1
	v_add3_u32 v19, v3, v19, s17
	v_lshrrev_b32_e32 v19, 20, v19
; %bb.61:                               ;   in Loop: Header=BB7_40 Depth=1
	s_andn2_saveexec_b64 s[12:13], s[12:13]
	s_cbranch_execz .LBB7_38
; %bb.62:                               ;   in Loop: Header=BB7_40 Depth=1
	v_add_f32_e64 v19, |v3|, s18
	s_branch .LBB7_38
.LBB7_63:
	s_or_b64 exec, exec, s[8:9]
	v_lshlrev_b32_e32 v2, 2, v26
	v_add_u32_e32 v0, v2, v8
	v_cmp_lt_i32_e32 vcc, v0, v23
	s_and_saveexec_b64 s[8:9], vcc
	s_cbranch_execz .LBB7_79
; %bb.64:
	v_add_u32_e32 v1, 16, v0
	v_max_i32_e32 v3, v1, v23
	v_xad_u32 v3, v8, -1, v3
	v_sub_u32_e32 v3, v3, v2
	v_cmp_lt_u32_e32 vcc, 15, v3
	s_mov_b64 s[0:1], 0
	v_lshlrev_b32_e32 v2, 2, v14
                                        ; implicit-def: $vgpr6
	s_and_saveexec_b64 s[10:11], vcc
	s_xor_b64 s[10:11], exec, s[10:11]
	s_cbranch_execnz .LBB7_67
; %bb.65:
	s_andn2_saveexec_b64 s[10:11], s[10:11]
	s_cbranch_execnz .LBB7_70
.LBB7_66:
	s_or_b64 exec, exec, s[10:11]
	s_and_b64 exec, exec, s[0:1]
	s_cbranch_execnz .LBB7_71
	s_branch .LBB7_79
.LBB7_67:
	v_lshrrev_b32_e32 v2, 4, v3
	v_add_u32_e32 v7, 1, v2
	v_lshlrev_b32_e32 v6, 2, v22
	v_lshlrev_b32_e32 v4, 4, v26
	;; [unrolled: 1-line block ×3, first 2 shown]
	v_and_b32_e32 v9, 0x1ffffffe, v7
	s_mov_b32 s0, s2
	s_mov_b32 s1, s2
	;; [unrolled: 1-line block ×4, first 2 shown]
	v_add3_u32 v4, v6, v4, v2
	v_lshlrev_b32_e32 v5, 2, v8
	v_mov_b32_e32 v3, v10
	v_add3_u32 v8, v4, v5, 0
	s_mov_b64 s[12:13], 0
	v_max_f32_e64 v15, s1, s1
	v_max_f32_e64 v16, s0, s0
	;; [unrolled: 1-line block ×4, first 2 shown]
	s_mov_b32 s15, 0x43f00000
	s_mov_b32 s17, 0x7700000
	;; [unrolled: 1-line block ×4, first 2 shown]
	v_mov_b32_e32 v19, 0x7f
	s_movk_i32 s19, 0x80
	v_mov_b32_e32 v20, v9
	v_pk_mov_b32 v[4:5], v[0:1], v[0:1] op_sel:[0,1]
.LBB7_68:                               ; =>This Inner Loop Header: Depth=1
	ds_read2_b32 v[26:27], v8 offset1:16
	v_ashrrev_i32_e32 v21, 31, v4
	v_add_co_u32_e32 v28, vcc, v24, v4
	v_mov_b32_e32 v22, v5
	v_addc_co_u32_e32 v29, vcc, v25, v21, vcc
	v_ashrrev_i32_e32 v1, 31, v5
	v_add_co_u32_e32 v30, vcc, v24, v22
	v_addc_co_u32_e32 v31, vcc, v25, v1, vcc
	s_waitcnt lgkmcnt(0)
	v_div_scale_f32 v1, s[0:1], v10, v10, v26
	v_div_scale_f32 v22, s[0:1], v3, v3, v27
	v_rcp_f32_e32 v33, v1
	v_rcp_f32_e32 v34, v22
	v_add_u32_e32 v20, -2, v20
	v_cmp_eq_u32_e32 vcc, 0, v20
	v_fma_f32 v35, -v1, v33, 1.0
	s_or_b64 s[12:13], vcc, s[12:13]
	v_div_scale_f32 v21, vcc, v26, v10, v26
	v_fma_f32 v36, -v22, v34, 1.0
	v_fmac_f32_e32 v33, v35, v33
	v_div_scale_f32 v32, s[0:1], v27, v3, v27
	v_fmac_f32_e32 v34, v36, v34
	v_mul_f32_e32 v35, v21, v33
	v_mul_f32_e32 v36, v32, v34
	v_fma_f32 v37, -v1, v35, v21
	v_fma_f32 v38, -v22, v36, v32
	v_fmac_f32_e32 v35, v37, v33
	v_fmac_f32_e32 v36, v38, v34
	v_fma_f32 v1, -v1, v35, v21
	v_fma_f32 v21, -v22, v36, v32
	v_div_fmas_f32 v1, v1, v33, v35
	s_mov_b64 vcc, s[0:1]
	v_div_fixup_f32 v1, v1, v10, v26
	v_div_fmas_f32 v21, v21, v34, v36
	v_div_fixup_f32 v21, v21, v3, v27
	v_max_f32_e32 v1, v1, v16
	v_max_f32_e32 v21, v21, v15
	v_min_f32_e32 v1, v1, v17
	v_min_f32_e32 v21, v21, v18
	v_and_b32_e32 v26, 0x7fffffff, v1
	v_bfe_u32 v22, v1, 20, 1
	v_lshrrev_b32_e32 v34, 24, v1
	v_and_b32_e32 v27, 0x7fffffff, v21
	v_add_u32_e32 v35, 0xc3800000, v26
	v_bfe_u32 v32, v21, 20, 1
	v_add3_u32 v1, v1, v22, s18
	v_lshrrev_b32_e32 v22, 24, v21
	v_add_u32_e32 v36, 0xc3800000, v27
	v_add3_u32 v21, v21, v32, s18
	v_lshrrev_b32_e32 v1, 20, v1
	v_pk_add_f32 v[32:33], v[26:27], s[14:15] op_sel_hi:[1,0]
	v_cmp_gt_u32_e32 vcc, s17, v35
	v_cndmask_b32_e32 v1, v32, v1, vcc
	v_cmp_gt_u32_e32 vcc, s15, v26
	v_lshrrev_b32_e32 v21, 20, v21
	v_cmp_gt_u32_e64 s[0:1], s17, v36
	v_cndmask_b32_e64 v21, v33, v21, s[0:1]
	v_cndmask_b32_e32 v1, v19, v1, vcc
	v_cmp_gt_u32_e32 vcc, s15, v27
	v_add_u32_e32 v5, 32, v5
	v_add_u32_e32 v4, 32, v4
	;; [unrolled: 1-line block ×3, first 2 shown]
	v_cndmask_b32_e32 v21, v19, v21, vcc
	v_and_or_b32 v1, v34, s19, v1
	v_and_or_b32 v21, v22, s19, v21
	global_store_byte v[28:29], v1, off
	global_store_byte v[30:31], v21, off
	s_andn2_b64 exec, exec, s[12:13]
	s_cbranch_execnz .LBB7_68
; %bb.69:
	s_or_b64 exec, exec, s[12:13]
	v_cmp_ne_u32_e32 vcc, v7, v9
	v_lshl_add_u32 v0, v9, 4, v0
	s_and_b64 s[0:1], vcc, exec
                                        ; implicit-def: $vgpr22
	s_andn2_saveexec_b64 s[10:11], s[10:11]
	s_cbranch_execz .LBB7_66
.LBB7_70:
	v_lshlrev_b32_e32 v6, 2, v22
	s_or_b64 s[0:1], s[0:1], exec
	s_or_b64 exec, exec, s[10:11]
	s_and_b64 exec, exec, s[0:1]
	s_cbranch_execz .LBB7_79
.LBB7_71:
	v_lshl_add_u32 v1, v0, 2, v6
	v_add3_u32 v1, v1, v2, 0
	v_add_co_u32_e32 v2, vcc, v14, v12
	v_addc_co_u32_e32 v3, vcc, v11, v13, vcc
	v_ashrrev_i32_e32 v4, 31, v0
	v_add_co_u32_e32 v2, vcc, v2, v0
	v_addc_co_u32_e32 v3, vcc, v3, v4, vcc
	v_mov_b32_e32 v4, s7
	v_add_co_u32_e32 v2, vcc, s6, v2
	v_addc_co_u32_e32 v3, vcc, v4, v3, vcc
	s_mov_b64 s[0:1], 0
	v_max_f32_e64 v4, s2, s2
	v_max_f32_e64 v5, s3, s3
	s_mov_b32 s14, 0x43f00000
	s_mov_b32 s15, 0x3c7fffff
	;; [unrolled: 1-line block ×4, first 2 shown]
	s_movk_i32 s19, 0x80
	s_branch .LBB7_74
.LBB7_72:                               ;   in Loop: Header=BB7_74 Depth=1
	s_or_b64 exec, exec, s[12:13]
.LBB7_73:                               ;   in Loop: Header=BB7_74 Depth=1
	s_or_b64 exec, exec, s[10:11]
	v_lshrrev_b32_e32 v6, 24, v6
	v_add_u32_e32 v0, 16, v0
	v_and_or_b32 v6, v6, s19, v7
	v_cmp_ge_i32_e32 vcc, v0, v23
	global_store_byte v[2:3], v6, off
	s_or_b64 s[0:1], vcc, s[0:1]
	v_add_co_u32_e32 v2, vcc, 16, v2
	v_add_u32_e32 v1, 64, v1
	v_addc_co_u32_e32 v3, vcc, 0, v3, vcc
	s_andn2_b64 exec, exec, s[0:1]
	s_cbranch_execz .LBB7_79
.LBB7_74:                               ; =>This Inner Loop Header: Depth=1
	ds_read_b32 v6, v1
	s_waitcnt lgkmcnt(0)
	v_div_scale_f32 v7, s[10:11], v10, v10, v6
	v_rcp_f32_e32 v8, v7
	v_div_scale_f32 v9, vcc, v6, v10, v6
	v_fma_f32 v11, -v7, v8, 1.0
	v_fmac_f32_e32 v8, v11, v8
	v_mul_f32_e32 v11, v9, v8
	v_fma_f32 v12, -v7, v11, v9
	v_fmac_f32_e32 v11, v12, v8
	v_fma_f32 v7, -v7, v11, v9
	v_div_fmas_f32 v7, v7, v8, v11
	v_div_fixup_f32 v6, v7, v10, v6
	v_max_f32_e32 v6, v6, v4
	v_min_f32_e32 v6, v6, v5
	v_and_b32_e32 v8, 0x7fffffff, v6
	v_cmp_gt_u32_e32 vcc, s14, v8
	v_mov_b32_e32 v7, 0x7f
	s_and_saveexec_b64 s[10:11], vcc
	s_cbranch_execz .LBB7_73
; %bb.75:                               ;   in Loop: Header=BB7_74 Depth=1
	v_cmp_lt_u32_e32 vcc, s15, v8
                                        ; implicit-def: $vgpr7
	s_and_saveexec_b64 s[12:13], vcc
	s_xor_b64 s[12:13], exec, s[12:13]
; %bb.76:                               ;   in Loop: Header=BB7_74 Depth=1
	v_bfe_u32 v7, v6, 20, 1
	v_add3_u32 v7, v6, v7, s17
	v_lshrrev_b32_e32 v7, 20, v7
; %bb.77:                               ;   in Loop: Header=BB7_74 Depth=1
	s_andn2_saveexec_b64 s[12:13], s[12:13]
	s_cbranch_execz .LBB7_72
; %bb.78:                               ;   in Loop: Header=BB7_74 Depth=1
	v_add_f32_e64 v7, |v6|, s18
	s_branch .LBB7_72
.LBB7_79:
	s_or_b64 exec, exec, s[8:9]
                                        ; implicit-def: $vgpr8
                                        ; implicit-def: $vgpr22
                                        ; implicit-def: $vgpr10
                                        ; implicit-def: $vgpr20
                                        ; implicit-def: $vgpr21
                                        ; implicit-def: $vgpr12_vgpr13
.LBB7_80:
	s_andn2_saveexec_b64 s[0:1], s[4:5]
	s_cbranch_execz .LBB7_115
; %bb.81:
	s_ashr_i32 s11, s16, 2
	v_cmp_gt_i32_e32 vcc, s11, v8
	s_and_saveexec_b64 s[0:1], vcc
	s_cbranch_execz .LBB7_115
; %bb.82:
	v_xad_u32 v0, v8, -1, s11
	v_cmp_lt_u32_e32 vcc, 15, v0
	s_mov_b64 s[0:1], 0
	v_lshlrev_b32_e32 v23, 2, v22
	s_and_saveexec_b64 s[4:5], vcc
	s_xor_b64 s[4:5], exec, s[4:5]
	s_cbranch_execnz .LBB7_85
; %bb.83:
	s_andn2_saveexec_b64 s[4:5], s[4:5]
	s_cbranch_execnz .LBB7_88
.LBB7_84:
	s_or_b64 exec, exec, s[4:5]
	s_and_b64 exec, exec, s[0:1]
	s_cbranch_execnz .LBB7_89
	s_branch .LBB7_115
.LBB7_85:
	v_lshrrev_b32_e32 v0, 4, v0
	v_add_u32_e32 v24, 1, v0
	v_and_b32_e32 v25, 0x1ffffffe, v24
	v_or_b32_e32 v9, 16, v8
	s_mov_b32 s0, s2
	s_mov_b32 s1, s2
	;; [unrolled: 1-line block ×4, first 2 shown]
	v_lshlrev_b32_e32 v23, 2, v22
	v_lshlrev_b32_e32 v0, 4, v8
	v_mov_b32_e32 v11, v10
	v_add3_u32 v22, v23, v0, 0
	s_mov_b64 s[8:9], 0
	v_max_f32_e64 v26, s1, s1
	v_max_f32_e64 v27, s0, s0
	;; [unrolled: 1-line block ×4, first 2 shown]
	s_mov_b32 s12, 0x7700000
	s_mov_b32 s13, 0x407ffff
	;; [unrolled: 1-line block ×4, first 2 shown]
	v_mov_b32_e32 v30, 0x7f000000
	v_mov_b32_e32 v31, 0x7f
	s_movk_i32 s15, 0x80
	v_mov_b32_e32 v15, 0
	v_mov_b32_e32 v32, v25
	v_pk_mov_b32 v[16:17], v[8:9], v[8:9] op_sel:[0,1]
.LBB7_86:                               ; =>This Inner Loop Header: Depth=1
	ds_read_b128 v[4:7], v22
	ds_read_b128 v[0:3], v22 offset:256
	v_add_u32_e32 v32, -2, v32
	v_add_u32_e32 v22, 0x200, v22
	s_waitcnt lgkmcnt(1)
	v_div_scale_f32 v9, s[0:1], v10, v10, v4
	v_rcp_f32_e32 v14, v9
	v_fma_f32 v18, -v9, v14, 1.0
	v_fmac_f32_e32 v14, v18, v14
	v_div_scale_f32 v18, vcc, v4, v10, v4
	v_mul_f32_e32 v19, v18, v14
	v_fma_f32 v33, -v9, v19, v18
	v_fmac_f32_e32 v19, v33, v14
	v_fma_f32 v9, -v9, v19, v18
	v_div_fmas_f32 v9, v9, v14, v19
	v_div_fixup_f32 v4, v9, v10, v4
	s_waitcnt lgkmcnt(0)
	v_div_scale_f32 v9, s[0:1], v11, v11, v0
	v_rcp_f32_e32 v14, v9
	v_max_f32_e32 v4, v4, v27
	v_min_f32_e32 v4, v4, v28
	v_fma_f32 v18, -v9, v14, 1.0
	v_fmac_f32_e32 v14, v18, v14
	v_div_scale_f32 v18, vcc, v0, v11, v0
	v_mul_f32_e32 v19, v18, v14
	v_fma_f32 v33, -v9, v19, v18
	v_fmac_f32_e32 v19, v33, v14
	v_fma_f32 v9, -v9, v19, v18
	v_div_fmas_f32 v9, v9, v14, v19
	v_div_fixup_f32 v0, v9, v11, v0
	v_max_f32_e32 v0, v0, v26
	v_min_f32_e32 v0, v0, v29
	v_and_b32_e32 v18, 0x7fffffff, v4
	v_and_b32_e32 v19, 0x7fffffff, v0
	v_add_u32_e32 v14, 0xc3800000, v18
	v_add_u32_e32 v9, 0xc3800000, v19
	v_cmp_gt_u32_e32 vcc, s12, v14
	v_bfe_u32 v14, v0, 20, 1
	v_cmp_gt_u32_e64 s[0:1], s12, v9
	v_bfe_u32 v9, v4, 20, 1
	v_add3_u32 v14, v0, v14, s13
	v_add3_u32 v9, v4, v9, s13
	v_lshrrev_b32_e32 v14, 20, v14
	v_pk_add_f32 v[34:35], v[18:19], s[10:11] op_sel_hi:[1,0]
	v_lshrrev_b32_e32 v9, 20, v9
	v_cndmask_b32_e64 v14, v35, v14, s[0:1]
	v_lshrrev_b32_e32 v33, 24, v0
	v_div_scale_f32 v0, s[0:1], v10, v10, v5
	v_cndmask_b32_e32 v9, v34, v9, vcc
	v_lshrrev_b32_e32 v34, 24, v4
	v_rcp_f32_e32 v4, v0
	v_and_b32_e32 v35, 0xff, v14
	v_and_b32_e32 v9, 0xff, v9
	v_fma_f32 v14, -v0, v4, 1.0
	v_fmac_f32_e32 v4, v14, v4
	v_div_scale_f32 v14, vcc, v5, v10, v5
	v_mul_f32_e32 v36, v14, v4
	v_fma_f32 v37, -v0, v36, v14
	v_fmac_f32_e32 v36, v37, v4
	v_fma_f32 v0, -v0, v36, v14
	v_div_fmas_f32 v0, v0, v4, v36
	v_div_scale_f32 v4, s[0:1], v11, v11, v1
	v_div_fixup_f32 v0, v0, v10, v5
	v_rcp_f32_e32 v5, v4
	v_max_f32_e32 v0, v0, v27
	v_fma_f32 v14, -v4, v5, 1.0
	v_fmac_f32_e32 v5, v14, v5
	v_div_scale_f32 v14, vcc, v1, v11, v1
	v_mul_f32_e32 v36, v14, v5
	v_fma_f32 v37, -v4, v36, v14
	v_fmac_f32_e32 v36, v37, v5
	v_fma_f32 v4, -v4, v36, v14
	v_div_fmas_f32 v4, v4, v5, v36
	v_div_fixup_f32 v1, v4, v11, v1
	v_max_f32_e32 v1, v1, v26
	v_min_f32_e32 v14, v0, v28
	v_min_f32_e32 v38, v1, v29
	v_and_b32_e32 v1, 0x7fffffff, v38
	v_and_b32_e32 v0, 0x7fffffff, v14
	v_add_u32_e32 v4, 0xc3800000, v0
	v_add_u32_e32 v5, 0xc3800000, v1
	v_cmp_gt_u32_e32 vcc, s12, v5
	v_cmp_gt_u32_e64 s[0:1], s12, v4
	v_bfe_u32 v4, v38, 20, 1
	v_bfe_u32 v5, v14, 20, 1
	v_add3_u32 v5, v14, v5, s13
	v_add3_u32 v4, v38, v4, s13
	v_lshrrev_b32_e32 v36, 20, v4
	v_lshrrev_b32_e32 v37, 20, v5
	v_pk_add_f32 v[4:5], v[0:1], s[10:11] op_sel_hi:[1,0]
	v_cndmask_b32_e64 v4, v4, v37, s[0:1]
	v_cndmask_b32_e32 v5, v5, v36, vcc
	v_and_b32_e32 v39, 0xff, v4
	v_div_scale_f32 v4, s[0:1], v10, v10, v6
	v_and_b32_e32 v36, 0xff, v5
	v_rcp_f32_e32 v5, v4
	v_lshrrev_b32_e32 v37, 24, v14
	v_lshrrev_b32_e32 v38, 24, v38
	v_fma_f32 v14, -v4, v5, 1.0
	v_fmac_f32_e32 v5, v14, v5
	v_div_scale_f32 v14, vcc, v6, v10, v6
	v_mul_f32_e32 v40, v14, v5
	v_fma_f32 v41, -v4, v40, v14
	v_fmac_f32_e32 v40, v41, v5
	v_fma_f32 v4, -v4, v40, v14
	v_div_fmas_f32 v4, v4, v5, v40
	v_div_scale_f32 v5, s[0:1], v11, v11, v2
	v_div_fixup_f32 v4, v4, v10, v6
	v_rcp_f32_e32 v6, v5
	v_max_f32_e32 v4, v4, v27
	v_fma_f32 v14, -v5, v6, 1.0
	v_fmac_f32_e32 v6, v14, v6
	v_div_scale_f32 v14, vcc, v2, v11, v2
	v_mul_f32_e32 v40, v14, v6
	v_fma_f32 v41, -v5, v40, v14
	v_fmac_f32_e32 v40, v41, v6
	v_fma_f32 v5, -v5, v40, v14
	v_div_fmas_f32 v5, v5, v6, v40
	v_div_fixup_f32 v2, v5, v11, v2
	v_max_f32_e32 v2, v2, v26
	v_min_f32_e32 v14, v4, v28
	v_min_f32_e32 v2, v2, v29
	v_and_b32_e32 v5, 0x7fffffff, v2
	v_and_b32_e32 v4, 0x7fffffff, v14
	v_add_u32_e32 v6, 0xc3800000, v5
	v_add_u32_e32 v40, 0xc3800000, v4
	v_cmp_gt_u32_e32 vcc, s12, v40
	v_cmp_gt_u32_e64 s[0:1], s12, v6
	v_bfe_u32 v6, v14, 20, 1
	v_bfe_u32 v40, v2, 20, 1
	v_add3_u32 v40, v2, v40, s13
	v_add3_u32 v6, v14, v6, s13
	v_lshrrev_b32_e32 v6, 20, v6
	v_lshrrev_b32_e32 v42, 20, v40
	v_pk_add_f32 v[40:41], v[4:5], s[10:11] op_sel_hi:[1,0]
	v_cndmask_b32_e64 v41, v41, v42, s[0:1]
	v_cndmask_b32_e32 v6, v40, v6, vcc
	v_lshrrev_b32_e32 v40, 24, v2
	v_div_scale_f32 v2, s[0:1], v10, v10, v7
	v_and_b32_e32 v42, 0xff, v41
	v_lshrrev_b32_e32 v41, 24, v14
	v_rcp_f32_e32 v14, v2
	v_and_b32_e32 v6, 0xff, v6
	v_fma_f32 v43, -v2, v14, 1.0
	v_fmac_f32_e32 v14, v43, v14
	v_div_scale_f32 v43, vcc, v7, v10, v7
	v_mul_f32_e32 v44, v43, v14
	v_fma_f32 v45, -v2, v44, v43
	v_fmac_f32_e32 v44, v45, v14
	v_fma_f32 v2, -v2, v44, v43
	v_div_fmas_f32 v2, v2, v14, v44
	v_div_fixup_f32 v2, v2, v10, v7
	v_div_scale_f32 v7, s[0:1], v11, v11, v3
	v_rcp_f32_e32 v14, v7
	v_max_f32_e32 v2, v2, v27
	v_fma_f32 v43, -v7, v14, 1.0
	v_fmac_f32_e32 v14, v43, v14
	v_div_scale_f32 v43, vcc, v3, v11, v3
	v_mul_f32_e32 v44, v43, v14
	v_fma_f32 v45, -v7, v44, v43
	v_fmac_f32_e32 v44, v45, v14
	v_fma_f32 v7, -v7, v44, v43
	v_div_fmas_f32 v7, v7, v14, v44
	v_div_fixup_f32 v3, v7, v11, v3
	v_max_f32_e32 v3, v3, v26
	v_min_f32_e32 v7, v2, v28
	v_min_f32_e32 v43, v3, v29
	v_and_b32_e32 v3, 0x7fffffff, v43
	v_and_b32_e32 v2, 0x7fffffff, v7
	v_add_u32_e32 v14, 0xc3800000, v3
	v_add_u32_e32 v44, 0xc3800000, v2
	v_cmp_gt_u32_e32 vcc, s12, v44
	v_cmp_gt_u32_e64 s[0:1], s12, v14
	v_bfe_u32 v14, v7, 20, 1
	v_bfe_u32 v44, v43, 20, 1
	v_add3_u32 v44, v43, v44, s13
	v_add3_u32 v14, v7, v14, s13
	v_lshrrev_b32_e32 v14, 20, v14
	v_lshrrev_b32_e32 v46, 20, v44
	v_pk_add_f32 v[44:45], v[2:3], s[10:11] op_sel_hi:[1,0]
	v_cndmask_b32_e32 v14, v44, v14, vcc
	v_cndmask_b32_e64 v45, v45, v46, s[0:1]
	v_lshlrev_b32_e32 v48, 24, v14
	v_mov_b32_e32 v14, v16
	v_lshlrev_b32_e32 v49, 24, v45
	v_lshlrev_b64 v[44:45], 2, v[14:15]
	v_add_co_u32_e32 v44, vcc, v20, v44
	v_mov_b32_e32 v14, v17
	v_addc_co_u32_e32 v45, vcc, v21, v45, vcc
	v_lshlrev_b64 v[46:47], 2, v[14:15]
	v_add_co_u32_e32 v46, vcc, v20, v46
	v_addc_co_u32_e32 v47, vcc, v21, v47, vcc
	v_cmp_gt_u32_e32 vcc, s14, v3
	v_cndmask_b32_e32 v3, v30, v49, vcc
	v_cmp_gt_u32_e32 vcc, s14, v2
	v_cndmask_b32_e32 v2, v30, v48, vcc
	;; [unrolled: 2-line block ×4, first 2 shown]
	v_cmp_gt_u32_e32 vcc, s14, v0
	v_and_or_b32 v4, v41, s15, v4
	v_cndmask_b32_e32 v0, v31, v39, vcc
	v_cmp_gt_u32_e32 vcc, s14, v1
	v_and_b32_e32 v7, 0x80000000, v7
	v_and_or_b32 v5, v40, s15, v5
	v_lshlrev_b32_e32 v4, 16, v4
	v_cndmask_b32_e32 v1, v31, v36, vcc
	v_cmp_gt_u32_e32 vcc, s14, v19
	v_and_b32_e32 v14, 0x80000000, v43
	v_lshlrev_b32_e32 v5, 16, v5
	v_or3_b32 v2, v7, v2, v4
	v_cndmask_b32_e32 v4, v31, v35, vcc
	v_cmp_gt_u32_e32 vcc, s14, v18
	v_or3_b32 v3, v14, v3, v5
	v_and_or_b32 v0, v37, s15, v0
	v_cndmask_b32_e32 v5, v31, v9, vcc
	v_and_or_b32 v1, v38, s15, v1
	v_lshlrev_b32_e32 v0, 8, v0
	v_and_or_b32 v5, v34, s15, v5
	v_cmp_eq_u32_e32 vcc, 0, v32
	v_lshlrev_b32_e32 v1, 8, v1
	v_and_or_b32 v4, v33, s15, v4
	v_or3_b32 v0, v2, v0, v5
	v_add_u32_e32 v17, 32, v17
	v_add_u32_e32 v16, 32, v16
	s_or_b64 s[8:9], vcc, s[8:9]
	v_or3_b32 v1, v3, v1, v4
	global_store_dword v[44:45], v0, off
	global_store_dword v[46:47], v1, off
	s_andn2_b64 exec, exec, s[8:9]
	s_cbranch_execnz .LBB7_86
; %bb.87:
	s_or_b64 exec, exec, s[8:9]
	v_cmp_ne_u32_e32 vcc, v24, v25
	v_lshl_or_b32 v8, v25, 4, v8
	s_and_b64 s[0:1], vcc, exec
	s_andn2_saveexec_b64 s[4:5], s[4:5]
	s_cbranch_execz .LBB7_84
.LBB7_88:
	s_or_b64 s[0:1], s[0:1], exec
	s_or_b64 exec, exec, s[4:5]
	s_and_b64 exec, exec, s[0:1]
	s_cbranch_execz .LBB7_115
.LBB7_89:
	v_lshlrev_b32_e32 v0, 4, v8
	v_mov_b32_e32 v9, 0
	v_add3_u32 v6, v23, v0, 0
	v_lshlrev_b64 v[0:1], 2, v[8:9]
	v_add_co_u32_e32 v0, vcc, v12, v0
	v_addc_co_u32_e32 v1, vcc, v13, v1, vcc
	v_mov_b32_e32 v2, s7
	v_add_co_u32_e32 v4, vcc, s6, v0
	v_addc_co_u32_e32 v5, vcc, v2, v1, vcc
	s_mov_b64 s[0:1], 0
	v_max_f32_e64 v7, s2, s2
	v_max_f32_e64 v9, s3, s3
	s_mov_b32 s6, 0x43f00000
	s_mov_b32 s7, 0x3c7fffff
	;; [unrolled: 1-line block ×4, first 2 shown]
	s_movk_i32 s10, 0x80
	s_movk_i32 s12, 0xff
	s_branch .LBB7_92
.LBB7_90:                               ;   in Loop: Header=BB7_92 Depth=1
	s_or_b64 exec, exec, s[4:5]
.LBB7_91:                               ;   in Loop: Header=BB7_92 Depth=1
	s_or_b64 exec, exec, s[2:3]
	v_and_b32_sdwa v2, v2, s10 dst_sel:DWORD dst_unused:UNUSED_PAD src0_sel:BYTE_3 src1_sel:DWORD
	v_and_or_b32 v2, v13, s12, v2
	v_and_b32_sdwa v1, v1, s10 dst_sel:DWORD dst_unused:UNUSED_PAD src0_sel:BYTE_3 src1_sel:DWORD
	v_lshlrev_b32_e32 v14, 24, v14
	v_and_b32_e32 v3, 0x80000000, v3
	v_lshlrev_b32_e32 v2, 16, v2
	v_lshrrev_b32_e32 v0, 24, v0
	v_or3_b32 v2, v3, v14, v2
	v_and_or_b32 v1, v11, s12, v1
	v_and_b32_e32 v3, 0xff, v12
	v_lshlrev_b32_e32 v1, 8, v1
	v_and_or_b32 v0, v0, s10, v3
	v_add_u32_e32 v8, 16, v8
	v_or3_b32 v0, v2, v1, v0
	v_cmp_le_i32_e32 vcc, s11, v8
	global_store_dword v[4:5], v0, off
	s_or_b64 s[0:1], vcc, s[0:1]
	v_add_co_u32_e32 v4, vcc, 64, v4
	v_add_u32_e32 v6, 0x100, v6
	v_addc_co_u32_e32 v5, vcc, 0, v5, vcc
	s_andn2_b64 exec, exec, s[0:1]
	s_cbranch_execz .LBB7_115
.LBB7_92:                               ; =>This Inner Loop Header: Depth=1
	ds_read_b128 v[0:3], v6
	v_mov_b32_e32 v11, 0x7f
	s_waitcnt lgkmcnt(0)
	v_div_scale_f32 v12, s[2:3], v10, v10, v0
	v_rcp_f32_e32 v13, v12
	v_div_scale_f32 v14, vcc, v0, v10, v0
	v_fma_f32 v15, -v12, v13, 1.0
	v_fmac_f32_e32 v13, v15, v13
	v_mul_f32_e32 v15, v14, v13
	v_fma_f32 v16, -v12, v15, v14
	v_fmac_f32_e32 v15, v16, v13
	v_fma_f32 v12, -v12, v15, v14
	v_div_fmas_f32 v12, v12, v13, v15
	v_div_fixup_f32 v0, v12, v10, v0
	v_max_f32_e32 v0, v0, v7
	v_min_f32_e32 v0, v0, v9
	v_and_b32_e32 v13, 0x7fffffff, v0
	v_cmp_gt_u32_e32 vcc, s6, v13
	v_mov_b32_e32 v12, 0x7f
	s_and_saveexec_b64 s[2:3], vcc
	s_cbranch_execz .LBB7_98
; %bb.93:                               ;   in Loop: Header=BB7_92 Depth=1
	v_cmp_lt_u32_e32 vcc, s7, v13
                                        ; implicit-def: $vgpr12
	s_and_saveexec_b64 s[4:5], vcc
	s_xor_b64 s[4:5], exec, s[4:5]
; %bb.94:                               ;   in Loop: Header=BB7_92 Depth=1
	v_bfe_u32 v12, v0, 20, 1
	v_add3_u32 v12, v0, v12, s8
	v_lshrrev_b32_e32 v12, 20, v12
; %bb.95:                               ;   in Loop: Header=BB7_92 Depth=1
	s_andn2_saveexec_b64 s[4:5], s[4:5]
; %bb.96:                               ;   in Loop: Header=BB7_92 Depth=1
	v_add_f32_e64 v12, |v0|, s9
; %bb.97:                               ;   in Loop: Header=BB7_92 Depth=1
	s_or_b64 exec, exec, s[4:5]
.LBB7_98:                               ;   in Loop: Header=BB7_92 Depth=1
	s_or_b64 exec, exec, s[2:3]
	v_div_scale_f32 v13, s[2:3], v10, v10, v1
	v_rcp_f32_e32 v14, v13
	v_div_scale_f32 v15, vcc, v1, v10, v1
	v_fma_f32 v16, -v13, v14, 1.0
	v_fmac_f32_e32 v14, v16, v14
	v_mul_f32_e32 v16, v15, v14
	v_fma_f32 v17, -v13, v16, v15
	v_fmac_f32_e32 v16, v17, v14
	v_fma_f32 v13, -v13, v16, v15
	v_div_fmas_f32 v13, v13, v14, v16
	v_div_fixup_f32 v1, v13, v10, v1
	v_max_f32_e32 v1, v1, v7
	v_min_f32_e32 v1, v1, v9
	v_and_b32_e32 v13, 0x7fffffff, v1
	v_cmp_gt_u32_e32 vcc, s6, v13
	s_and_saveexec_b64 s[2:3], vcc
	s_cbranch_execz .LBB7_104
; %bb.99:                               ;   in Loop: Header=BB7_92 Depth=1
	v_cmp_lt_u32_e32 vcc, s7, v13
                                        ; implicit-def: $vgpr11
	s_and_saveexec_b64 s[4:5], vcc
	s_xor_b64 s[4:5], exec, s[4:5]
; %bb.100:                              ;   in Loop: Header=BB7_92 Depth=1
	v_bfe_u32 v11, v1, 20, 1
	v_add3_u32 v11, v1, v11, s8
	v_lshrrev_b32_e32 v11, 20, v11
; %bb.101:                              ;   in Loop: Header=BB7_92 Depth=1
	s_andn2_saveexec_b64 s[4:5], s[4:5]
; %bb.102:                              ;   in Loop: Header=BB7_92 Depth=1
	v_add_f32_e64 v11, |v1|, s9
; %bb.103:                              ;   in Loop: Header=BB7_92 Depth=1
	s_or_b64 exec, exec, s[4:5]
.LBB7_104:                              ;   in Loop: Header=BB7_92 Depth=1
	s_or_b64 exec, exec, s[2:3]
	v_div_scale_f32 v13, s[2:3], v10, v10, v2
	v_rcp_f32_e32 v14, v13
	v_div_scale_f32 v15, vcc, v2, v10, v2
	v_fma_f32 v16, -v13, v14, 1.0
	v_fmac_f32_e32 v14, v16, v14
	v_mul_f32_e32 v16, v15, v14
	v_fma_f32 v17, -v13, v16, v15
	v_fmac_f32_e32 v16, v17, v14
	v_fma_f32 v13, -v13, v16, v15
	v_div_fmas_f32 v13, v13, v14, v16
	v_div_fixup_f32 v2, v13, v10, v2
	v_max_f32_e32 v2, v2, v7
	v_min_f32_e32 v2, v2, v9
	v_and_b32_e32 v15, 0x7fffffff, v2
	v_cmp_gt_u32_e32 vcc, s6, v15
	v_mov_b32_e32 v14, 0x7f
	v_mov_b32_e32 v13, 0x7f
	s_and_saveexec_b64 s[2:3], vcc
	s_cbranch_execz .LBB7_110
; %bb.105:                              ;   in Loop: Header=BB7_92 Depth=1
	v_cmp_lt_u32_e32 vcc, s7, v15
                                        ; implicit-def: $vgpr13
	s_and_saveexec_b64 s[4:5], vcc
	s_xor_b64 s[4:5], exec, s[4:5]
; %bb.106:                              ;   in Loop: Header=BB7_92 Depth=1
	v_bfe_u32 v13, v2, 20, 1
	v_add3_u32 v13, v2, v13, s8
	v_lshrrev_b32_e32 v13, 20, v13
; %bb.107:                              ;   in Loop: Header=BB7_92 Depth=1
	s_andn2_saveexec_b64 s[4:5], s[4:5]
; %bb.108:                              ;   in Loop: Header=BB7_92 Depth=1
	v_add_f32_e64 v13, |v2|, s9
; %bb.109:                              ;   in Loop: Header=BB7_92 Depth=1
	s_or_b64 exec, exec, s[4:5]
.LBB7_110:                              ;   in Loop: Header=BB7_92 Depth=1
	s_or_b64 exec, exec, s[2:3]
	v_div_scale_f32 v15, s[2:3], v10, v10, v3
	v_rcp_f32_e32 v16, v15
	v_div_scale_f32 v17, vcc, v3, v10, v3
	v_fma_f32 v18, -v15, v16, 1.0
	v_fmac_f32_e32 v16, v18, v16
	v_mul_f32_e32 v18, v17, v16
	v_fma_f32 v19, -v15, v18, v17
	v_fmac_f32_e32 v18, v19, v16
	v_fma_f32 v15, -v15, v18, v17
	v_div_fmas_f32 v15, v15, v16, v18
	v_div_fixup_f32 v3, v15, v10, v3
	v_max_f32_e32 v3, v3, v7
	v_min_f32_e32 v3, v3, v9
	v_and_b32_e32 v15, 0x7fffffff, v3
	v_cmp_gt_u32_e32 vcc, s6, v15
	s_and_saveexec_b64 s[2:3], vcc
	s_cbranch_execz .LBB7_91
; %bb.111:                              ;   in Loop: Header=BB7_92 Depth=1
	v_cmp_lt_u32_e32 vcc, s7, v15
                                        ; implicit-def: $vgpr14
	s_and_saveexec_b64 s[4:5], vcc
	s_xor_b64 s[4:5], exec, s[4:5]
; %bb.112:                              ;   in Loop: Header=BB7_92 Depth=1
	v_bfe_u32 v14, v3, 20, 1
	v_add3_u32 v14, v3, v14, s8
	v_lshrrev_b32_e32 v14, 20, v14
; %bb.113:                              ;   in Loop: Header=BB7_92 Depth=1
	s_andn2_saveexec_b64 s[4:5], s[4:5]
	s_cbranch_execz .LBB7_90
; %bb.114:                              ;   in Loop: Header=BB7_92 Depth=1
	v_add_f32_e64 v14, |v3|, s9
	s_branch .LBB7_90
.LBB7_115:
	s_endpgm
	.section	.rodata,"a",@progbits
	.p2align	6, 0x0
	.amdhsa_kernel _Z33per_token_group_quant_8bit_kernelIfN3c1013Float8_e4m3fnELb0ELb0EfEvPKT_PvPT3_iiifffii
		.amdhsa_group_segment_fixed_size 0
		.amdhsa_private_segment_fixed_size 0
		.amdhsa_kernarg_size 56
		.amdhsa_user_sgpr_count 6
		.amdhsa_user_sgpr_private_segment_buffer 1
		.amdhsa_user_sgpr_dispatch_ptr 0
		.amdhsa_user_sgpr_queue_ptr 0
		.amdhsa_user_sgpr_kernarg_segment_ptr 1
		.amdhsa_user_sgpr_dispatch_id 0
		.amdhsa_user_sgpr_flat_scratch_init 0
		.amdhsa_user_sgpr_kernarg_preload_length 0
		.amdhsa_user_sgpr_kernarg_preload_offset 0
		.amdhsa_user_sgpr_private_segment_size 0
		.amdhsa_uses_dynamic_stack 0
		.amdhsa_system_sgpr_private_segment_wavefront_offset 0
		.amdhsa_system_sgpr_workgroup_id_x 1
		.amdhsa_system_sgpr_workgroup_id_y 0
		.amdhsa_system_sgpr_workgroup_id_z 0
		.amdhsa_system_sgpr_workgroup_info 0
		.amdhsa_system_vgpr_workitem_id 0
		.amdhsa_next_free_vgpr 56
		.amdhsa_next_free_sgpr 21
		.amdhsa_accum_offset 56
		.amdhsa_reserve_vcc 1
		.amdhsa_reserve_flat_scratch 0
		.amdhsa_float_round_mode_32 0
		.amdhsa_float_round_mode_16_64 0
		.amdhsa_float_denorm_mode_32 3
		.amdhsa_float_denorm_mode_16_64 3
		.amdhsa_dx10_clamp 1
		.amdhsa_ieee_mode 1
		.amdhsa_fp16_overflow 0
		.amdhsa_tg_split 0
		.amdhsa_exception_fp_ieee_invalid_op 0
		.amdhsa_exception_fp_denorm_src 0
		.amdhsa_exception_fp_ieee_div_zero 0
		.amdhsa_exception_fp_ieee_overflow 0
		.amdhsa_exception_fp_ieee_underflow 0
		.amdhsa_exception_fp_ieee_inexact 0
		.amdhsa_exception_int_div_zero 0
	.end_amdhsa_kernel
	.section	.text._Z33per_token_group_quant_8bit_kernelIfN3c1013Float8_e4m3fnELb0ELb0EfEvPKT_PvPT3_iiifffii,"axG",@progbits,_Z33per_token_group_quant_8bit_kernelIfN3c1013Float8_e4m3fnELb0ELb0EfEvPKT_PvPT3_iiifffii,comdat
.Lfunc_end7:
	.size	_Z33per_token_group_quant_8bit_kernelIfN3c1013Float8_e4m3fnELb0ELb0EfEvPKT_PvPT3_iiifffii, .Lfunc_end7-_Z33per_token_group_quant_8bit_kernelIfN3c1013Float8_e4m3fnELb0ELb0EfEvPKT_PvPT3_iiifffii
                                        ; -- End function
	.section	.AMDGPU.csdata,"",@progbits
; Kernel info:
; codeLenInByte = 7776
; NumSgprs: 25
; NumVgprs: 56
; NumAgprs: 0
; TotalNumVgprs: 56
; ScratchSize: 0
; MemoryBound: 0
; FloatMode: 240
; IeeeMode: 1
; LDSByteSize: 0 bytes/workgroup (compile time only)
; SGPRBlocks: 3
; VGPRBlocks: 6
; NumSGPRsForWavesPerEU: 25
; NumVGPRsForWavesPerEU: 56
; AccumOffset: 56
; Occupancy: 8
; WaveLimiterHint : 0
; COMPUTE_PGM_RSRC2:SCRATCH_EN: 0
; COMPUTE_PGM_RSRC2:USER_SGPR: 6
; COMPUTE_PGM_RSRC2:TRAP_HANDLER: 0
; COMPUTE_PGM_RSRC2:TGID_X_EN: 1
; COMPUTE_PGM_RSRC2:TGID_Y_EN: 0
; COMPUTE_PGM_RSRC2:TGID_Z_EN: 0
; COMPUTE_PGM_RSRC2:TIDIG_COMP_CNT: 0
; COMPUTE_PGM_RSRC3_GFX90A:ACCUM_OFFSET: 13
; COMPUTE_PGM_RSRC3_GFX90A:TG_SPLIT: 0
	.section	.text._Z33per_token_group_quant_8bit_kernelIfN3c1015Float8_e4m3fnuzELb1ELb1EfEvPKT_PvPT3_iiifffii,"axG",@progbits,_Z33per_token_group_quant_8bit_kernelIfN3c1015Float8_e4m3fnuzELb1ELb1EfEvPKT_PvPT3_iiifffii,comdat
	.protected	_Z33per_token_group_quant_8bit_kernelIfN3c1015Float8_e4m3fnuzELb1ELb1EfEvPKT_PvPT3_iiifffii ; -- Begin function _Z33per_token_group_quant_8bit_kernelIfN3c1015Float8_e4m3fnuzELb1ELb1EfEvPKT_PvPT3_iiifffii
	.globl	_Z33per_token_group_quant_8bit_kernelIfN3c1015Float8_e4m3fnuzELb1ELb1EfEvPKT_PvPT3_iiifffii
	.p2align	8
	.type	_Z33per_token_group_quant_8bit_kernelIfN3c1015Float8_e4m3fnuzELb1ELb1EfEvPKT_PvPT3_iiifffii,@function
_Z33per_token_group_quant_8bit_kernelIfN3c1015Float8_e4m3fnuzELb1ELb1EfEvPKT_PvPT3_iiifffii: ; @_Z33per_token_group_quant_8bit_kernelIfN3c1015Float8_e4m3fnuzELb1ELb1EfEvPKT_PvPT3_iiifffii
; %bb.0:
	s_load_dword s31, s[4:5], 0x18
	s_load_dwordx2 s[0:1], s[4:5], 0x0
	s_load_dwordx4 s[16:19], s[4:5], 0x20
	s_load_dwordx2 s[8:9], s[4:5], 0x30
	v_lshrrev_b32_e32 v2, 4, v0
	s_waitcnt lgkmcnt(0)
	s_ashr_i32 s7, s31, 31
	v_and_b32_e32 v8, 15, v0
	s_mul_i32 s6, s6, s16
	v_add_co_u32_e32 v7, vcc, s6, v2
	v_addc_co_u32_e64 v9, s[2:3], 0, 0, vcc
	v_mul_lo_u32 v0, v9, s31
	v_mul_lo_u32 v1, v7, s7
	v_mad_u64_u32 v[12:13], s[2:3], v7, s31, 0
	v_add3_u32 v13, v13, v1, v0
	v_lshlrev_b64 v[0:1], 2, v[12:13]
	s_and_b32 s6, s31, 3
	v_mov_b32_e32 v4, s1
	v_add_co_u32_e32 v3, vcc, s0, v0
	s_cmp_eq_u32 s6, 0
	v_addc_co_u32_e32 v4, vcc, v4, v1, vcc
	v_mov_b32_e32 v11, 0
	v_and_b32_e32 v10, 15, v3
	s_cselect_b64 s[2:3], -1, 0
	s_cmp_lg_u32 s6, 0
	v_mul_lo_u32 v20, v2, s31
	v_cmp_ne_u64_e32 vcc, 0, v[10:11]
	s_cselect_b64 s[6:7], -1, 0
	v_lshl_add_u32 v6, v20, 2, 0
	s_or_b64 s[6:7], s[6:7], vcc
                                        ; implicit-def: $vgpr10
	s_and_saveexec_b64 s[10:11], s[6:7]
	s_xor_b64 s[6:7], exec, s[10:11]
	s_cbranch_execz .LBB8_12
; %bb.1:
	v_sub_u32_e32 v2, 0, v3
	v_bfe_u32 v2, v2, 2, 2
	v_min_i32_e32 v2, s31, v2
	v_cmp_gt_i32_e32 vcc, v2, v8
	v_mov_b32_e32 v10, s17
	s_and_saveexec_b64 s[10:11], vcc
	s_cbranch_execz .LBB8_3
; %bb.2:
	v_lshlrev_b32_e32 v5, 2, v8
	v_add_co_u32_e32 v10, vcc, v3, v5
	v_addc_co_u32_e32 v11, vcc, 0, v4, vcc
	global_load_dword v3, v[10:11], off
	v_max_f32_e64 v4, s17, s17
	v_add_u32_e32 v5, v6, v5
	s_waitcnt vmcnt(0)
	v_max_f32_e64 v10, |v3|, |v3|
	v_max_f32_e32 v10, v4, v10
	ds_write_b32 v5, v3
.LBB8_3:
	s_or_b64 exec, exec, s[10:11]
	v_sub_u32_e32 v11, s31, v2
	v_ashrrev_i32_e32 v4, 31, v11
	v_lshrrev_b32_e32 v4, 30, v4
	v_add_u32_e32 v4, v11, v4
	v_ashrrev_i32_e32 v3, 31, v2
	v_ashrrev_i32_e32 v14, 2, v4
	v_cmp_gt_i32_e32 vcc, v14, v8
	v_lshlrev_b32_e32 v15, 2, v2
	v_lshlrev_b64 v[2:3], 2, v[2:3]
	s_and_saveexec_b64 s[10:11], vcc
	s_cbranch_execz .LBB8_7
; %bb.4:
	v_lshlrev_b32_e32 v4, 4, v8
	v_lshl_add_u32 v5, v20, 2, v4
	v_add_co_u32_e32 v4, vcc, v0, v4
	v_add3_u32 v16, v5, v15, 0
	v_addc_co_u32_e32 v5, vcc, 0, v1, vcc
	v_add_co_u32_e32 v4, vcc, v4, v2
	v_addc_co_u32_e32 v5, vcc, v5, v3, vcc
	v_mov_b32_e32 v17, s1
	v_add_co_u32_e32 v4, vcc, s0, v4
	v_addc_co_u32_e32 v5, vcc, v5, v17, vcc
	v_add_co_u32_e32 v4, vcc, 8, v4
	v_addc_co_u32_e32 v5, vcc, 0, v5, vcc
	s_mov_b64 s[12:13], 0
	v_mov_b32_e32 v17, v8
.LBB8_5:                                ; =>This Inner Loop Header: Depth=1
	global_load_dwordx4 v[22:25], v[4:5], off offset:-8
	v_add_co_u32_e32 v4, vcc, 0x100, v4
	v_add_u32_e32 v17, 16, v17
	v_addc_co_u32_e32 v5, vcc, 0, v5, vcc
	v_cmp_ge_i32_e32 vcc, v17, v14
	s_or_b64 s[12:13], vcc, s[12:13]
	s_waitcnt vmcnt(0)
	v_max3_f32 v10, v10, |v22|, |v23|
	ds_write_b128 v16, v[22:25]
	v_add_u32_e32 v16, 0x100, v16
	v_max3_f32 v10, v10, |v24|, |v25|
	s_andn2_b64 exec, exec, s[12:13]
	s_cbranch_execnz .LBB8_5
; %bb.6:
	s_or_b64 exec, exec, s[12:13]
.LBB8_7:
	s_or_b64 exec, exec, s[10:11]
	v_lshl_add_u32 v4, v14, 2, v8
	v_cmp_lt_i32_e32 vcc, v4, v11
	s_and_saveexec_b64 s[10:11], vcc
	s_cbranch_execz .LBB8_11
; %bb.8:
	v_lshlrev_b32_e32 v5, 2, v20
	v_lshlrev_b32_e32 v14, 4, v14
	v_add3_u32 v5, v5, v14, v15
	v_lshlrev_b32_e32 v14, 2, v8
	v_add3_u32 v14, v5, v14, 0
	v_add_co_u32_e32 v2, vcc, v0, v2
	v_ashrrev_i32_e32 v5, 31, v4
	v_addc_co_u32_e32 v3, vcc, v1, v3, vcc
	v_lshlrev_b64 v[0:1], 2, v[4:5]
	v_add_co_u32_e32 v0, vcc, v2, v0
	v_addc_co_u32_e32 v1, vcc, v3, v1, vcc
	v_mov_b32_e32 v2, s1
	v_add_co_u32_e32 v0, vcc, s0, v0
	v_addc_co_u32_e32 v1, vcc, v2, v1, vcc
	s_mov_b64 s[12:13], 0
.LBB8_9:                                ; =>This Inner Loop Header: Depth=1
	global_load_dword v2, v[0:1], off
	v_add_co_u32_e32 v0, vcc, 64, v0
	v_add_u32_e32 v4, 16, v4
	v_addc_co_u32_e32 v1, vcc, 0, v1, vcc
	v_max_f32_e32 v3, v10, v10
	v_cmp_ge_i32_e32 vcc, v4, v11
	s_or_b64 s[12:13], vcc, s[12:13]
	s_waitcnt vmcnt(0)
	v_max_f32_e64 v5, |v2|, |v2|
	ds_write_b32 v14, v2
	v_add_u32_e32 v14, 64, v14
	v_max_f32_e32 v10, v3, v5
	s_andn2_b64 exec, exec, s[12:13]
	s_cbranch_execnz .LBB8_9
; %bb.10:
	s_or_b64 exec, exec, s[12:13]
.LBB8_11:
	s_or_b64 exec, exec, s[10:11]
                                        ; implicit-def: $vgpr0_vgpr1
.LBB8_12:
	s_andn2_saveexec_b64 s[6:7], s[6:7]
	s_cbranch_execz .LBB8_18
; %bb.13:
	s_ashr_i32 s12, s31, 2
	v_cmp_gt_i32_e32 vcc, s12, v8
	v_mov_b32_e32 v10, s17
	s_and_saveexec_b64 s[10:11], vcc
	s_cbranch_execz .LBB8_17
; %bb.14:
	v_lshlrev_b32_e32 v3, 4, v8
	v_add_co_u32_e32 v0, vcc, v0, v3
	v_lshlrev_b32_e32 v2, 2, v20
	v_addc_co_u32_e32 v1, vcc, 0, v1, vcc
	v_add3_u32 v2, v2, v3, 0
	v_mov_b32_e32 v3, s1
	v_add_co_u32_e32 v0, vcc, s0, v0
	v_addc_co_u32_e32 v1, vcc, v1, v3, vcc
	v_add_co_u32_e32 v0, vcc, 8, v0
	v_addc_co_u32_e32 v1, vcc, 0, v1, vcc
	s_mov_b64 s[0:1], 0
	v_mov_b32_e32 v10, s17
	v_mov_b32_e32 v3, v8
.LBB8_15:                               ; =>This Inner Loop Header: Depth=1
	global_load_dwordx4 v[14:17], v[0:1], off offset:-8
	v_add_co_u32_e32 v0, vcc, 0x100, v0
	v_add_u32_e32 v3, 16, v3
	v_addc_co_u32_e32 v1, vcc, 0, v1, vcc
	v_cmp_le_i32_e32 vcc, s12, v3
	s_or_b64 s[0:1], vcc, s[0:1]
	s_waitcnt vmcnt(0)
	v_max3_f32 v4, v10, |v14|, |v15|
	ds_write_b128 v2, v[14:17]
	v_add_u32_e32 v2, 0x100, v2
	v_max3_f32 v10, v4, |v16|, |v17|
	s_andn2_b64 exec, exec, s[0:1]
	s_cbranch_execnz .LBB8_15
; %bb.16:
	s_or_b64 exec, exec, s[0:1]
.LBB8_17:
	s_or_b64 exec, exec, s[10:11]
.LBB8_18:
	s_or_b64 exec, exec, s[6:7]
	v_mbcnt_lo_u32_b32 v0, -1, 0
	v_mbcnt_hi_u32_b32 v0, -1, v0
	v_and_b32_e32 v2, 0x70, v0
	v_xor_b32_e32 v1, 8, v0
	v_add_u32_e32 v2, 16, v2
	v_cmp_lt_i32_e32 vcc, v1, v2
	v_cndmask_b32_e32 v1, v0, v1, vcc
	v_lshlrev_b32_e32 v1, 2, v1
	ds_bpermute_b32 v1, v1, v10
	v_xor_b32_e32 v4, 4, v0
	v_max_f32_e32 v3, v10, v10
	v_cmp_lt_i32_e32 vcc, v4, v2
	s_load_dwordx2 s[20:21], s[4:5], 0x8
	s_waitcnt lgkmcnt(0)
	v_max_f32_e32 v1, v1, v1
	v_max_f32_e32 v1, v3, v1
	v_cndmask_b32_e32 v3, v0, v4, vcc
	v_lshlrev_b32_e32 v3, 2, v3
	ds_bpermute_b32 v3, v3, v1
	v_xor_b32_e32 v4, 2, v0
	v_cmp_lt_i32_e32 vcc, v4, v2
	s_waitcnt lgkmcnt(0)
	v_max_f32_e32 v3, v3, v3
	v_max_f32_e32 v1, v1, v3
	v_cndmask_b32_e32 v3, v0, v4, vcc
	v_lshlrev_b32_e32 v3, 2, v3
	ds_bpermute_b32 v3, v3, v1
	v_xor_b32_e32 v4, 1, v0
	v_cmp_lt_i32_e32 vcc, v4, v2
	v_cndmask_b32_e32 v0, v0, v4, vcc
	v_lshlrev_b32_e32 v0, 2, v0
	s_waitcnt lgkmcnt(0)
	v_max_f32_e32 v3, v3, v3
	v_max_f32_e32 v1, v1, v3
	ds_bpermute_b32 v0, v0, v1
	s_waitcnt lgkmcnt(0)
	v_max_f32_e32 v0, v0, v0
	v_max_f32_e32 v0, v1, v0
	v_div_scale_f32 v1, s[0:1], s19, s19, v0
	v_rcp_f32_e32 v2, v1
	v_div_scale_f32 v3, vcc, v0, s19, v0
	s_mov_b32 s0, 0x2edbe6ff
	v_fma_f32 v4, -v1, v2, 1.0
	v_fmac_f32_e32 v2, v4, v2
	v_mul_f32_e32 v4, v3, v2
	v_fma_f32 v5, -v1, v4, v3
	v_fmac_f32_e32 v4, v5, v2
	v_fma_f32 v1, -v1, v4, v3
	v_div_fmas_f32 v1, v1, v2, v4
	v_div_fixup_f32 v0, v1, s19, v0
	v_max_f32_e64 v0, |v0|, s0
	s_mov_b32 s0, 0x800000
	v_mov_b32_e32 v1, 0x4f800000
	v_cmp_gt_f32_e32 vcc, s0, v0
	v_cndmask_b32_e32 v1, 1.0, v1, vcc
	v_mul_f32_e32 v0, v0, v1
	v_log_f32_e32 v0, v0
	v_mov_b32_e32 v1, 0x42000000
	v_cndmask_b32_e32 v1, 0, v1, vcc
	s_mov_b32 s0, 0xc2fc0000
	v_sub_f32_e32 v0, v0, v1
	v_ceil_f32_e32 v0, v0
	v_mov_b32_e32 v1, 0x42800000
	v_cmp_gt_f32_e32 vcc, s0, v0
	v_cndmask_b32_e32 v1, 0, v1, vcc
	v_add_f32_e32 v0, v0, v1
	v_exp_f32_e32 v0, v0
	v_mov_b32_e32 v1, 0x1f800000
	v_cndmask_b32_e32 v1, 1.0, v1, vcc
	v_cmp_eq_u32_e32 vcc, 0, v8
	v_mul_f32_e32 v10, v0, v1
	s_and_saveexec_b64 s[6:7], vcc
	s_cbranch_execz .LBB8_24
; %bb.19:
	s_load_dwordx2 s[4:5], s[4:5], 0x10
	s_ashr_i32 s0, s8, 31
	v_or_b32_e32 v1, s0, v9
	v_mov_b32_e32 v0, 0
	v_cmp_ne_u64_e32 vcc, 0, v[0:1]
                                        ; implicit-def: $vgpr0_vgpr1
	s_and_saveexec_b64 s[10:11], vcc
	s_xor_b64 s[10:11], exec, s[10:11]
	s_cbranch_execz .LBB8_21
; %bb.20:
	s_add_u32 s14, s8, s0
	s_mov_b32 s12, s0
	s_mov_b32 s13, s0
	s_addc_u32 s15, s0, s0
	s_xor_b64 s[14:15], s[14:15], s[12:13]
	v_cvt_f32_u32_e32 v0, s14
	v_cvt_f32_u32_e32 v1, s15
	s_sub_u32 s0, 0, s14
	s_subb_u32 s1, 0, s15
	v_madmk_f32 v0, v1, 0x4f800000, v0
	v_rcp_f32_e32 v0, v0
	v_mul_f32_e32 v0, 0x5f7ffffc, v0
	v_mul_f32_e32 v1, 0x2f800000, v0
	v_trunc_f32_e32 v1, v1
	v_madmk_f32 v0, v1, 0xcf800000, v0
	v_cvt_u32_f32_e32 v1, v1
	v_cvt_u32_f32_e32 v0, v0
	v_mul_lo_u32 v2, s0, v1
	v_mul_hi_u32 v4, s0, v0
	v_mul_lo_u32 v3, s1, v0
	v_add_u32_e32 v2, v4, v2
	v_mul_lo_u32 v5, s0, v0
	v_add_u32_e32 v2, v2, v3
	v_mul_lo_u32 v4, v0, v2
	v_mul_hi_u32 v11, v0, v5
	v_mul_hi_u32 v3, v0, v2
	v_add_co_u32_e32 v4, vcc, v11, v4
	v_addc_co_u32_e32 v3, vcc, 0, v3, vcc
	v_mul_hi_u32 v14, v1, v5
	v_mul_lo_u32 v5, v1, v5
	v_add_co_u32_e32 v4, vcc, v4, v5
	v_mul_hi_u32 v11, v1, v2
	v_addc_co_u32_e32 v3, vcc, v3, v14, vcc
	v_addc_co_u32_e32 v4, vcc, 0, v11, vcc
	v_mul_lo_u32 v2, v1, v2
	v_add_co_u32_e32 v2, vcc, v3, v2
	v_addc_co_u32_e32 v3, vcc, 0, v4, vcc
	v_add_co_u32_e32 v0, vcc, v0, v2
	v_addc_co_u32_e32 v1, vcc, v1, v3, vcc
	v_mul_lo_u32 v2, s0, v1
	v_mul_hi_u32 v3, s0, v0
	v_add_u32_e32 v2, v3, v2
	v_mul_lo_u32 v3, s1, v0
	v_add_u32_e32 v2, v2, v3
	v_mul_lo_u32 v4, s0, v0
	v_mul_hi_u32 v5, v1, v4
	v_mul_lo_u32 v11, v1, v4
	v_mul_lo_u32 v15, v0, v2
	v_mul_hi_u32 v4, v0, v4
	v_mul_hi_u32 v14, v0, v2
	v_add_co_u32_e32 v4, vcc, v4, v15
	v_addc_co_u32_e32 v14, vcc, 0, v14, vcc
	v_add_co_u32_e32 v4, vcc, v4, v11
	v_mul_hi_u32 v3, v1, v2
	v_addc_co_u32_e32 v4, vcc, v14, v5, vcc
	v_addc_co_u32_e32 v3, vcc, 0, v3, vcc
	v_mul_lo_u32 v2, v1, v2
	v_add_co_u32_e32 v2, vcc, v4, v2
	v_addc_co_u32_e32 v3, vcc, 0, v3, vcc
	v_add_co_u32_e32 v2, vcc, v0, v2
	v_addc_co_u32_e32 v3, vcc, v1, v3, vcc
	v_mad_u64_u32 v[0:1], s[0:1], v7, v3, 0
	v_mul_hi_u32 v4, v7, v2
	v_add_co_u32_e32 v4, vcc, v4, v0
	v_addc_co_u32_e32 v5, vcc, 0, v1, vcc
	v_mad_u64_u32 v[0:1], s[0:1], v9, v3, 0
	v_mad_u64_u32 v[2:3], s[0:1], v9, v2, 0
	v_add_co_u32_e32 v2, vcc, v4, v2
	v_addc_co_u32_e32 v2, vcc, v5, v3, vcc
	v_addc_co_u32_e32 v1, vcc, 0, v1, vcc
	v_add_co_u32_e32 v2, vcc, v2, v0
	v_addc_co_u32_e32 v0, vcc, 0, v1, vcc
	v_mul_lo_u32 v3, s15, v2
	v_mul_lo_u32 v4, s14, v0
	v_mad_u64_u32 v[0:1], s[0:1], s14, v2, 0
	v_add3_u32 v1, v1, v4, v3
	v_sub_u32_e32 v3, v9, v1
	v_mov_b32_e32 v4, s15
	v_sub_co_u32_e32 v0, vcc, v7, v0
	v_subb_co_u32_e64 v3, s[0:1], v3, v4, vcc
	v_subrev_co_u32_e64 v4, s[0:1], s14, v0
	v_subbrev_co_u32_e64 v3, s[0:1], 0, v3, s[0:1]
	v_cmp_le_u32_e64 s[0:1], s15, v3
	v_subb_co_u32_e32 v1, vcc, v9, v1, vcc
	v_cndmask_b32_e64 v5, 0, -1, s[0:1]
	v_cmp_le_u32_e64 s[0:1], s14, v4
	v_cmp_le_u32_e32 vcc, s15, v1
	v_cndmask_b32_e64 v4, 0, -1, s[0:1]
	v_cmp_eq_u32_e64 s[0:1], s15, v3
	v_cndmask_b32_e64 v9, 0, -1, vcc
	v_cmp_le_u32_e32 vcc, s14, v0
	v_cndmask_b32_e64 v3, v5, v4, s[0:1]
	v_cndmask_b32_e64 v0, 0, -1, vcc
	v_cmp_eq_u32_e32 vcc, s15, v1
	v_add_co_u32_e64 v4, s[0:1], 2, v2
	v_add_co_u32_e64 v5, s[0:1], 1, v2
	v_cndmask_b32_e32 v0, v9, v0, vcc
	v_cmp_ne_u32_e32 vcc, 0, v3
	v_cndmask_b32_e32 v1, v5, v4, vcc
	v_cmp_ne_u32_e32 vcc, 0, v0
	v_cndmask_b32_e32 v0, v2, v1, vcc
	v_xor_b32_e32 v0, s12, v0
	v_subrev_co_u32_e32 v0, vcc, s12, v0
.LBB8_21:
	s_andn2_saveexec_b64 s[0:1], s[10:11]
	s_cbranch_execz .LBB8_23
; %bb.22:
	v_cvt_f32_u32_e32 v0, s8
	s_sub_i32 s10, 0, s8
	v_rcp_iflag_f32_e32 v0, v0
	v_mul_f32_e32 v0, 0x4f7ffffe, v0
	v_cvt_u32_f32_e32 v0, v0
	v_mul_lo_u32 v1, s10, v0
	v_mul_hi_u32 v1, v0, v1
	v_add_u32_e32 v0, v0, v1
	v_mul_hi_u32 v0, v7, v0
	v_mul_lo_u32 v1, v0, s8
	v_sub_u32_e32 v1, v7, v1
	v_add_u32_e32 v2, 1, v0
	v_subrev_u32_e32 v3, s8, v1
	v_cmp_le_u32_e32 vcc, s8, v1
	v_cndmask_b32_e32 v1, v1, v3, vcc
	v_cndmask_b32_e32 v0, v0, v2, vcc
	v_add_u32_e32 v2, 1, v0
	v_cmp_le_u32_e32 vcc, s8, v1
	v_cndmask_b32_e32 v0, v0, v2, vcc
.LBB8_23:
	s_or_b64 exec, exec, s[0:1]
	v_mul_lo_u32 v1, v0, s8
	v_sub_u32_e32 v1, v7, v1
	v_mad_u64_u32 v[0:1], s[0:1], v1, s9, v[0:1]
	v_ashrrev_i32_e32 v1, 31, v0
	v_lshlrev_b64 v[0:1], 2, v[0:1]
	s_waitcnt lgkmcnt(0)
	v_mov_b32_e32 v2, s5
	v_add_co_u32_e32 v0, vcc, s4, v0
	v_addc_co_u32_e32 v1, vcc, v2, v1, vcc
	global_store_dword v[0:1], v10, off
.LBB8_24:
	s_or_b64 exec, exec, s[6:7]
	v_mov_b32_e32 v0, s21
	v_add_co_u32_e32 v18, vcc, s20, v12
	v_addc_co_u32_e32 v19, vcc, v0, v13, vcc
	v_and_b32_e32 v0, 15, v6
	v_mov_b32_e32 v1, 0
	v_cmp_ne_u64_e32 vcc, 0, v[0:1]
	s_xor_b64 s[0:1], s[2:3], -1
	s_or_b64 s[0:1], s[0:1], vcc
	s_barrier
	s_and_saveexec_b64 s[2:3], s[0:1]
	s_xor_b64 s[22:23], exec, s[2:3]
	s_cbranch_execz .LBB8_94
; %bb.25:
	v_sub_u32_e32 v0, 0, v6
	v_bfe_u32 v0, v0, 2, 2
	v_min_i32_e32 v14, s31, v0
	v_cmp_gt_i32_e32 vcc, v14, v8
	s_and_saveexec_b64 s[0:1], vcc
	s_cbranch_execz .LBB8_33
; %bb.26:
	v_lshl_add_u32 v0, v8, 2, v6
	ds_read_b32 v0, v0
	v_max_f32_e64 v1, s18, s18
	v_max_f32_e64 v2, s19, s19
	s_waitcnt lgkmcnt(0)
	v_div_scale_f32 v3, s[2:3], v10, v10, v0
	v_rcp_f32_e32 v4, v3
	v_div_scale_f32 v5, vcc, v0, v10, v0
	s_mov_b32 s2, 0x43800000
	v_fma_f32 v6, -v3, v4, 1.0
	v_fmac_f32_e32 v4, v6, v4
	v_mul_f32_e32 v6, v5, v4
	v_fma_f32 v7, -v3, v6, v5
	v_fmac_f32_e32 v6, v7, v4
	v_fma_f32 v3, -v3, v6, v5
	v_div_fmas_f32 v3, v3, v4, v6
	v_div_fixup_f32 v0, v3, v10, v0
	v_max_f32_e32 v0, v0, v1
	v_min_f32_e32 v0, v0, v2
	v_and_b32_e32 v1, 0x7fffffff, v0
	v_cmp_gt_u32_e32 vcc, s2, v1
	v_mov_b32_e32 v2, 0x80
	s_and_saveexec_b64 s[2:3], vcc
	s_cbranch_execz .LBB8_32
; %bb.27:
	s_mov_b32 s4, 0x3bffffff
	v_cmp_lt_u32_e32 vcc, s4, v1
	s_mov_b64 s[4:5], 0
                                        ; implicit-def: $vgpr1
	s_and_saveexec_b64 s[6:7], vcc
	s_xor_b64 s[6:7], exec, s[6:7]
	s_cbranch_execnz .LBB8_138
; %bb.28:
	s_or_saveexec_b64 s[6:7], s[6:7]
                                        ; implicit-def: $sgpr8
	s_xor_b64 exec, exec, s[6:7]
	s_cbranch_execnz .LBB8_139
.LBB8_29:
	s_or_b64 exec, exec, s[6:7]
	v_mov_b32_e32 v2, s8
	s_and_saveexec_b64 s[6:7], s[4:5]
.LBB8_30:
	v_lshrrev_b32_e32 v0, 24, v0
	s_movk_i32 s4, 0x80
	v_and_or_b32 v2, v0, s4, v1
.LBB8_31:
	s_or_b64 exec, exec, s[6:7]
.LBB8_32:
	s_or_b64 exec, exec, s[2:3]
	v_add_co_u32_e32 v0, vcc, v18, v8
	v_addc_co_u32_e32 v1, vcc, 0, v19, vcc
	global_store_byte v[0:1], v2, off
.LBB8_33:
	s_or_b64 exec, exec, s[0:1]
	v_sub_u32_e32 v21, s31, v14
	v_ashrrev_i32_e32 v0, 31, v21
	v_lshrrev_b32_e32 v0, 30, v0
	v_ashrrev_i32_e32 v11, 31, v14
	v_add_co_u32_e32 v22, vcc, v18, v14
	v_add_u32_e32 v0, v21, v0
	v_addc_co_u32_e32 v23, vcc, v19, v11, vcc
	v_ashrrev_i32_e32 v24, 2, v0
	v_cmp_gt_i32_e32 vcc, v24, v8
	s_and_saveexec_b64 s[24:25], vcc
	s_cbranch_execz .LBB8_75
; %bb.34:
	v_xad_u32 v0, v8, -1, v24
	v_cmp_lt_u32_e32 vcc, 15, v0
	s_mov_b64 s[0:1], 0
                                        ; implicit-def: $vgpr4
                                        ; implicit-def: $vgpr25
                                        ; implicit-def: $vgpr26
	s_and_saveexec_b64 s[2:3], vcc
	s_xor_b64 s[26:27], exec, s[2:3]
	s_cbranch_execnz .LBB8_37
; %bb.35:
	s_andn2_saveexec_b64 s[2:3], s[26:27]
	s_cbranch_execnz .LBB8_40
.LBB8_36:
	s_or_b64 exec, exec, s[2:3]
	s_and_b64 exec, exec, s[0:1]
	s_cbranch_execnz .LBB8_41
	s_branch .LBB8_75
.LBB8_37:
	v_lshrrev_b32_e32 v0, 4, v0
	v_add_u32_e32 v27, 1, v0
	v_lshlrev_b32_e32 v25, 2, v20
	v_and_b32_e32 v28, 0x1ffffffe, v27
	v_or_b32_e32 v9, 16, v8
	s_mov_b32 s0, s18
	s_mov_b32 s1, s18
	;; [unrolled: 1-line block ×4, first 2 shown]
	v_lshl_add_u32 v0, v8, 4, v25
	v_lshlrev_b32_e32 v26, 2, v14
	v_mov_b32_e32 v15, v10
	v_add3_u32 v29, v0, v26, 0
	s_mov_b64 s[28:29], 0
	v_max_f32_e64 v30, s1, s1
	v_max_f32_e64 v31, s0, s0
	;; [unrolled: 1-line block ×4, first 2 shown]
	s_mov_b32 s33, 0x437fffff
	s_brev_b32 s46, 60
	s_mov_b32 s47, 0x487ffff
	s_mov_b32 s30, 0x46000000
	s_movk_i32 s48, 0xff
	s_movk_i32 s49, 0x80
	v_mov_b32_e32 v34, 0x80
	s_mov_b32 s50, 0x43800000
	s_mov_b32 s51, 0x3bffffff
	s_brev_b32 s52, 1
	v_bfrev_b32_e32 v35, 1
	v_mov_b32_e32 v36, 0x800000
	v_mov_b32_e32 v37, 0x8000
	;; [unrolled: 1-line block ×4, first 2 shown]
	v_pk_mov_b32 v[18:19], v[8:9], v[8:9] op_sel:[0,1]
.LBB8_38:                               ; =>This Inner Loop Header: Depth=1
	ds_read_b128 v[4:7], v29
	ds_read_b128 v[0:3], v29 offset:256
	v_add_u32_e32 v38, -2, v38
	v_add_u32_e32 v29, 0x200, v29
	s_waitcnt lgkmcnt(1)
	v_div_scale_f32 v9, s[0:1], v10, v10, v4
	v_rcp_f32_e32 v16, v9
	v_fma_f32 v39, -v9, v16, 1.0
	v_fmac_f32_e32 v16, v39, v16
	v_div_scale_f32 v39, vcc, v4, v10, v4
	v_mul_f32_e32 v40, v39, v16
	v_fma_f32 v41, -v9, v40, v39
	v_fmac_f32_e32 v40, v41, v16
	v_fma_f32 v9, -v9, v40, v39
	v_div_fmas_f32 v9, v9, v16, v40
	v_div_fixup_f32 v4, v9, v10, v4
	s_waitcnt lgkmcnt(0)
	v_div_scale_f32 v9, s[0:1], v15, v15, v0
	v_rcp_f32_e32 v16, v9
	v_max_f32_e32 v4, v4, v31
	v_min_f32_e32 v4, v4, v32
	v_fma_f32 v39, -v9, v16, 1.0
	v_fmac_f32_e32 v16, v39, v16
	v_div_scale_f32 v39, vcc, v0, v15, v0
	v_mul_f32_e32 v40, v39, v16
	v_fma_f32 v41, -v9, v40, v39
	v_fmac_f32_e32 v40, v41, v16
	v_fma_f32 v9, -v9, v40, v39
	v_div_fmas_f32 v9, v9, v16, v40
	v_div_fixup_f32 v0, v9, v15, v0
	v_max_f32_e32 v0, v0, v30
	v_min_f32_e32 v0, v0, v33
	v_and_b32_e32 v41, 0x7fffffff, v0
	v_and_b32_e32 v40, 0x7fffffff, v4
	v_cmp_lt_u32_e32 vcc, s33, v41
	v_cmp_lt_u32_e64 s[0:1], s33, v40
	v_cmp_gt_u32_e64 s[2:3], s46, v41
	v_cmp_gt_u32_e64 s[4:5], s46, v40
	v_bfe_u32 v9, v4, 20, 1
	v_pk_add_f32 v[40:41], v[40:41], s[30:31] op_sel_hi:[1,0]
	s_xor_b64 s[6:7], s[4:5], s[0:1]
	v_add3_u32 v9, v4, v9, s47
	v_cmp_ne_u32_sdwa s[34:35], v40, v17 src0_sel:BYTE_0 src1_sel:DWORD
	s_xor_b64 s[12:13], s[6:7], -1
	v_bfe_u32 v16, v0, 20, 1
	v_lshrrev_b32_e32 v9, 20, v9
	v_cmp_eq_u32_sdwa s[16:17], v40, v17 src0_sel:BYTE_0 src1_sel:DWORD
	s_and_b64 s[34:35], s[4:5], s[34:35]
	s_xor_b64 s[8:9], s[2:3], vcc
	v_add3_u32 v16, v0, v16, s47
	v_cmp_ne_u32_sdwa s[36:37], v41, v17 src0_sel:BYTE_0 src1_sel:DWORD
	s_or_b64 s[12:13], s[34:35], s[12:13]
	v_cndmask_b32_e64 v9, v9, v40, s[6:7]
	v_and_b32_sdwa v4, v4, s49 dst_sel:DWORD dst_unused:UNUSED_PAD src0_sel:BYTE_3 src1_sel:DWORD
	s_and_b64 s[34:35], s[4:5], s[16:17]
	s_xor_b64 s[10:11], s[8:9], -1
	v_lshrrev_b32_e32 v16, 20, v16
	v_cmp_eq_u32_sdwa s[14:15], v41, v17 src0_sel:BYTE_0 src1_sel:DWORD
	s_and_b64 s[36:37], s[2:3], s[36:37]
	s_or_b64 s[4:5], s[12:13], s[34:35]
	v_and_or_b32 v4, v9, s48, v4
	s_or_b64 s[10:11], s[36:37], s[10:11]
	v_cndmask_b32_e64 v16, v16, v41, s[8:9]
	v_and_b32_sdwa v0, v0, s49 dst_sel:DWORD dst_unused:UNUSED_PAD src0_sel:BYTE_3 src1_sel:DWORD
	s_and_b64 s[36:37], s[2:3], s[14:15]
	s_or_b64 s[14:15], s[4:5], s[0:1]
	v_cndmask_b32_e64 v4, v4, v34, s[0:1]
	v_div_scale_f32 v9, s[0:1], v10, v10, v5
	v_and_or_b32 v0, v16, s48, v0
	v_rcp_f32_e32 v16, v9
	s_or_b64 s[2:3], s[10:11], s[36:37]
	s_or_b64 s[16:17], s[2:3], vcc
	v_cndmask_b32_e32 v0, v0, v34, vcc
	v_fma_f32 v39, -v9, v16, 1.0
	v_fmac_f32_e32 v16, v39, v16
	v_div_scale_f32 v39, vcc, v5, v10, v5
	v_mul_f32_e32 v40, v39, v16
	v_fma_f32 v41, -v9, v40, v39
	v_fmac_f32_e32 v40, v41, v16
	v_fma_f32 v9, -v9, v40, v39
	v_div_fmas_f32 v9, v9, v16, v40
	v_div_fixup_f32 v5, v9, v10, v5
	v_div_scale_f32 v9, s[0:1], v15, v15, v1
	v_rcp_f32_e32 v16, v9
	v_max_f32_e32 v5, v5, v31
	v_min_f32_e32 v5, v5, v32
	v_cndmask_b32_e64 v4, v4, 0, s[34:35]
	v_fma_f32 v39, -v9, v16, 1.0
	v_fmac_f32_e32 v16, v39, v16
	v_div_scale_f32 v39, vcc, v1, v15, v1
	v_mul_f32_e32 v40, v39, v16
	v_fma_f32 v41, -v9, v40, v39
	v_fmac_f32_e32 v40, v41, v16
	v_fma_f32 v9, -v9, v40, v39
	v_div_fmas_f32 v9, v9, v16, v40
	v_div_fixup_f32 v1, v9, v15, v1
	v_max_f32_e32 v1, v1, v30
	v_min_f32_e32 v1, v1, v33
	v_and_b32_e32 v41, 0x7fffffff, v1
	v_and_b32_e32 v40, 0x7fffffff, v5
	v_cmp_gt_u32_e64 s[2:3], s50, v40
	v_cmp_gt_u32_e64 s[4:5], s50, v41
	v_cmp_lt_u32_e32 vcc, s33, v41
	v_cmp_lt_u32_e64 s[0:1], s33, v40
	s_and_b64 s[10:11], s[16:17], s[4:5]
	s_and_b64 s[12:13], s[14:15], s[2:3]
	v_cmp_gt_u32_e64 s[2:3], s46, v40
	v_cmp_gt_u32_e64 s[4:5], s46, v41
	v_cmp_lt_u32_e64 s[6:7], s51, v41
	v_cmp_lt_u32_e64 s[8:9], s51, v40
	v_bfe_u32 v16, v1, 20, 1
	v_pk_add_f32 v[40:41], v[40:41], s[30:31] op_sel_hi:[1,0]
	v_bfe_u32 v9, v5, 20, 1
	v_add3_u32 v16, v1, v16, s47
	v_and_b32_e32 v40, 0xff, v40
	s_and_b64 s[8:9], s[12:13], s[8:9]
	s_and_b64 s[6:7], s[10:11], s[6:7]
	v_add3_u32 v9, v5, v9, s47
	v_lshrrev_b32_e32 v16, 20, v16
	s_and_b64 s[40:41], s[12:13], s[2:3]
	v_and_b32_e32 v39, 0xff, v41
	v_cmp_ne_u32_e64 s[12:13], 0, v40
	v_lshrrev_b32_e32 v9, 20, v9
	v_cmp_eq_u32_e64 s[2:3], 0, v40
	s_and_b64 s[12:13], s[40:41], s[12:13]
	v_cndmask_b32_e64 v16, v39, v16, s[6:7]
	v_lshrrev_b32_e32 v1, 24, v1
	s_and_b64 s[38:39], s[10:11], s[4:5]
	v_cmp_eq_u32_e64 s[4:5], 0, v39
	v_cmp_ne_u32_e64 s[10:11], 0, v39
	s_or_b64 s[12:13], s[12:13], s[8:9]
	v_cndmask_b32_e64 v9, v40, v9, s[8:9]
	v_lshrrev_b32_e32 v5, 24, v5
	v_and_or_b32 v1, v1, s49, v16
	s_and_b64 s[40:41], s[40:41], s[2:3]
	s_and_b64 s[10:11], s[38:39], s[10:11]
	v_and_or_b32 v5, v5, s49, v9
	s_and_b64 s[38:39], s[38:39], s[4:5]
	s_or_b64 s[4:5], s[12:13], s[40:41]
	s_and_b64 s[0:1], s[14:15], s[0:1]
	v_lshlrev_b32_e32 v9, 8, v1
	s_or_b64 s[56:57], s[4:5], s[0:1]
	v_lshlrev_b32_e32 v1, 8, v5
	v_and_b32_e32 v5, 0xff00, v9
	v_div_scale_f32 v9, s[4:5], v10, v10, v6
	v_rcp_f32_e32 v16, v9
	s_and_b64 s[2:3], s[16:17], vcc
	s_or_b64 s[10:11], s[10:11], s[6:7]
	s_or_b64 s[6:7], s[10:11], s[38:39]
	v_fma_f32 v39, -v9, v16, 1.0
	v_fmac_f32_e32 v16, v39, v16
	v_div_scale_f32 v39, vcc, v6, v10, v6
	v_mul_f32_e32 v40, v39, v16
	v_fma_f32 v41, -v9, v40, v39
	v_fmac_f32_e32 v40, v41, v16
	v_fma_f32 v9, -v9, v40, v39
	v_div_fmas_f32 v9, v9, v16, v40
	v_div_fixup_f32 v6, v9, v10, v6
	v_div_scale_f32 v9, s[4:5], v15, v15, v2
	v_rcp_f32_e32 v16, v9
	v_max_f32_e32 v6, v6, v31
	v_min_f32_e32 v6, v6, v32
	s_or_b64 s[54:55], s[6:7], s[2:3]
	v_fma_f32 v39, -v9, v16, 1.0
	v_fmac_f32_e32 v16, v39, v16
	v_div_scale_f32 v39, vcc, v2, v15, v2
	v_mul_f32_e32 v40, v39, v16
	v_fma_f32 v41, -v9, v40, v39
	v_fmac_f32_e32 v40, v41, v16
	v_fma_f32 v9, -v9, v40, v39
	v_div_fmas_f32 v9, v9, v16, v40
	v_div_fixup_f32 v2, v9, v15, v2
	v_max_f32_e32 v2, v2, v30
	v_min_f32_e32 v2, v2, v33
	v_and_b32_e32 v41, 0x7fffffff, v2
	v_and_b32_e32 v40, 0x7fffffff, v6
	v_cmp_gt_u32_e64 s[6:7], s50, v41
	v_cmp_gt_u32_e64 s[8:9], s50, v40
	v_cmp_lt_u32_e32 vcc, s33, v40
	v_cmp_lt_u32_e64 s[4:5], s33, v41
	s_and_b64 s[14:15], s[56:57], s[8:9]
	s_and_b64 s[16:17], s[54:55], s[6:7]
	v_cmp_gt_u32_e64 s[6:7], s46, v41
	v_cmp_gt_u32_e64 s[8:9], s46, v40
	v_cmp_lt_u32_e64 s[10:11], s51, v40
	v_cmp_lt_u32_e64 s[12:13], s51, v41
	v_pk_add_f32 v[40:41], v[40:41], s[30:31] op_sel_hi:[1,0]
	v_and_b32_e32 v39, 0xff, v40
	v_and_b32_e32 v40, 0xff, v41
	s_and_b64 s[12:13], s[16:17], s[12:13]
	v_bfe_u32 v9, v2, 20, 1
	s_and_b64 s[44:45], s[16:17], s[6:7]
	v_cmp_ne_u32_e64 s[16:17], 0, v40
	v_bfe_u32 v16, v6, 20, 1
	v_add3_u32 v9, v2, v9, s47
	v_cmp_eq_u32_e64 s[6:7], 0, v40
	s_and_b64 s[16:17], s[44:45], s[16:17]
	s_and_b64 s[10:11], s[14:15], s[10:11]
	v_add3_u32 v16, v6, v16, s47
	v_lshrrev_b32_e32 v9, 20, v9
	s_and_b64 s[42:43], s[14:15], s[8:9]
	v_cmp_eq_u32_e64 s[8:9], 0, v39
	v_cmp_ne_u32_e64 s[14:15], 0, v39
	s_or_b64 s[16:17], s[16:17], s[12:13]
	s_and_b64 s[44:45], s[44:45], s[6:7]
	v_lshrrev_b32_e32 v16, 20, v16
	s_and_b64 s[14:15], s[42:43], s[14:15]
	v_cndmask_b32_e64 v9, v40, v9, s[12:13]
	v_lshrrev_b32_e32 v2, 24, v2
	s_and_b64 s[42:43], s[42:43], s[8:9]
	s_or_b64 s[8:9], s[16:17], s[44:45]
	s_and_b64 s[4:5], s[54:55], s[4:5]
	v_cndmask_b32_e64 v16, v39, v16, s[10:11]
	v_lshrrev_b32_e32 v6, 24, v6
	v_and_or_b32 v2, v2, s49, v9
	s_and_b64 s[6:7], s[56:57], vcc
	s_or_b64 s[56:57], s[8:9], s[4:5]
	v_div_scale_f32 v9, s[8:9], v10, v10, v7
	v_and_or_b32 v6, v6, s49, v16
	v_rcp_f32_e32 v16, v9
	s_or_b64 s[14:15], s[14:15], s[10:11]
	s_or_b64 s[10:11], s[14:15], s[42:43]
	;; [unrolled: 1-line block ×3, first 2 shown]
	v_fma_f32 v39, -v9, v16, 1.0
	v_fmac_f32_e32 v16, v39, v16
	v_div_scale_f32 v39, vcc, v7, v10, v7
	v_mul_f32_e32 v40, v39, v16
	v_fma_f32 v41, -v9, v40, v39
	v_fmac_f32_e32 v40, v41, v16
	v_fma_f32 v9, -v9, v40, v39
	v_div_fmas_f32 v9, v9, v16, v40
	v_div_fixup_f32 v7, v9, v10, v7
	v_div_scale_f32 v9, s[8:9], v15, v15, v3
	v_rcp_f32_e32 v16, v9
	v_max_f32_e32 v7, v7, v31
	v_min_f32_e32 v7, v7, v32
	v_lshlrev_b32_e32 v6, 16, v6
	v_fma_f32 v39, -v9, v16, 1.0
	v_fmac_f32_e32 v16, v39, v16
	v_div_scale_f32 v39, vcc, v3, v15, v3
	v_mul_f32_e32 v40, v39, v16
	v_fma_f32 v41, -v9, v40, v39
	v_fmac_f32_e32 v40, v41, v16
	v_fma_f32 v9, -v9, v40, v39
	v_div_fmas_f32 v9, v9, v16, v40
	v_div_fixup_f32 v3, v9, v15, v3
	v_max_f32_e32 v3, v3, v30
	v_min_f32_e32 v3, v3, v33
	v_and_b32_e32 v41, 0x7fffffff, v3
	v_and_b32_e32 v40, 0x7fffffff, v7
	v_cmp_gt_u32_e64 s[12:13], s50, v41
	v_bfe_u32 v16, v3, 20, 1
	v_cmp_gt_u32_e64 s[10:11], s50, v40
	s_and_b64 s[58:59], s[56:57], s[12:13]
	v_cmp_lt_u32_e64 s[14:15], s51, v41
	v_bfe_u32 v9, v7, 20, 1
	v_add3_u32 v16, v3, v16, s47
	v_cmp_lt_u32_e32 vcc, s33, v40
	v_cmp_lt_u32_e64 s[8:9], s33, v41
	s_and_b64 s[60:61], s[54:55], s[10:11]
	v_cmp_gt_u32_e64 s[10:11], s46, v40
	v_cmp_gt_u32_e64 s[12:13], s46, v41
	v_cmp_lt_u32_e64 s[16:17], s51, v40
	s_and_b64 s[14:15], s[58:59], s[14:15]
	v_add3_u32 v9, v7, v9, s47
	v_lshrrev_b32_e32 v16, 20, v16
	v_pk_add_f32 v[40:41], v[40:41], s[30:31] op_sel_hi:[1,0]
	s_and_b64 s[16:17], s[60:61], s[16:17]
	v_lshrrev_b32_e32 v9, 20, v9
	v_cndmask_b32_e64 v16, v41, v16, s[14:15]
	v_cndmask_b32_e64 v9, v40, v9, s[16:17]
	v_lshlrev_b32_e32 v16, 24, v16
	s_and_b64 s[8:9], s[56:57], s[8:9]
	v_lshlrev_b32_e32 v9, 24, v9
	v_and_or_b32 v16, v3, s52, v16
	v_and_or_b32 v3, v7, s52, v9
	v_cndmask_b32_e64 v7, v16, v35, s[8:9]
	v_mov_b32_e32 v16, v18
	s_and_b64 s[12:13], s[58:59], s[12:13]
	s_and_b64 s[10:11], s[60:61], s[10:11]
	v_cmp_eq_u32_sdwa s[58:59], v41, v17 src0_sel:BYTE_0 src1_sel:DWORD
	v_cmp_eq_u32_sdwa s[60:61], v40, v17 src0_sel:BYTE_0 src1_sel:DWORD
	s_and_b64 vcc, s[54:55], vcc
	v_lshlrev_b64 v[40:41], 2, v[16:17]
	v_cndmask_b32_e32 v3, v3, v35, vcc
	v_add_co_u32_e32 v40, vcc, v22, v40
	v_mov_b32_e32 v16, v19
	v_lshlrev_b32_e32 v2, 16, v2
	v_and_b32_e32 v6, 0xff0000, v6
	v_addc_co_u32_e32 v41, vcc, v23, v41, vcc
	v_lshlrev_b64 v[42:43], 2, v[16:17]
	v_and_b32_e32 v1, 0xff00, v1
	v_and_b32_e32 v2, 0xff0000, v2
	s_and_b64 s[10:11], s[10:11], s[60:61]
	v_add_co_u32_e32 v42, vcc, v22, v42
	v_cndmask_b32_e64 v6, v6, v36, s[6:7]
	s_and_b64 s[12:13], s[12:13], s[58:59]
	v_addc_co_u32_e32 v43, vcc, v23, v43, vcc
	v_cndmask_b32_e64 v3, v3, 0, s[10:11]
	v_cndmask_b32_e64 v2, v2, v36, s[4:5]
	v_cndmask_b32_e64 v6, v6, 0, s[42:43]
	v_cndmask_b32_e64 v1, v1, v37, s[0:1]
	v_cndmask_b32_e64 v7, v7, 0, s[12:13]
	v_cndmask_b32_e64 v2, v2, 0, s[44:45]
	v_or_b32_e32 v3, v3, v6
	v_cndmask_b32_e64 v5, v5, v37, s[2:3]
	v_cndmask_b32_e64 v1, v1, 0, s[40:41]
	v_cmp_eq_u32_e32 vcc, 0, v38
	v_or_b32_e32 v2, v7, v2
	v_cndmask_b32_e64 v5, v5, 0, s[38:39]
	v_cndmask_b32_e64 v0, v0, 0, s[36:37]
	v_or3_b32 v1, v3, v1, v4
	v_add_u32_e32 v19, 32, v19
	v_add_u32_e32 v18, 32, v18
	s_or_b64 s[28:29], vcc, s[28:29]
	v_or3_b32 v0, v2, v5, v0
	global_store_dword v[40:41], v1, off
	global_store_dword v[42:43], v0, off
	s_andn2_b64 exec, exec, s[28:29]
	s_cbranch_execnz .LBB8_38
; %bb.39:
	s_or_b64 exec, exec, s[28:29]
	v_cmp_ne_u32_e32 vcc, v27, v28
	v_lshl_or_b32 v4, v28, 4, v8
	s_and_b64 s[0:1], vcc, exec
	s_andn2_saveexec_b64 s[2:3], s[26:27]
	s_cbranch_execz .LBB8_36
.LBB8_40:
	v_lshlrev_b32_e32 v25, 2, v20
	v_lshlrev_b32_e32 v26, 2, v14
	s_or_b64 s[0:1], s[0:1], exec
	v_mov_b32_e32 v4, v8
	s_or_b64 exec, exec, s[2:3]
	s_and_b64 exec, exec, s[0:1]
	s_cbranch_execz .LBB8_75
.LBB8_41:
	v_lshl_add_u32 v0, v4, 4, v25
	v_add_co_u32_e32 v2, vcc, v14, v12
	v_mov_b32_e32 v5, 0
	v_add3_u32 v9, v0, v26, 0
	v_addc_co_u32_e32 v3, vcc, v11, v13, vcc
	v_lshlrev_b64 v[0:1], 2, v[4:5]
	v_add_co_u32_e32 v0, vcc, v2, v0
	v_addc_co_u32_e32 v1, vcc, v3, v1, vcc
	v_mov_b32_e32 v2, s21
	v_add_co_u32_e32 v6, vcc, s20, v0
	v_addc_co_u32_e32 v7, vcc, v2, v1, vcc
	s_mov_b64 s[0:1], 0
	v_max_f32_e64 v5, s18, s18
	v_max_f32_e64 v15, s19, s19
	s_mov_b32 s8, 0x43800000
	s_mov_b32 s9, 0x3bffffff
	;; [unrolled: 1-line block ×4, first 2 shown]
	s_movk_i32 s12, 0x80
	s_mov_b32 s13, 0x4020c0c
	s_branch .LBB8_44
.LBB8_42:                               ;   in Loop: Header=BB8_44 Depth=1
	s_or_b64 exec, exec, s[6:7]
.LBB8_43:                               ;   in Loop: Header=BB8_44 Depth=1
	s_or_b64 exec, exec, s[2:3]
	v_lshlrev_b32_e32 v2, 16, v2
	v_perm_b32 v1, v1, v2, s13
	v_lshlrev_b32_e32 v2, 8, v16
	v_and_b32_e32 v2, 0xff00, v2
	v_and_b32_e32 v0, 0xff, v0
	v_add_u32_e32 v4, 16, v4
	v_or3_b32 v0, v1, v2, v0
	v_cmp_ge_i32_e32 vcc, v4, v24
	global_store_dword v[6:7], v0, off
	s_or_b64 s[0:1], vcc, s[0:1]
	v_add_co_u32_e32 v6, vcc, 64, v6
	v_add_u32_e32 v9, 0x100, v9
	v_addc_co_u32_e32 v7, vcc, 0, v7, vcc
	s_andn2_b64 exec, exec, s[0:1]
	s_cbranch_execz .LBB8_75
.LBB8_44:                               ; =>This Inner Loop Header: Depth=1
	ds_read_b128 v[0:3], v9
	v_mov_b32_e32 v16, 0x80
	s_waitcnt lgkmcnt(0)
	v_div_scale_f32 v17, s[2:3], v10, v10, v0
	v_rcp_f32_e32 v18, v17
	v_div_scale_f32 v19, vcc, v0, v10, v0
	v_fma_f32 v25, -v17, v18, 1.0
	v_fmac_f32_e32 v18, v25, v18
	v_mul_f32_e32 v25, v19, v18
	v_fma_f32 v26, -v17, v25, v19
	v_fmac_f32_e32 v25, v26, v18
	v_fma_f32 v17, -v17, v25, v19
	v_div_fmas_f32 v17, v17, v18, v25
	v_div_fixup_f32 v0, v17, v10, v0
	v_max_f32_e32 v0, v0, v5
	v_min_f32_e32 v17, v0, v15
	v_and_b32_e32 v18, 0x7fffffff, v17
	v_cmp_gt_u32_e32 vcc, s8, v18
	v_mov_b32_e32 v0, 0x80
	s_and_saveexec_b64 s[2:3], vcc
	s_cbranch_execz .LBB8_50
; %bb.45:                               ;   in Loop: Header=BB8_44 Depth=1
	v_cmp_lt_u32_e32 vcc, s9, v18
	s_mov_b64 s[4:5], 0
                                        ; implicit-def: $vgpr18
	s_and_saveexec_b64 s[6:7], vcc
	s_xor_b64 s[6:7], exec, s[6:7]
	s_cbranch_execnz .LBB8_66
; %bb.46:                               ;   in Loop: Header=BB8_44 Depth=1
	s_or_saveexec_b64 s[6:7], s[6:7]
                                        ; implicit-def: $sgpr14
	s_xor_b64 exec, exec, s[6:7]
	s_cbranch_execnz .LBB8_67
.LBB8_47:                               ;   in Loop: Header=BB8_44 Depth=1
	s_or_b64 exec, exec, s[6:7]
	v_mov_b32_e32 v0, s14
	s_and_saveexec_b64 s[6:7], s[4:5]
.LBB8_48:                               ;   in Loop: Header=BB8_44 Depth=1
	v_lshrrev_b32_e32 v0, 24, v17
	v_and_or_b32 v0, v0, s12, v18
.LBB8_49:                               ;   in Loop: Header=BB8_44 Depth=1
	s_or_b64 exec, exec, s[6:7]
.LBB8_50:                               ;   in Loop: Header=BB8_44 Depth=1
	s_or_b64 exec, exec, s[2:3]
	v_div_scale_f32 v17, s[2:3], v10, v10, v1
	v_rcp_f32_e32 v18, v17
	v_div_scale_f32 v19, vcc, v1, v10, v1
	v_fma_f32 v25, -v17, v18, 1.0
	v_fmac_f32_e32 v18, v25, v18
	v_mul_f32_e32 v25, v19, v18
	v_fma_f32 v26, -v17, v25, v19
	v_fmac_f32_e32 v25, v26, v18
	v_fma_f32 v17, -v17, v25, v19
	v_div_fmas_f32 v17, v17, v18, v25
	v_div_fixup_f32 v1, v17, v10, v1
	v_max_f32_e32 v1, v1, v5
	v_min_f32_e32 v1, v1, v15
	v_and_b32_e32 v17, 0x7fffffff, v1
	v_cmp_gt_u32_e32 vcc, s8, v17
	s_and_saveexec_b64 s[2:3], vcc
	s_cbranch_execz .LBB8_56
; %bb.51:                               ;   in Loop: Header=BB8_44 Depth=1
	v_cmp_lt_u32_e32 vcc, s9, v17
	s_mov_b64 s[4:5], 0
                                        ; implicit-def: $vgpr17
	s_and_saveexec_b64 s[6:7], vcc
	s_xor_b64 s[6:7], exec, s[6:7]
	s_cbranch_execnz .LBB8_68
; %bb.52:                               ;   in Loop: Header=BB8_44 Depth=1
	s_or_saveexec_b64 s[6:7], s[6:7]
                                        ; implicit-def: $sgpr14
	s_xor_b64 exec, exec, s[6:7]
	s_cbranch_execnz .LBB8_69
.LBB8_53:                               ;   in Loop: Header=BB8_44 Depth=1
	s_or_b64 exec, exec, s[6:7]
	v_mov_b32_e32 v16, s14
	s_and_saveexec_b64 s[6:7], s[4:5]
.LBB8_54:                               ;   in Loop: Header=BB8_44 Depth=1
	v_lshrrev_b32_e32 v1, 24, v1
	v_and_or_b32 v16, v1, s12, v17
.LBB8_55:                               ;   in Loop: Header=BB8_44 Depth=1
	s_or_b64 exec, exec, s[6:7]
.LBB8_56:                               ;   in Loop: Header=BB8_44 Depth=1
	s_or_b64 exec, exec, s[2:3]
	v_div_scale_f32 v1, s[2:3], v10, v10, v2
	v_rcp_f32_e32 v17, v1
	v_div_scale_f32 v18, vcc, v2, v10, v2
	v_fma_f32 v19, -v1, v17, 1.0
	v_fmac_f32_e32 v17, v19, v17
	v_mul_f32_e32 v19, v18, v17
	v_fma_f32 v25, -v1, v19, v18
	v_fmac_f32_e32 v19, v25, v17
	v_fma_f32 v1, -v1, v19, v18
	v_div_fmas_f32 v1, v1, v17, v19
	v_div_fixup_f32 v1, v1, v10, v2
	v_max_f32_e32 v1, v1, v5
	v_min_f32_e32 v17, v1, v15
	v_and_b32_e32 v18, 0x7fffffff, v17
	v_cmp_gt_u32_e32 vcc, s8, v18
	v_mov_b32_e32 v1, 0x80
	v_mov_b32_e32 v2, 0x80
	s_and_saveexec_b64 s[2:3], vcc
	s_cbranch_execz .LBB8_62
; %bb.57:                               ;   in Loop: Header=BB8_44 Depth=1
	v_cmp_lt_u32_e32 vcc, s9, v18
	s_mov_b64 s[4:5], 0
                                        ; implicit-def: $vgpr18
	s_and_saveexec_b64 s[6:7], vcc
	s_xor_b64 s[6:7], exec, s[6:7]
	s_cbranch_execnz .LBB8_70
; %bb.58:                               ;   in Loop: Header=BB8_44 Depth=1
	s_or_saveexec_b64 s[6:7], s[6:7]
                                        ; implicit-def: $sgpr14
	s_xor_b64 exec, exec, s[6:7]
	s_cbranch_execnz .LBB8_71
.LBB8_59:                               ;   in Loop: Header=BB8_44 Depth=1
	s_or_b64 exec, exec, s[6:7]
	v_mov_b32_e32 v2, s14
	s_and_saveexec_b64 s[6:7], s[4:5]
.LBB8_60:                               ;   in Loop: Header=BB8_44 Depth=1
	v_lshrrev_b32_e32 v2, 24, v17
	v_and_or_b32 v2, v2, s12, v18
.LBB8_61:                               ;   in Loop: Header=BB8_44 Depth=1
	s_or_b64 exec, exec, s[6:7]
.LBB8_62:                               ;   in Loop: Header=BB8_44 Depth=1
	s_or_b64 exec, exec, s[2:3]
	v_div_scale_f32 v17, s[2:3], v10, v10, v3
	v_rcp_f32_e32 v18, v17
	v_div_scale_f32 v19, vcc, v3, v10, v3
	v_fma_f32 v25, -v17, v18, 1.0
	v_fmac_f32_e32 v18, v25, v18
	v_mul_f32_e32 v25, v19, v18
	v_fma_f32 v26, -v17, v25, v19
	v_fmac_f32_e32 v25, v26, v18
	v_fma_f32 v17, -v17, v25, v19
	v_div_fmas_f32 v17, v17, v18, v25
	v_div_fixup_f32 v3, v17, v10, v3
	v_max_f32_e32 v3, v3, v5
	v_min_f32_e32 v3, v3, v15
	v_and_b32_e32 v17, 0x7fffffff, v3
	v_cmp_gt_u32_e32 vcc, s8, v17
	s_and_saveexec_b64 s[2:3], vcc
	s_cbranch_execz .LBB8_43
; %bb.63:                               ;   in Loop: Header=BB8_44 Depth=1
	v_cmp_lt_u32_e32 vcc, s9, v17
	s_mov_b64 s[4:5], 0
                                        ; implicit-def: $vgpr17
	s_and_saveexec_b64 s[6:7], vcc
	s_xor_b64 s[6:7], exec, s[6:7]
	s_cbranch_execnz .LBB8_72
; %bb.64:                               ;   in Loop: Header=BB8_44 Depth=1
	s_or_saveexec_b64 s[6:7], s[6:7]
                                        ; implicit-def: $sgpr14
	s_xor_b64 exec, exec, s[6:7]
	s_cbranch_execnz .LBB8_73
.LBB8_65:                               ;   in Loop: Header=BB8_44 Depth=1
	s_or_b64 exec, exec, s[6:7]
	v_mov_b32_e32 v1, s14
	s_and_saveexec_b64 s[6:7], s[4:5]
	s_cbranch_execz .LBB8_42
	s_branch .LBB8_74
.LBB8_66:                               ;   in Loop: Header=BB8_44 Depth=1
	v_bfe_u32 v0, v17, 20, 1
	v_add3_u32 v0, v17, v0, s10
	s_mov_b64 s[4:5], exec
	v_lshrrev_b32_e32 v18, 20, v0
	s_or_saveexec_b64 s[6:7], s[6:7]
                                        ; implicit-def: $sgpr14
	s_xor_b64 exec, exec, s[6:7]
	s_cbranch_execz .LBB8_47
.LBB8_67:                               ;   in Loop: Header=BB8_44 Depth=1
	v_add_f32_e64 v0, |v17|, s11
	v_and_b32_e32 v18, 0xff, v0
	v_cmp_ne_u32_e32 vcc, 0, v18
	s_andn2_b64 s[4:5], s[4:5], exec
	s_and_b64 s[16:17], vcc, exec
	s_mov_b32 s14, 0
	s_or_b64 s[4:5], s[4:5], s[16:17]
	s_or_b64 exec, exec, s[6:7]
	v_mov_b32_e32 v0, s14
	s_and_saveexec_b64 s[6:7], s[4:5]
	s_cbranch_execnz .LBB8_48
	s_branch .LBB8_49
.LBB8_68:                               ;   in Loop: Header=BB8_44 Depth=1
	v_bfe_u32 v16, v1, 20, 1
	v_add3_u32 v16, v1, v16, s10
	s_mov_b64 s[4:5], exec
	v_lshrrev_b32_e32 v17, 20, v16
	s_or_saveexec_b64 s[6:7], s[6:7]
                                        ; implicit-def: $sgpr14
	s_xor_b64 exec, exec, s[6:7]
	s_cbranch_execz .LBB8_53
.LBB8_69:                               ;   in Loop: Header=BB8_44 Depth=1
	v_add_f32_e64 v16, |v1|, s11
	v_and_b32_e32 v17, 0xff, v16
	v_cmp_ne_u32_e32 vcc, 0, v17
	s_andn2_b64 s[4:5], s[4:5], exec
	s_and_b64 s[16:17], vcc, exec
	s_mov_b32 s14, 0
	s_or_b64 s[4:5], s[4:5], s[16:17]
	s_or_b64 exec, exec, s[6:7]
	v_mov_b32_e32 v16, s14
	s_and_saveexec_b64 s[6:7], s[4:5]
	s_cbranch_execnz .LBB8_54
	s_branch .LBB8_55
.LBB8_70:                               ;   in Loop: Header=BB8_44 Depth=1
	v_bfe_u32 v2, v17, 20, 1
	v_add3_u32 v2, v17, v2, s10
	s_mov_b64 s[4:5], exec
	v_lshrrev_b32_e32 v18, 20, v2
	s_or_saveexec_b64 s[6:7], s[6:7]
                                        ; implicit-def: $sgpr14
	s_xor_b64 exec, exec, s[6:7]
	s_cbranch_execz .LBB8_59
.LBB8_71:                               ;   in Loop: Header=BB8_44 Depth=1
	v_add_f32_e64 v2, |v17|, s11
	v_and_b32_e32 v18, 0xff, v2
	v_cmp_ne_u32_e32 vcc, 0, v18
	s_andn2_b64 s[4:5], s[4:5], exec
	s_and_b64 s[16:17], vcc, exec
	s_mov_b32 s14, 0
	s_or_b64 s[4:5], s[4:5], s[16:17]
	s_or_b64 exec, exec, s[6:7]
	v_mov_b32_e32 v2, s14
	s_and_saveexec_b64 s[6:7], s[4:5]
	s_cbranch_execnz .LBB8_60
	s_branch .LBB8_61
.LBB8_72:                               ;   in Loop: Header=BB8_44 Depth=1
	v_bfe_u32 v1, v3, 20, 1
	v_add3_u32 v1, v3, v1, s10
	s_mov_b64 s[4:5], exec
	v_lshrrev_b32_e32 v17, 20, v1
	s_or_saveexec_b64 s[6:7], s[6:7]
                                        ; implicit-def: $sgpr14
	s_xor_b64 exec, exec, s[6:7]
	s_cbranch_execz .LBB8_65
.LBB8_73:                               ;   in Loop: Header=BB8_44 Depth=1
	v_add_f32_e64 v1, |v3|, s11
	v_and_b32_e32 v17, 0xff, v1
	v_cmp_ne_u32_e32 vcc, 0, v17
	s_andn2_b64 s[4:5], s[4:5], exec
	s_and_b64 s[16:17], vcc, exec
	s_mov_b32 s14, 0
	s_or_b64 s[4:5], s[4:5], s[16:17]
	s_or_b64 exec, exec, s[6:7]
	v_mov_b32_e32 v1, s14
	s_and_saveexec_b64 s[6:7], s[4:5]
	s_cbranch_execz .LBB8_42
.LBB8_74:                               ;   in Loop: Header=BB8_44 Depth=1
	v_lshrrev_b32_e32 v1, 24, v3
	v_and_or_b32 v1, v1, s12, v17
	s_branch .LBB8_42
.LBB8_75:
	s_or_b64 exec, exec, s[24:25]
	v_lshlrev_b32_e32 v2, 2, v24
	v_add_u32_e32 v0, v2, v8
	v_cmp_lt_i32_e32 vcc, v0, v21
	s_and_saveexec_b64 s[10:11], vcc
	s_cbranch_execz .LBB8_93
; %bb.76:
	v_add_u32_e32 v1, 16, v0
	v_max_i32_e32 v3, v1, v21
	v_xad_u32 v3, v8, -1, v3
	v_sub_u32_e32 v3, v3, v2
	v_cmp_lt_u32_e32 vcc, 15, v3
	s_mov_b64 s[0:1], 0
	v_lshlrev_b32_e32 v2, 2, v14
                                        ; implicit-def: $vgpr6
	s_and_saveexec_b64 s[2:3], vcc
	s_xor_b64 s[12:13], exec, s[2:3]
	s_cbranch_execnz .LBB8_79
; %bb.77:
	s_andn2_saveexec_b64 s[2:3], s[12:13]
	s_cbranch_execnz .LBB8_82
.LBB8_78:
	s_or_b64 exec, exec, s[2:3]
	s_and_b64 exec, exec, s[0:1]
	s_cbranch_execnz .LBB8_83
	s_branch .LBB8_93
.LBB8_79:
	v_lshrrev_b32_e32 v2, 4, v3
	v_add_u32_e32 v7, 1, v2
	v_lshlrev_b32_e32 v6, 2, v20
	v_lshlrev_b32_e32 v4, 4, v24
	;; [unrolled: 1-line block ×3, first 2 shown]
	v_and_b32_e32 v9, 0x1ffffffe, v7
	s_mov_b32 s0, s18
	s_mov_b32 s1, s18
	;; [unrolled: 1-line block ×4, first 2 shown]
	v_add3_u32 v4, v6, v4, v2
	v_lshlrev_b32_e32 v5, 2, v8
	v_mov_b32_e32 v3, v10
	v_add3_u32 v8, v4, v5, 0
	s_mov_b64 s[14:15], 0
	v_max_f32_e64 v15, s1, s1
	v_max_f32_e64 v16, s0, s0
	;; [unrolled: 1-line block ×4, first 2 shown]
	s_mov_b32 s17, 0x43800000
	s_brev_b32 s24, 60
	s_mov_b32 s25, 0x487ffff
	s_mov_b32 s16, 0x46000000
	s_movk_i32 s26, 0x80
	v_mov_b32_e32 v19, 0xffffff80
	v_mov_b32_e32 v20, 0
	;; [unrolled: 1-line block ×3, first 2 shown]
	v_pk_mov_b32 v[4:5], v[0:1], v[0:1] op_sel:[0,1]
.LBB8_80:                               ; =>This Inner Loop Header: Depth=1
	ds_read2_b32 v[28:29], v8 offset1:16
	v_ashrrev_i32_e32 v25, 31, v4
	v_add_co_u32_e32 v30, vcc, v22, v4
	v_mov_b32_e32 v26, v5
	v_addc_co_u32_e32 v31, vcc, v23, v25, vcc
	v_ashrrev_i32_e32 v1, 31, v5
	v_add_co_u32_e32 v26, vcc, v22, v26
	v_addc_co_u32_e32 v27, vcc, v23, v1, vcc
	s_waitcnt lgkmcnt(0)
	v_div_scale_f32 v1, s[2:3], v10, v10, v28
	v_div_scale_f32 v32, s[2:3], v3, v3, v29
	v_rcp_f32_e32 v34, v1
	v_rcp_f32_e32 v35, v32
	v_div_scale_f32 v25, vcc, v28, v10, v28
	v_fma_f32 v36, -v1, v34, 1.0
	v_fma_f32 v37, -v32, v35, 1.0
	v_fmac_f32_e32 v34, v36, v34
	v_div_scale_f32 v33, s[2:3], v29, v3, v29
	v_fmac_f32_e32 v35, v37, v35
	v_mul_f32_e32 v36, v25, v34
	v_mul_f32_e32 v37, v33, v35
	v_fma_f32 v38, -v1, v36, v25
	v_fma_f32 v39, -v32, v37, v33
	v_fmac_f32_e32 v36, v38, v34
	v_fmac_f32_e32 v37, v39, v35
	v_fma_f32 v1, -v1, v36, v25
	v_fma_f32 v25, -v32, v37, v33
	v_div_fmas_f32 v1, v1, v34, v36
	s_mov_b64 vcc, s[2:3]
	v_div_fixup_f32 v1, v1, v10, v28
	v_div_fmas_f32 v25, v25, v35, v37
	v_div_fixup_f32 v25, v25, v3, v29
	v_max_f32_e32 v1, v1, v16
	v_max_f32_e32 v25, v25, v15
	v_min_f32_e32 v1, v1, v17
	v_min_f32_e32 v25, v25, v18
	v_and_b32_e32 v28, 0x7fffffff, v1
	v_bfe_u32 v32, v1, 20, 1
	v_lshrrev_b32_e32 v33, 24, v1
	v_and_b32_e32 v29, 0x7fffffff, v25
	v_cmp_gt_u32_e32 vcc, s17, v28
	v_cmp_gt_u32_e64 s[2:3], s24, v28
	v_bfe_u32 v34, v25, 20, 1
	v_add3_u32 v1, v1, v32, s25
	v_lshrrev_b32_e32 v32, 24, v25
	v_cmp_gt_u32_e64 s[4:5], s17, v29
	v_cmp_gt_u32_e64 s[6:7], s24, v29
	v_add3_u32 v25, v25, v34, s25
	v_lshrrev_b32_e32 v1, 20, v1
	v_pk_add_f32 v[28:29], v[28:29], s[16:17] op_sel_hi:[1,0]
	s_xor_b64 s[8:9], s[2:3], vcc
	v_lshrrev_b32_e32 v25, 20, v25
	v_cndmask_b32_e64 v1, v28, v1, s[8:9]
	s_xor_b64 s[8:9], s[6:7], s[4:5]
	v_cmp_eq_u32_sdwa s[34:35], v28, v20 src0_sel:BYTE_0 src1_sel:DWORD
	v_cndmask_b32_e64 v25, v29, v25, s[8:9]
	v_and_or_b32 v1, v33, s26, v1
	v_add_u32_e32 v24, -2, v24
	v_cmp_eq_u32_sdwa s[28:29], v29, v20 src0_sel:BYTE_0 src1_sel:DWORD
	v_and_or_b32 v25, v32, s26, v25
	v_cndmask_b32_e32 v1, v19, v1, vcc
	s_and_b64 s[2:3], s[2:3], s[34:35]
	v_cmp_eq_u32_e64 s[0:1], 0, v24
	v_cndmask_b32_e64 v25, v19, v25, s[4:5]
	v_cndmask_b32_e64 v1, v1, 0, s[2:3]
	s_and_b64 s[2:3], s[6:7], s[28:29]
	v_add_u32_e32 v5, 32, v5
	v_add_u32_e32 v4, 32, v4
	;; [unrolled: 1-line block ×3, first 2 shown]
	v_cndmask_b32_e64 v25, v25, 0, s[2:3]
	s_or_b64 s[14:15], s[0:1], s[14:15]
	global_store_byte v[30:31], v1, off
	global_store_byte v[26:27], v25, off
	s_andn2_b64 exec, exec, s[14:15]
	s_cbranch_execnz .LBB8_80
; %bb.81:
	s_or_b64 exec, exec, s[14:15]
	v_cmp_ne_u32_e32 vcc, v7, v9
	v_lshl_add_u32 v0, v9, 4, v0
	s_and_b64 s[0:1], vcc, exec
                                        ; implicit-def: $vgpr20
	s_andn2_saveexec_b64 s[2:3], s[12:13]
	s_cbranch_execz .LBB8_78
.LBB8_82:
	v_lshlrev_b32_e32 v6, 2, v20
	s_or_b64 s[0:1], s[0:1], exec
	s_or_b64 exec, exec, s[2:3]
	s_and_b64 exec, exec, s[0:1]
	s_cbranch_execz .LBB8_93
.LBB8_83:
	v_lshl_add_u32 v1, v0, 2, v6
	v_add3_u32 v1, v1, v2, 0
	v_add_co_u32_e32 v2, vcc, v14, v12
	v_addc_co_u32_e32 v3, vcc, v11, v13, vcc
	v_ashrrev_i32_e32 v4, 31, v0
	v_add_co_u32_e32 v2, vcc, v2, v0
	v_addc_co_u32_e32 v3, vcc, v3, v4, vcc
	v_mov_b32_e32 v4, s21
	v_add_co_u32_e32 v2, vcc, s20, v2
	v_addc_co_u32_e32 v3, vcc, v4, v3, vcc
	s_mov_b64 s[0:1], 0
	v_max_f32_e64 v4, s18, s18
	v_max_f32_e64 v5, s19, s19
	s_mov_b32 s8, 0x43800000
	s_mov_b32 s9, 0x3bffffff
	;; [unrolled: 1-line block ×4, first 2 shown]
	s_movk_i32 s14, 0x80
	s_branch .LBB8_86
.LBB8_84:                               ;   in Loop: Header=BB8_86 Depth=1
	s_or_b64 exec, exec, s[6:7]
.LBB8_85:                               ;   in Loop: Header=BB8_86 Depth=1
	s_or_b64 exec, exec, s[2:3]
	v_add_u32_e32 v0, 16, v0
	v_cmp_ge_i32_e32 vcc, v0, v21
	global_store_byte v[2:3], v8, off
	s_or_b64 s[0:1], vcc, s[0:1]
	v_add_co_u32_e32 v2, vcc, 16, v2
	v_add_u32_e32 v1, 64, v1
	v_addc_co_u32_e32 v3, vcc, 0, v3, vcc
	s_andn2_b64 exec, exec, s[0:1]
	s_cbranch_execz .LBB8_93
.LBB8_86:                               ; =>This Inner Loop Header: Depth=1
	ds_read_b32 v6, v1
	s_waitcnt lgkmcnt(0)
	v_div_scale_f32 v7, s[2:3], v10, v10, v6
	v_rcp_f32_e32 v8, v7
	v_div_scale_f32 v9, vcc, v6, v10, v6
	v_fma_f32 v11, -v7, v8, 1.0
	v_fmac_f32_e32 v8, v11, v8
	v_mul_f32_e32 v11, v9, v8
	v_fma_f32 v12, -v7, v11, v9
	v_fmac_f32_e32 v11, v12, v8
	v_fma_f32 v7, -v7, v11, v9
	v_div_fmas_f32 v7, v7, v8, v11
	v_div_fixup_f32 v6, v7, v10, v6
	v_max_f32_e32 v6, v6, v4
	v_min_f32_e32 v6, v6, v5
	v_and_b32_e32 v7, 0x7fffffff, v6
	v_cmp_gt_u32_e32 vcc, s8, v7
	v_mov_b32_e32 v8, 0x80
	s_and_saveexec_b64 s[2:3], vcc
	s_cbranch_execz .LBB8_85
; %bb.87:                               ;   in Loop: Header=BB8_86 Depth=1
	v_cmp_lt_u32_e32 vcc, s9, v7
	s_mov_b64 s[4:5], 0
                                        ; implicit-def: $vgpr7
	s_and_saveexec_b64 s[6:7], vcc
	s_xor_b64 s[6:7], exec, s[6:7]
	s_cbranch_execnz .LBB8_90
; %bb.88:                               ;   in Loop: Header=BB8_86 Depth=1
	s_or_saveexec_b64 s[6:7], s[6:7]
                                        ; implicit-def: $sgpr15
	s_xor_b64 exec, exec, s[6:7]
	s_cbranch_execnz .LBB8_91
.LBB8_89:                               ;   in Loop: Header=BB8_86 Depth=1
	s_or_b64 exec, exec, s[6:7]
	v_mov_b32_e32 v8, s15
	s_and_saveexec_b64 s[6:7], s[4:5]
	s_cbranch_execz .LBB8_84
	s_branch .LBB8_92
.LBB8_90:                               ;   in Loop: Header=BB8_86 Depth=1
	v_bfe_u32 v7, v6, 20, 1
	v_add3_u32 v7, v6, v7, s12
	s_mov_b64 s[4:5], exec
	v_lshrrev_b32_e32 v7, 20, v7
	s_or_saveexec_b64 s[6:7], s[6:7]
                                        ; implicit-def: $sgpr15
	s_xor_b64 exec, exec, s[6:7]
	s_cbranch_execz .LBB8_89
.LBB8_91:                               ;   in Loop: Header=BB8_86 Depth=1
	v_add_f32_e64 v7, |v6|, s13
	v_and_b32_e32 v7, 0xff, v7
	v_cmp_ne_u32_e32 vcc, 0, v7
	s_andn2_b64 s[4:5], s[4:5], exec
	s_and_b64 s[16:17], vcc, exec
	s_mov_b32 s15, 0
	s_or_b64 s[4:5], s[4:5], s[16:17]
	s_or_b64 exec, exec, s[6:7]
	v_mov_b32_e32 v8, s15
	s_and_saveexec_b64 s[6:7], s[4:5]
	s_cbranch_execz .LBB8_84
.LBB8_92:                               ;   in Loop: Header=BB8_86 Depth=1
	v_lshrrev_b32_e32 v6, 24, v6
	v_and_or_b32 v8, v6, s14, v7
	s_branch .LBB8_84
.LBB8_93:
	s_or_b64 exec, exec, s[10:11]
                                        ; implicit-def: $vgpr8
                                        ; implicit-def: $vgpr20
                                        ; implicit-def: $vgpr10
                                        ; implicit-def: $vgpr18
                                        ; implicit-def: $vgpr19
                                        ; implicit-def: $vgpr12_vgpr13
.LBB8_94:
	s_andn2_saveexec_b64 s[0:1], s[22:23]
	s_cbranch_execz .LBB8_137
; %bb.95:
	s_ashr_i32 s27, s31, 2
	v_cmp_gt_i32_e32 vcc, s27, v8
	s_and_saveexec_b64 s[0:1], vcc
	s_cbranch_execz .LBB8_137
; %bb.96:
	v_xad_u32 v0, v8, -1, s27
	v_cmp_lt_u32_e32 vcc, 15, v0
	s_mov_b64 s[0:1], 0
	v_lshlrev_b32_e32 v21, 2, v20
	s_and_saveexec_b64 s[2:3], vcc
	s_xor_b64 s[22:23], exec, s[2:3]
	s_cbranch_execnz .LBB8_99
; %bb.97:
	s_andn2_saveexec_b64 s[2:3], s[22:23]
	s_cbranch_execnz .LBB8_102
.LBB8_98:
	s_or_b64 exec, exec, s[2:3]
	s_and_b64 exec, exec, s[0:1]
	s_cbranch_execnz .LBB8_103
	s_branch .LBB8_137
.LBB8_99:
	v_lshrrev_b32_e32 v0, 4, v0
	v_add_u32_e32 v22, 1, v0
	v_and_b32_e32 v23, 0x1ffffffe, v22
	v_or_b32_e32 v9, 16, v8
	s_mov_b32 s0, s18
	s_mov_b32 s1, s18
	;; [unrolled: 1-line block ×4, first 2 shown]
	v_lshlrev_b32_e32 v21, 2, v20
	v_lshlrev_b32_e32 v0, 4, v8
	v_mov_b32_e32 v11, v10
	v_add3_u32 v20, v21, v0, 0
	s_mov_b64 s[24:25], 0
	v_max_f32_e64 v24, s1, s1
	v_max_f32_e64 v25, s0, s0
	;; [unrolled: 1-line block ×4, first 2 shown]
	s_mov_b32 s33, 0x437fffff
	s_brev_b32 s42, 60
	s_mov_b32 s43, 0x487ffff
	s_mov_b32 s26, 0x46000000
	s_movk_i32 s44, 0xff
	s_movk_i32 s45, 0x80
	v_mov_b32_e32 v28, 0x80
	s_mov_b32 s46, 0x43800000
	s_mov_b32 s47, 0x3bffffff
	s_brev_b32 s48, 1
	v_bfrev_b32_e32 v29, 1
	v_mov_b32_e32 v30, 0x800000
	v_mov_b32_e32 v31, 0x8000
	;; [unrolled: 1-line block ×4, first 2 shown]
	v_pk_mov_b32 v[16:17], v[8:9], v[8:9] op_sel:[0,1]
.LBB8_100:                              ; =>This Inner Loop Header: Depth=1
	ds_read_b128 v[4:7], v20
	ds_read_b128 v[0:3], v20 offset:256
	v_add_u32_e32 v32, -2, v32
	v_add_u32_e32 v20, 0x200, v20
	s_waitcnt lgkmcnt(1)
	v_div_scale_f32 v9, s[0:1], v10, v10, v4
	v_rcp_f32_e32 v14, v9
	v_fma_f32 v33, -v9, v14, 1.0
	v_fmac_f32_e32 v14, v33, v14
	v_div_scale_f32 v33, vcc, v4, v10, v4
	v_mul_f32_e32 v34, v33, v14
	v_fma_f32 v35, -v9, v34, v33
	v_fmac_f32_e32 v34, v35, v14
	v_fma_f32 v9, -v9, v34, v33
	v_div_fmas_f32 v9, v9, v14, v34
	v_div_fixup_f32 v4, v9, v10, v4
	s_waitcnt lgkmcnt(0)
	v_div_scale_f32 v9, s[0:1], v11, v11, v0
	v_rcp_f32_e32 v14, v9
	v_max_f32_e32 v4, v4, v25
	v_min_f32_e32 v4, v4, v26
	v_fma_f32 v33, -v9, v14, 1.0
	v_fmac_f32_e32 v14, v33, v14
	v_div_scale_f32 v33, vcc, v0, v11, v0
	v_mul_f32_e32 v34, v33, v14
	v_fma_f32 v35, -v9, v34, v33
	v_fmac_f32_e32 v34, v35, v14
	v_fma_f32 v9, -v9, v34, v33
	v_div_fmas_f32 v9, v9, v14, v34
	v_div_fixup_f32 v0, v9, v11, v0
	v_max_f32_e32 v0, v0, v24
	v_min_f32_e32 v0, v0, v27
	v_and_b32_e32 v35, 0x7fffffff, v0
	v_and_b32_e32 v34, 0x7fffffff, v4
	v_cmp_lt_u32_e32 vcc, s33, v35
	v_cmp_lt_u32_e64 s[0:1], s33, v34
	v_cmp_gt_u32_e64 s[2:3], s42, v35
	v_cmp_gt_u32_e64 s[4:5], s42, v34
	v_bfe_u32 v9, v4, 20, 1
	v_pk_add_f32 v[34:35], v[34:35], s[26:27] op_sel_hi:[1,0]
	s_xor_b64 s[6:7], s[4:5], s[0:1]
	v_add3_u32 v9, v4, v9, s43
	v_cmp_ne_u32_sdwa s[28:29], v34, v15 src0_sel:BYTE_0 src1_sel:DWORD
	s_xor_b64 s[12:13], s[6:7], -1
	v_bfe_u32 v14, v0, 20, 1
	v_lshrrev_b32_e32 v9, 20, v9
	v_cmp_eq_u32_sdwa s[16:17], v34, v15 src0_sel:BYTE_0 src1_sel:DWORD
	s_and_b64 s[28:29], s[4:5], s[28:29]
	s_xor_b64 s[8:9], s[2:3], vcc
	v_add3_u32 v14, v0, v14, s43
	v_cmp_ne_u32_sdwa s[30:31], v35, v15 src0_sel:BYTE_0 src1_sel:DWORD
	s_or_b64 s[12:13], s[28:29], s[12:13]
	v_cndmask_b32_e64 v9, v9, v34, s[6:7]
	v_and_b32_sdwa v4, v4, s45 dst_sel:DWORD dst_unused:UNUSED_PAD src0_sel:BYTE_3 src1_sel:DWORD
	s_and_b64 s[28:29], s[4:5], s[16:17]
	s_xor_b64 s[10:11], s[8:9], -1
	v_lshrrev_b32_e32 v14, 20, v14
	v_cmp_eq_u32_sdwa s[14:15], v35, v15 src0_sel:BYTE_0 src1_sel:DWORD
	s_and_b64 s[30:31], s[2:3], s[30:31]
	s_or_b64 s[4:5], s[12:13], s[28:29]
	v_and_or_b32 v4, v9, s44, v4
	s_or_b64 s[10:11], s[30:31], s[10:11]
	v_cndmask_b32_e64 v14, v14, v35, s[8:9]
	v_and_b32_sdwa v0, v0, s45 dst_sel:DWORD dst_unused:UNUSED_PAD src0_sel:BYTE_3 src1_sel:DWORD
	s_and_b64 s[30:31], s[2:3], s[14:15]
	s_or_b64 s[14:15], s[4:5], s[0:1]
	v_cndmask_b32_e64 v4, v4, v28, s[0:1]
	v_div_scale_f32 v9, s[0:1], v10, v10, v5
	v_and_or_b32 v0, v14, s44, v0
	v_rcp_f32_e32 v14, v9
	s_or_b64 s[2:3], s[10:11], s[30:31]
	s_or_b64 s[16:17], s[2:3], vcc
	v_cndmask_b32_e32 v0, v0, v28, vcc
	v_fma_f32 v33, -v9, v14, 1.0
	v_fmac_f32_e32 v14, v33, v14
	v_div_scale_f32 v33, vcc, v5, v10, v5
	v_mul_f32_e32 v34, v33, v14
	v_fma_f32 v35, -v9, v34, v33
	v_fmac_f32_e32 v34, v35, v14
	v_fma_f32 v9, -v9, v34, v33
	v_div_fmas_f32 v9, v9, v14, v34
	v_div_fixup_f32 v5, v9, v10, v5
	v_div_scale_f32 v9, s[0:1], v11, v11, v1
	v_rcp_f32_e32 v14, v9
	v_max_f32_e32 v5, v5, v25
	v_min_f32_e32 v5, v5, v26
	v_cndmask_b32_e64 v4, v4, 0, s[28:29]
	v_fma_f32 v33, -v9, v14, 1.0
	v_fmac_f32_e32 v14, v33, v14
	v_div_scale_f32 v33, vcc, v1, v11, v1
	v_mul_f32_e32 v34, v33, v14
	v_fma_f32 v35, -v9, v34, v33
	v_fmac_f32_e32 v34, v35, v14
	v_fma_f32 v9, -v9, v34, v33
	v_div_fmas_f32 v9, v9, v14, v34
	v_div_fixup_f32 v1, v9, v11, v1
	v_max_f32_e32 v1, v1, v24
	v_min_f32_e32 v1, v1, v27
	v_and_b32_e32 v35, 0x7fffffff, v1
	v_and_b32_e32 v34, 0x7fffffff, v5
	v_cmp_gt_u32_e64 s[2:3], s46, v34
	v_cmp_gt_u32_e64 s[4:5], s46, v35
	v_cmp_lt_u32_e32 vcc, s33, v35
	v_cmp_lt_u32_e64 s[0:1], s33, v34
	s_and_b64 s[10:11], s[16:17], s[4:5]
	s_and_b64 s[12:13], s[14:15], s[2:3]
	v_cmp_gt_u32_e64 s[2:3], s42, v34
	v_cmp_gt_u32_e64 s[4:5], s42, v35
	v_cmp_lt_u32_e64 s[6:7], s47, v35
	v_cmp_lt_u32_e64 s[8:9], s47, v34
	v_bfe_u32 v14, v1, 20, 1
	v_pk_add_f32 v[34:35], v[34:35], s[26:27] op_sel_hi:[1,0]
	v_bfe_u32 v9, v5, 20, 1
	v_add3_u32 v14, v1, v14, s43
	v_and_b32_e32 v34, 0xff, v34
	s_and_b64 s[8:9], s[12:13], s[8:9]
	s_and_b64 s[6:7], s[10:11], s[6:7]
	v_add3_u32 v9, v5, v9, s43
	v_lshrrev_b32_e32 v14, 20, v14
	s_and_b64 s[36:37], s[12:13], s[2:3]
	v_and_b32_e32 v33, 0xff, v35
	v_cmp_ne_u32_e64 s[12:13], 0, v34
	v_lshrrev_b32_e32 v9, 20, v9
	v_cmp_eq_u32_e64 s[2:3], 0, v34
	s_and_b64 s[12:13], s[36:37], s[12:13]
	v_cndmask_b32_e64 v14, v33, v14, s[6:7]
	v_lshrrev_b32_e32 v1, 24, v1
	s_and_b64 s[34:35], s[10:11], s[4:5]
	v_cmp_eq_u32_e64 s[4:5], 0, v33
	v_cmp_ne_u32_e64 s[10:11], 0, v33
	s_or_b64 s[12:13], s[12:13], s[8:9]
	v_cndmask_b32_e64 v9, v34, v9, s[8:9]
	v_lshrrev_b32_e32 v5, 24, v5
	v_and_or_b32 v1, v1, s45, v14
	s_and_b64 s[36:37], s[36:37], s[2:3]
	s_and_b64 s[10:11], s[34:35], s[10:11]
	v_and_or_b32 v5, v5, s45, v9
	s_and_b64 s[34:35], s[34:35], s[4:5]
	s_or_b64 s[4:5], s[12:13], s[36:37]
	s_and_b64 s[0:1], s[14:15], s[0:1]
	v_lshlrev_b32_e32 v9, 8, v1
	s_or_b64 s[52:53], s[4:5], s[0:1]
	v_lshlrev_b32_e32 v1, 8, v5
	v_and_b32_e32 v5, 0xff00, v9
	v_div_scale_f32 v9, s[4:5], v10, v10, v6
	v_rcp_f32_e32 v14, v9
	s_and_b64 s[2:3], s[16:17], vcc
	s_or_b64 s[10:11], s[10:11], s[6:7]
	s_or_b64 s[6:7], s[10:11], s[34:35]
	v_fma_f32 v33, -v9, v14, 1.0
	v_fmac_f32_e32 v14, v33, v14
	v_div_scale_f32 v33, vcc, v6, v10, v6
	v_mul_f32_e32 v34, v33, v14
	v_fma_f32 v35, -v9, v34, v33
	v_fmac_f32_e32 v34, v35, v14
	v_fma_f32 v9, -v9, v34, v33
	v_div_fmas_f32 v9, v9, v14, v34
	v_div_fixup_f32 v6, v9, v10, v6
	v_div_scale_f32 v9, s[4:5], v11, v11, v2
	v_rcp_f32_e32 v14, v9
	v_max_f32_e32 v6, v6, v25
	v_min_f32_e32 v6, v6, v26
	s_or_b64 s[50:51], s[6:7], s[2:3]
	v_fma_f32 v33, -v9, v14, 1.0
	v_fmac_f32_e32 v14, v33, v14
	v_div_scale_f32 v33, vcc, v2, v11, v2
	v_mul_f32_e32 v34, v33, v14
	v_fma_f32 v35, -v9, v34, v33
	v_fmac_f32_e32 v34, v35, v14
	v_fma_f32 v9, -v9, v34, v33
	v_div_fmas_f32 v9, v9, v14, v34
	v_div_fixup_f32 v2, v9, v11, v2
	v_max_f32_e32 v2, v2, v24
	v_min_f32_e32 v2, v2, v27
	v_and_b32_e32 v35, 0x7fffffff, v2
	v_and_b32_e32 v34, 0x7fffffff, v6
	v_cmp_gt_u32_e64 s[6:7], s46, v35
	v_cmp_gt_u32_e64 s[8:9], s46, v34
	v_cmp_lt_u32_e32 vcc, s33, v34
	v_cmp_lt_u32_e64 s[4:5], s33, v35
	s_and_b64 s[14:15], s[52:53], s[8:9]
	s_and_b64 s[16:17], s[50:51], s[6:7]
	v_cmp_gt_u32_e64 s[6:7], s42, v35
	v_cmp_gt_u32_e64 s[8:9], s42, v34
	v_cmp_lt_u32_e64 s[10:11], s47, v34
	v_cmp_lt_u32_e64 s[12:13], s47, v35
	v_pk_add_f32 v[34:35], v[34:35], s[26:27] op_sel_hi:[1,0]
	v_and_b32_e32 v33, 0xff, v34
	v_and_b32_e32 v34, 0xff, v35
	s_and_b64 s[12:13], s[16:17], s[12:13]
	v_bfe_u32 v9, v2, 20, 1
	s_and_b64 s[40:41], s[16:17], s[6:7]
	v_cmp_ne_u32_e64 s[16:17], 0, v34
	v_bfe_u32 v14, v6, 20, 1
	v_add3_u32 v9, v2, v9, s43
	v_cmp_eq_u32_e64 s[6:7], 0, v34
	s_and_b64 s[16:17], s[40:41], s[16:17]
	s_and_b64 s[10:11], s[14:15], s[10:11]
	v_add3_u32 v14, v6, v14, s43
	v_lshrrev_b32_e32 v9, 20, v9
	s_and_b64 s[38:39], s[14:15], s[8:9]
	v_cmp_eq_u32_e64 s[8:9], 0, v33
	v_cmp_ne_u32_e64 s[14:15], 0, v33
	s_or_b64 s[16:17], s[16:17], s[12:13]
	s_and_b64 s[40:41], s[40:41], s[6:7]
	v_lshrrev_b32_e32 v14, 20, v14
	s_and_b64 s[14:15], s[38:39], s[14:15]
	v_cndmask_b32_e64 v9, v34, v9, s[12:13]
	v_lshrrev_b32_e32 v2, 24, v2
	s_and_b64 s[38:39], s[38:39], s[8:9]
	s_or_b64 s[8:9], s[16:17], s[40:41]
	s_and_b64 s[4:5], s[50:51], s[4:5]
	v_cndmask_b32_e64 v14, v33, v14, s[10:11]
	v_lshrrev_b32_e32 v6, 24, v6
	v_and_or_b32 v2, v2, s45, v9
	s_and_b64 s[6:7], s[52:53], vcc
	s_or_b64 s[52:53], s[8:9], s[4:5]
	v_div_scale_f32 v9, s[8:9], v10, v10, v7
	v_and_or_b32 v6, v6, s45, v14
	v_rcp_f32_e32 v14, v9
	s_or_b64 s[14:15], s[14:15], s[10:11]
	s_or_b64 s[10:11], s[14:15], s[38:39]
	;; [unrolled: 1-line block ×3, first 2 shown]
	v_fma_f32 v33, -v9, v14, 1.0
	v_fmac_f32_e32 v14, v33, v14
	v_div_scale_f32 v33, vcc, v7, v10, v7
	v_mul_f32_e32 v34, v33, v14
	v_fma_f32 v35, -v9, v34, v33
	v_fmac_f32_e32 v34, v35, v14
	v_fma_f32 v9, -v9, v34, v33
	v_div_fmas_f32 v9, v9, v14, v34
	v_div_fixup_f32 v7, v9, v10, v7
	v_div_scale_f32 v9, s[8:9], v11, v11, v3
	v_rcp_f32_e32 v14, v9
	v_max_f32_e32 v7, v7, v25
	v_min_f32_e32 v7, v7, v26
	v_lshlrev_b32_e32 v6, 16, v6
	v_fma_f32 v33, -v9, v14, 1.0
	v_fmac_f32_e32 v14, v33, v14
	v_div_scale_f32 v33, vcc, v3, v11, v3
	v_mul_f32_e32 v34, v33, v14
	v_fma_f32 v35, -v9, v34, v33
	v_fmac_f32_e32 v34, v35, v14
	v_fma_f32 v9, -v9, v34, v33
	v_div_fmas_f32 v9, v9, v14, v34
	v_div_fixup_f32 v3, v9, v11, v3
	v_max_f32_e32 v3, v3, v24
	v_min_f32_e32 v3, v3, v27
	v_and_b32_e32 v35, 0x7fffffff, v3
	v_and_b32_e32 v34, 0x7fffffff, v7
	v_cmp_gt_u32_e64 s[12:13], s46, v35
	v_bfe_u32 v14, v3, 20, 1
	v_cmp_gt_u32_e64 s[10:11], s46, v34
	s_and_b64 s[54:55], s[52:53], s[12:13]
	v_cmp_lt_u32_e64 s[14:15], s47, v35
	v_bfe_u32 v9, v7, 20, 1
	v_add3_u32 v14, v3, v14, s43
	v_cmp_lt_u32_e32 vcc, s33, v34
	v_cmp_lt_u32_e64 s[8:9], s33, v35
	s_and_b64 s[56:57], s[50:51], s[10:11]
	v_cmp_gt_u32_e64 s[10:11], s42, v34
	v_cmp_gt_u32_e64 s[12:13], s42, v35
	v_cmp_lt_u32_e64 s[16:17], s47, v34
	s_and_b64 s[14:15], s[54:55], s[14:15]
	v_add3_u32 v9, v7, v9, s43
	v_lshrrev_b32_e32 v14, 20, v14
	v_pk_add_f32 v[34:35], v[34:35], s[26:27] op_sel_hi:[1,0]
	s_and_b64 s[16:17], s[56:57], s[16:17]
	v_lshrrev_b32_e32 v9, 20, v9
	v_cndmask_b32_e64 v14, v35, v14, s[14:15]
	v_cndmask_b32_e64 v9, v34, v9, s[16:17]
	v_lshlrev_b32_e32 v14, 24, v14
	s_and_b64 s[8:9], s[52:53], s[8:9]
	v_lshlrev_b32_e32 v9, 24, v9
	v_and_or_b32 v14, v3, s48, v14
	v_and_or_b32 v3, v7, s48, v9
	v_cndmask_b32_e64 v7, v14, v29, s[8:9]
	v_mov_b32_e32 v14, v16
	s_and_b64 s[12:13], s[54:55], s[12:13]
	s_and_b64 s[10:11], s[56:57], s[10:11]
	v_cmp_eq_u32_sdwa s[54:55], v35, v15 src0_sel:BYTE_0 src1_sel:DWORD
	v_cmp_eq_u32_sdwa s[56:57], v34, v15 src0_sel:BYTE_0 src1_sel:DWORD
	s_and_b64 vcc, s[50:51], vcc
	v_lshlrev_b64 v[34:35], 2, v[14:15]
	v_cndmask_b32_e32 v3, v3, v29, vcc
	v_add_co_u32_e32 v34, vcc, v18, v34
	v_mov_b32_e32 v14, v17
	v_lshlrev_b32_e32 v2, 16, v2
	v_and_b32_e32 v6, 0xff0000, v6
	v_addc_co_u32_e32 v35, vcc, v19, v35, vcc
	v_lshlrev_b64 v[36:37], 2, v[14:15]
	v_and_b32_e32 v1, 0xff00, v1
	v_and_b32_e32 v2, 0xff0000, v2
	s_and_b64 s[10:11], s[10:11], s[56:57]
	v_add_co_u32_e32 v36, vcc, v18, v36
	v_cndmask_b32_e64 v6, v6, v30, s[6:7]
	s_and_b64 s[12:13], s[12:13], s[54:55]
	v_addc_co_u32_e32 v37, vcc, v19, v37, vcc
	v_cndmask_b32_e64 v3, v3, 0, s[10:11]
	v_cndmask_b32_e64 v2, v2, v30, s[4:5]
	;; [unrolled: 1-line block ×6, first 2 shown]
	v_or_b32_e32 v3, v3, v6
	v_cndmask_b32_e64 v5, v5, v31, s[2:3]
	v_cndmask_b32_e64 v1, v1, 0, s[36:37]
	v_cmp_eq_u32_e32 vcc, 0, v32
	v_or_b32_e32 v2, v7, v2
	v_cndmask_b32_e64 v5, v5, 0, s[34:35]
	v_cndmask_b32_e64 v0, v0, 0, s[30:31]
	v_or3_b32 v1, v3, v1, v4
	v_add_u32_e32 v17, 32, v17
	v_add_u32_e32 v16, 32, v16
	s_or_b64 s[24:25], vcc, s[24:25]
	v_or3_b32 v0, v2, v5, v0
	global_store_dword v[34:35], v1, off
	global_store_dword v[36:37], v0, off
	s_andn2_b64 exec, exec, s[24:25]
	s_cbranch_execnz .LBB8_100
; %bb.101:
	s_or_b64 exec, exec, s[24:25]
	v_cmp_ne_u32_e32 vcc, v22, v23
	v_lshl_or_b32 v8, v23, 4, v8
	s_and_b64 s[0:1], vcc, exec
	s_andn2_saveexec_b64 s[2:3], s[22:23]
	s_cbranch_execz .LBB8_98
.LBB8_102:
	s_or_b64 s[0:1], s[0:1], exec
	s_or_b64 exec, exec, s[2:3]
	s_and_b64 exec, exec, s[0:1]
	s_cbranch_execz .LBB8_137
.LBB8_103:
	v_lshlrev_b32_e32 v0, 4, v8
	v_mov_b32_e32 v9, 0
	v_add3_u32 v6, v21, v0, 0
	v_lshlrev_b64 v[0:1], 2, v[8:9]
	v_add_co_u32_e32 v0, vcc, v12, v0
	v_addc_co_u32_e32 v1, vcc, v13, v1, vcc
	v_mov_b32_e32 v2, s21
	v_add_co_u32_e32 v4, vcc, s20, v0
	v_addc_co_u32_e32 v5, vcc, v2, v1, vcc
	s_mov_b64 s[0:1], 0
	v_max_f32_e64 v7, s18, s18
	v_max_f32_e64 v9, s19, s19
	s_mov_b32 s8, 0x43800000
	s_mov_b32 s9, 0x3bffffff
	;; [unrolled: 1-line block ×4, first 2 shown]
	s_movk_i32 s12, 0x80
	s_mov_b32 s13, 0x4020c0c
	s_branch .LBB8_106
.LBB8_104:                              ;   in Loop: Header=BB8_106 Depth=1
	s_or_b64 exec, exec, s[6:7]
.LBB8_105:                              ;   in Loop: Header=BB8_106 Depth=1
	s_or_b64 exec, exec, s[2:3]
	v_lshlrev_b32_e32 v2, 16, v2
	v_perm_b32 v1, v1, v2, s13
	v_lshlrev_b32_e32 v2, 8, v11
	v_and_b32_e32 v2, 0xff00, v2
	v_and_b32_e32 v0, 0xff, v0
	v_add_u32_e32 v8, 16, v8
	v_or3_b32 v0, v1, v2, v0
	v_cmp_le_i32_e32 vcc, s27, v8
	global_store_dword v[4:5], v0, off
	s_or_b64 s[0:1], vcc, s[0:1]
	v_add_co_u32_e32 v4, vcc, 64, v4
	v_add_u32_e32 v6, 0x100, v6
	v_addc_co_u32_e32 v5, vcc, 0, v5, vcc
	s_andn2_b64 exec, exec, s[0:1]
	s_cbranch_execz .LBB8_137
.LBB8_106:                              ; =>This Inner Loop Header: Depth=1
	ds_read_b128 v[0:3], v6
	v_mov_b32_e32 v11, 0x80
	s_waitcnt lgkmcnt(0)
	v_div_scale_f32 v12, s[2:3], v10, v10, v0
	v_rcp_f32_e32 v13, v12
	v_div_scale_f32 v14, vcc, v0, v10, v0
	v_fma_f32 v15, -v12, v13, 1.0
	v_fmac_f32_e32 v13, v15, v13
	v_mul_f32_e32 v15, v14, v13
	v_fma_f32 v16, -v12, v15, v14
	v_fmac_f32_e32 v15, v16, v13
	v_fma_f32 v12, -v12, v15, v14
	v_div_fmas_f32 v12, v12, v13, v15
	v_div_fixup_f32 v0, v12, v10, v0
	v_max_f32_e32 v0, v0, v7
	v_min_f32_e32 v12, v0, v9
	v_and_b32_e32 v13, 0x7fffffff, v12
	v_cmp_gt_u32_e32 vcc, s8, v13
	v_mov_b32_e32 v0, 0x80
	s_and_saveexec_b64 s[2:3], vcc
	s_cbranch_execz .LBB8_112
; %bb.107:                              ;   in Loop: Header=BB8_106 Depth=1
	v_cmp_lt_u32_e32 vcc, s9, v13
	s_mov_b64 s[4:5], 0
                                        ; implicit-def: $vgpr13
	s_and_saveexec_b64 s[6:7], vcc
	s_xor_b64 s[6:7], exec, s[6:7]
	s_cbranch_execnz .LBB8_128
; %bb.108:                              ;   in Loop: Header=BB8_106 Depth=1
	s_or_saveexec_b64 s[6:7], s[6:7]
                                        ; implicit-def: $sgpr14
	s_xor_b64 exec, exec, s[6:7]
	s_cbranch_execnz .LBB8_129
.LBB8_109:                              ;   in Loop: Header=BB8_106 Depth=1
	s_or_b64 exec, exec, s[6:7]
	v_mov_b32_e32 v0, s14
	s_and_saveexec_b64 s[6:7], s[4:5]
.LBB8_110:                              ;   in Loop: Header=BB8_106 Depth=1
	v_lshrrev_b32_e32 v0, 24, v12
	v_and_or_b32 v0, v0, s12, v13
.LBB8_111:                              ;   in Loop: Header=BB8_106 Depth=1
	s_or_b64 exec, exec, s[6:7]
.LBB8_112:                              ;   in Loop: Header=BB8_106 Depth=1
	s_or_b64 exec, exec, s[2:3]
	v_div_scale_f32 v12, s[2:3], v10, v10, v1
	v_rcp_f32_e32 v13, v12
	v_div_scale_f32 v14, vcc, v1, v10, v1
	v_fma_f32 v15, -v12, v13, 1.0
	v_fmac_f32_e32 v13, v15, v13
	v_mul_f32_e32 v15, v14, v13
	v_fma_f32 v16, -v12, v15, v14
	v_fmac_f32_e32 v15, v16, v13
	v_fma_f32 v12, -v12, v15, v14
	v_div_fmas_f32 v12, v12, v13, v15
	v_div_fixup_f32 v1, v12, v10, v1
	v_max_f32_e32 v1, v1, v7
	v_min_f32_e32 v1, v1, v9
	v_and_b32_e32 v12, 0x7fffffff, v1
	v_cmp_gt_u32_e32 vcc, s8, v12
	s_and_saveexec_b64 s[2:3], vcc
	s_cbranch_execz .LBB8_118
; %bb.113:                              ;   in Loop: Header=BB8_106 Depth=1
	v_cmp_lt_u32_e32 vcc, s9, v12
	s_mov_b64 s[4:5], 0
                                        ; implicit-def: $vgpr12
	s_and_saveexec_b64 s[6:7], vcc
	s_xor_b64 s[6:7], exec, s[6:7]
	s_cbranch_execnz .LBB8_130
; %bb.114:                              ;   in Loop: Header=BB8_106 Depth=1
	s_or_saveexec_b64 s[6:7], s[6:7]
                                        ; implicit-def: $sgpr14
	s_xor_b64 exec, exec, s[6:7]
	s_cbranch_execnz .LBB8_131
.LBB8_115:                              ;   in Loop: Header=BB8_106 Depth=1
	s_or_b64 exec, exec, s[6:7]
	v_mov_b32_e32 v11, s14
	s_and_saveexec_b64 s[6:7], s[4:5]
.LBB8_116:                              ;   in Loop: Header=BB8_106 Depth=1
	v_lshrrev_b32_e32 v1, 24, v1
	v_and_or_b32 v11, v1, s12, v12
.LBB8_117:                              ;   in Loop: Header=BB8_106 Depth=1
	s_or_b64 exec, exec, s[6:7]
.LBB8_118:                              ;   in Loop: Header=BB8_106 Depth=1
	s_or_b64 exec, exec, s[2:3]
	v_div_scale_f32 v1, s[2:3], v10, v10, v2
	v_rcp_f32_e32 v12, v1
	v_div_scale_f32 v13, vcc, v2, v10, v2
	v_fma_f32 v14, -v1, v12, 1.0
	v_fmac_f32_e32 v12, v14, v12
	v_mul_f32_e32 v14, v13, v12
	v_fma_f32 v15, -v1, v14, v13
	v_fmac_f32_e32 v14, v15, v12
	v_fma_f32 v1, -v1, v14, v13
	v_div_fmas_f32 v1, v1, v12, v14
	v_div_fixup_f32 v1, v1, v10, v2
	v_max_f32_e32 v1, v1, v7
	v_min_f32_e32 v12, v1, v9
	v_and_b32_e32 v13, 0x7fffffff, v12
	v_cmp_gt_u32_e32 vcc, s8, v13
	v_mov_b32_e32 v1, 0x80
	v_mov_b32_e32 v2, 0x80
	s_and_saveexec_b64 s[2:3], vcc
	s_cbranch_execz .LBB8_124
; %bb.119:                              ;   in Loop: Header=BB8_106 Depth=1
	v_cmp_lt_u32_e32 vcc, s9, v13
	s_mov_b64 s[4:5], 0
                                        ; implicit-def: $vgpr13
	s_and_saveexec_b64 s[6:7], vcc
	s_xor_b64 s[6:7], exec, s[6:7]
	s_cbranch_execnz .LBB8_132
; %bb.120:                              ;   in Loop: Header=BB8_106 Depth=1
	s_or_saveexec_b64 s[6:7], s[6:7]
                                        ; implicit-def: $sgpr14
	s_xor_b64 exec, exec, s[6:7]
	s_cbranch_execnz .LBB8_133
.LBB8_121:                              ;   in Loop: Header=BB8_106 Depth=1
	s_or_b64 exec, exec, s[6:7]
	v_mov_b32_e32 v2, s14
	s_and_saveexec_b64 s[6:7], s[4:5]
.LBB8_122:                              ;   in Loop: Header=BB8_106 Depth=1
	v_lshrrev_b32_e32 v2, 24, v12
	v_and_or_b32 v2, v2, s12, v13
.LBB8_123:                              ;   in Loop: Header=BB8_106 Depth=1
	s_or_b64 exec, exec, s[6:7]
.LBB8_124:                              ;   in Loop: Header=BB8_106 Depth=1
	s_or_b64 exec, exec, s[2:3]
	v_div_scale_f32 v12, s[2:3], v10, v10, v3
	v_rcp_f32_e32 v13, v12
	v_div_scale_f32 v14, vcc, v3, v10, v3
	v_fma_f32 v15, -v12, v13, 1.0
	v_fmac_f32_e32 v13, v15, v13
	v_mul_f32_e32 v15, v14, v13
	v_fma_f32 v16, -v12, v15, v14
	v_fmac_f32_e32 v15, v16, v13
	v_fma_f32 v12, -v12, v15, v14
	v_div_fmas_f32 v12, v12, v13, v15
	v_div_fixup_f32 v3, v12, v10, v3
	v_max_f32_e32 v3, v3, v7
	v_min_f32_e32 v3, v3, v9
	v_and_b32_e32 v12, 0x7fffffff, v3
	v_cmp_gt_u32_e32 vcc, s8, v12
	s_and_saveexec_b64 s[2:3], vcc
	s_cbranch_execz .LBB8_105
; %bb.125:                              ;   in Loop: Header=BB8_106 Depth=1
	v_cmp_lt_u32_e32 vcc, s9, v12
	s_mov_b64 s[4:5], 0
                                        ; implicit-def: $vgpr12
	s_and_saveexec_b64 s[6:7], vcc
	s_xor_b64 s[6:7], exec, s[6:7]
	s_cbranch_execnz .LBB8_134
; %bb.126:                              ;   in Loop: Header=BB8_106 Depth=1
	s_or_saveexec_b64 s[6:7], s[6:7]
                                        ; implicit-def: $sgpr14
	s_xor_b64 exec, exec, s[6:7]
	s_cbranch_execnz .LBB8_135
.LBB8_127:                              ;   in Loop: Header=BB8_106 Depth=1
	s_or_b64 exec, exec, s[6:7]
	v_mov_b32_e32 v1, s14
	s_and_saveexec_b64 s[6:7], s[4:5]
	s_cbranch_execz .LBB8_104
	s_branch .LBB8_136
.LBB8_128:                              ;   in Loop: Header=BB8_106 Depth=1
	v_bfe_u32 v0, v12, 20, 1
	v_add3_u32 v0, v12, v0, s10
	s_mov_b64 s[4:5], exec
	v_lshrrev_b32_e32 v13, 20, v0
	s_or_saveexec_b64 s[6:7], s[6:7]
                                        ; implicit-def: $sgpr14
	s_xor_b64 exec, exec, s[6:7]
	s_cbranch_execz .LBB8_109
.LBB8_129:                              ;   in Loop: Header=BB8_106 Depth=1
	v_add_f32_e64 v0, |v12|, s11
	v_and_b32_e32 v13, 0xff, v0
	v_cmp_ne_u32_e32 vcc, 0, v13
	s_andn2_b64 s[4:5], s[4:5], exec
	s_and_b64 s[16:17], vcc, exec
	s_mov_b32 s14, 0
	s_or_b64 s[4:5], s[4:5], s[16:17]
	s_or_b64 exec, exec, s[6:7]
	v_mov_b32_e32 v0, s14
	s_and_saveexec_b64 s[6:7], s[4:5]
	s_cbranch_execnz .LBB8_110
	s_branch .LBB8_111
.LBB8_130:                              ;   in Loop: Header=BB8_106 Depth=1
	v_bfe_u32 v11, v1, 20, 1
	v_add3_u32 v11, v1, v11, s10
	s_mov_b64 s[4:5], exec
	v_lshrrev_b32_e32 v12, 20, v11
	s_or_saveexec_b64 s[6:7], s[6:7]
                                        ; implicit-def: $sgpr14
	s_xor_b64 exec, exec, s[6:7]
	s_cbranch_execz .LBB8_115
.LBB8_131:                              ;   in Loop: Header=BB8_106 Depth=1
	v_add_f32_e64 v11, |v1|, s11
	v_and_b32_e32 v12, 0xff, v11
	v_cmp_ne_u32_e32 vcc, 0, v12
	s_andn2_b64 s[4:5], s[4:5], exec
	s_and_b64 s[16:17], vcc, exec
	s_mov_b32 s14, 0
	s_or_b64 s[4:5], s[4:5], s[16:17]
	s_or_b64 exec, exec, s[6:7]
	v_mov_b32_e32 v11, s14
	s_and_saveexec_b64 s[6:7], s[4:5]
	s_cbranch_execnz .LBB8_116
	s_branch .LBB8_117
.LBB8_132:                              ;   in Loop: Header=BB8_106 Depth=1
	v_bfe_u32 v2, v12, 20, 1
	v_add3_u32 v2, v12, v2, s10
	s_mov_b64 s[4:5], exec
	v_lshrrev_b32_e32 v13, 20, v2
	s_or_saveexec_b64 s[6:7], s[6:7]
                                        ; implicit-def: $sgpr14
	s_xor_b64 exec, exec, s[6:7]
	s_cbranch_execz .LBB8_121
.LBB8_133:                              ;   in Loop: Header=BB8_106 Depth=1
	v_add_f32_e64 v2, |v12|, s11
	v_and_b32_e32 v13, 0xff, v2
	v_cmp_ne_u32_e32 vcc, 0, v13
	s_andn2_b64 s[4:5], s[4:5], exec
	s_and_b64 s[16:17], vcc, exec
	s_mov_b32 s14, 0
	s_or_b64 s[4:5], s[4:5], s[16:17]
	s_or_b64 exec, exec, s[6:7]
	v_mov_b32_e32 v2, s14
	s_and_saveexec_b64 s[6:7], s[4:5]
	s_cbranch_execnz .LBB8_122
	s_branch .LBB8_123
.LBB8_134:                              ;   in Loop: Header=BB8_106 Depth=1
	v_bfe_u32 v1, v3, 20, 1
	v_add3_u32 v1, v3, v1, s10
	s_mov_b64 s[4:5], exec
	v_lshrrev_b32_e32 v12, 20, v1
	s_or_saveexec_b64 s[6:7], s[6:7]
                                        ; implicit-def: $sgpr14
	s_xor_b64 exec, exec, s[6:7]
	s_cbranch_execz .LBB8_127
.LBB8_135:                              ;   in Loop: Header=BB8_106 Depth=1
	v_add_f32_e64 v1, |v3|, s11
	v_and_b32_e32 v12, 0xff, v1
	v_cmp_ne_u32_e32 vcc, 0, v12
	s_andn2_b64 s[4:5], s[4:5], exec
	s_and_b64 s[16:17], vcc, exec
	s_mov_b32 s14, 0
	s_or_b64 s[4:5], s[4:5], s[16:17]
	s_or_b64 exec, exec, s[6:7]
	v_mov_b32_e32 v1, s14
	s_and_saveexec_b64 s[6:7], s[4:5]
	s_cbranch_execz .LBB8_104
.LBB8_136:                              ;   in Loop: Header=BB8_106 Depth=1
	v_lshrrev_b32_e32 v1, 24, v3
	v_and_or_b32 v1, v1, s12, v12
	s_branch .LBB8_104
.LBB8_137:
	s_endpgm
.LBB8_138:
	v_bfe_u32 v1, v0, 20, 1
	s_mov_b32 s8, 0x487ffff
	v_add3_u32 v1, v0, v1, s8
	s_mov_b64 s[4:5], exec
	v_lshrrev_b32_e32 v1, 20, v1
	s_or_saveexec_b64 s[6:7], s[6:7]
                                        ; implicit-def: $sgpr8
	s_xor_b64 exec, exec, s[6:7]
	s_cbranch_execz .LBB8_29
.LBB8_139:
	s_mov_b32 s8, 0x46000000
	v_add_f32_e64 v1, |v0|, s8
	v_and_b32_e32 v1, 0xff, v1
	v_cmp_ne_u32_e32 vcc, 0, v1
	s_andn2_b64 s[4:5], s[4:5], exec
	s_and_b64 s[10:11], vcc, exec
	s_mov_b32 s8, 0
	s_or_b64 s[4:5], s[4:5], s[10:11]
	s_or_b64 exec, exec, s[6:7]
	v_mov_b32_e32 v2, s8
	s_and_saveexec_b64 s[6:7], s[4:5]
	s_cbranch_execnz .LBB8_30
	s_branch .LBB8_31
	.section	.rodata,"a",@progbits
	.p2align	6, 0x0
	.amdhsa_kernel _Z33per_token_group_quant_8bit_kernelIfN3c1015Float8_e4m3fnuzELb1ELb1EfEvPKT_PvPT3_iiifffii
		.amdhsa_group_segment_fixed_size 0
		.amdhsa_private_segment_fixed_size 0
		.amdhsa_kernarg_size 56
		.amdhsa_user_sgpr_count 6
		.amdhsa_user_sgpr_private_segment_buffer 1
		.amdhsa_user_sgpr_dispatch_ptr 0
		.amdhsa_user_sgpr_queue_ptr 0
		.amdhsa_user_sgpr_kernarg_segment_ptr 1
		.amdhsa_user_sgpr_dispatch_id 0
		.amdhsa_user_sgpr_flat_scratch_init 0
		.amdhsa_user_sgpr_kernarg_preload_length 0
		.amdhsa_user_sgpr_kernarg_preload_offset 0
		.amdhsa_user_sgpr_private_segment_size 0
		.amdhsa_uses_dynamic_stack 0
		.amdhsa_system_sgpr_private_segment_wavefront_offset 0
		.amdhsa_system_sgpr_workgroup_id_x 1
		.amdhsa_system_sgpr_workgroup_id_y 0
		.amdhsa_system_sgpr_workgroup_id_z 0
		.amdhsa_system_sgpr_workgroup_info 0
		.amdhsa_system_vgpr_workitem_id 0
		.amdhsa_next_free_vgpr 44
		.amdhsa_next_free_sgpr 62
		.amdhsa_accum_offset 44
		.amdhsa_reserve_vcc 1
		.amdhsa_reserve_flat_scratch 0
		.amdhsa_float_round_mode_32 0
		.amdhsa_float_round_mode_16_64 0
		.amdhsa_float_denorm_mode_32 3
		.amdhsa_float_denorm_mode_16_64 3
		.amdhsa_dx10_clamp 1
		.amdhsa_ieee_mode 1
		.amdhsa_fp16_overflow 0
		.amdhsa_tg_split 0
		.amdhsa_exception_fp_ieee_invalid_op 0
		.amdhsa_exception_fp_denorm_src 0
		.amdhsa_exception_fp_ieee_div_zero 0
		.amdhsa_exception_fp_ieee_overflow 0
		.amdhsa_exception_fp_ieee_underflow 0
		.amdhsa_exception_fp_ieee_inexact 0
		.amdhsa_exception_int_div_zero 0
	.end_amdhsa_kernel
	.section	.text._Z33per_token_group_quant_8bit_kernelIfN3c1015Float8_e4m3fnuzELb1ELb1EfEvPKT_PvPT3_iiifffii,"axG",@progbits,_Z33per_token_group_quant_8bit_kernelIfN3c1015Float8_e4m3fnuzELb1ELb1EfEvPKT_PvPT3_iiifffii,comdat
.Lfunc_end8:
	.size	_Z33per_token_group_quant_8bit_kernelIfN3c1015Float8_e4m3fnuzELb1ELb1EfEvPKT_PvPT3_iiifffii, .Lfunc_end8-_Z33per_token_group_quant_8bit_kernelIfN3c1015Float8_e4m3fnuzELb1ELb1EfEvPKT_PvPT3_iiifffii
                                        ; -- End function
	.section	.AMDGPU.csdata,"",@progbits
; Kernel info:
; codeLenInByte = 10780
; NumSgprs: 66
; NumVgprs: 44
; NumAgprs: 0
; TotalNumVgprs: 44
; ScratchSize: 0
; MemoryBound: 0
; FloatMode: 240
; IeeeMode: 1
; LDSByteSize: 0 bytes/workgroup (compile time only)
; SGPRBlocks: 8
; VGPRBlocks: 5
; NumSGPRsForWavesPerEU: 66
; NumVGPRsForWavesPerEU: 44
; AccumOffset: 44
; Occupancy: 8
; WaveLimiterHint : 0
; COMPUTE_PGM_RSRC2:SCRATCH_EN: 0
; COMPUTE_PGM_RSRC2:USER_SGPR: 6
; COMPUTE_PGM_RSRC2:TRAP_HANDLER: 0
; COMPUTE_PGM_RSRC2:TGID_X_EN: 1
; COMPUTE_PGM_RSRC2:TGID_Y_EN: 0
; COMPUTE_PGM_RSRC2:TGID_Z_EN: 0
; COMPUTE_PGM_RSRC2:TIDIG_COMP_CNT: 0
; COMPUTE_PGM_RSRC3_GFX90A:ACCUM_OFFSET: 10
; COMPUTE_PGM_RSRC3_GFX90A:TG_SPLIT: 0
	.section	.text._Z33per_token_group_quant_8bit_kernelIfN3c1015Float8_e4m3fnuzELb1ELb0EfEvPKT_PvPT3_iiifffii,"axG",@progbits,_Z33per_token_group_quant_8bit_kernelIfN3c1015Float8_e4m3fnuzELb1ELb0EfEvPKT_PvPT3_iiifffii,comdat
	.protected	_Z33per_token_group_quant_8bit_kernelIfN3c1015Float8_e4m3fnuzELb1ELb0EfEvPKT_PvPT3_iiifffii ; -- Begin function _Z33per_token_group_quant_8bit_kernelIfN3c1015Float8_e4m3fnuzELb1ELb0EfEvPKT_PvPT3_iiifffii
	.globl	_Z33per_token_group_quant_8bit_kernelIfN3c1015Float8_e4m3fnuzELb1ELb0EfEvPKT_PvPT3_iiifffii
	.p2align	8
	.type	_Z33per_token_group_quant_8bit_kernelIfN3c1015Float8_e4m3fnuzELb1ELb0EfEvPKT_PvPT3_iiifffii,@function
_Z33per_token_group_quant_8bit_kernelIfN3c1015Float8_e4m3fnuzELb1ELb0EfEvPKT_PvPT3_iiifffii: ; @_Z33per_token_group_quant_8bit_kernelIfN3c1015Float8_e4m3fnuzELb1ELb0EfEvPKT_PvPT3_iiifffii
; %bb.0:
	s_load_dword s31, s[4:5], 0x18
	s_load_dwordx2 s[0:1], s[4:5], 0x0
	s_load_dwordx4 s[16:19], s[4:5], 0x20
	s_load_dwordx2 s[8:9], s[4:5], 0x30
	v_lshrrev_b32_e32 v2, 4, v0
	s_waitcnt lgkmcnt(0)
	s_ashr_i32 s7, s31, 31
	v_and_b32_e32 v10, 15, v0
	s_mul_i32 s6, s6, s16
	v_add_co_u32_e32 v7, vcc, s6, v2
	v_addc_co_u32_e64 v9, s[2:3], 0, 0, vcc
	v_mul_lo_u32 v0, v9, s31
	v_mul_lo_u32 v1, v7, s7
	v_mad_u64_u32 v[12:13], s[2:3], v7, s31, 0
	v_add3_u32 v13, v13, v1, v0
	v_lshlrev_b64 v[0:1], 2, v[12:13]
	s_and_b32 s6, s31, 3
	v_mov_b32_e32 v4, s1
	v_add_co_u32_e32 v3, vcc, s0, v0
	s_cmp_eq_u32 s6, 0
	v_addc_co_u32_e32 v4, vcc, v4, v1, vcc
	v_mov_b32_e32 v15, 0
	v_and_b32_e32 v14, 15, v3
	s_cselect_b64 s[2:3], -1, 0
	s_cmp_lg_u32 s6, 0
	v_mul_lo_u32 v20, v2, s31
	v_cmp_ne_u64_e32 vcc, 0, v[14:15]
	s_cselect_b64 s[6:7], -1, 0
	v_lshl_add_u32 v6, v20, 2, 0
	s_or_b64 s[6:7], s[6:7], vcc
                                        ; implicit-def: $vgpr8
	s_and_saveexec_b64 s[10:11], s[6:7]
	s_xor_b64 s[6:7], exec, s[10:11]
	s_cbranch_execz .LBB9_12
; %bb.1:
	v_sub_u32_e32 v2, 0, v3
	v_bfe_u32 v2, v2, 2, 2
	v_min_i32_e32 v2, s31, v2
	v_cmp_gt_i32_e32 vcc, v2, v10
	v_mov_b32_e32 v8, s17
	s_and_saveexec_b64 s[10:11], vcc
	s_cbranch_execz .LBB9_3
; %bb.2:
	v_lshlrev_b32_e32 v5, 2, v10
	v_add_co_u32_e32 v14, vcc, v3, v5
	v_addc_co_u32_e32 v15, vcc, 0, v4, vcc
	global_load_dword v3, v[14:15], off
	v_max_f32_e64 v4, s17, s17
	v_add_u32_e32 v5, v6, v5
	s_waitcnt vmcnt(0)
	v_max_f32_e64 v8, |v3|, |v3|
	v_max_f32_e32 v8, v4, v8
	ds_write_b32 v5, v3
.LBB9_3:
	s_or_b64 exec, exec, s[10:11]
	v_sub_u32_e32 v11, s31, v2
	v_ashrrev_i32_e32 v4, 31, v11
	v_lshrrev_b32_e32 v4, 30, v4
	v_add_u32_e32 v4, v11, v4
	v_ashrrev_i32_e32 v3, 31, v2
	v_ashrrev_i32_e32 v14, 2, v4
	v_cmp_gt_i32_e32 vcc, v14, v10
	v_lshlrev_b32_e32 v15, 2, v2
	v_lshlrev_b64 v[2:3], 2, v[2:3]
	s_and_saveexec_b64 s[10:11], vcc
	s_cbranch_execz .LBB9_7
; %bb.4:
	v_lshlrev_b32_e32 v4, 4, v10
	v_lshl_add_u32 v5, v20, 2, v4
	v_add_co_u32_e32 v4, vcc, v0, v4
	v_add3_u32 v16, v5, v15, 0
	v_addc_co_u32_e32 v5, vcc, 0, v1, vcc
	v_add_co_u32_e32 v4, vcc, v4, v2
	v_addc_co_u32_e32 v5, vcc, v5, v3, vcc
	v_mov_b32_e32 v17, s1
	v_add_co_u32_e32 v4, vcc, s0, v4
	v_addc_co_u32_e32 v5, vcc, v5, v17, vcc
	v_add_co_u32_e32 v4, vcc, 8, v4
	v_addc_co_u32_e32 v5, vcc, 0, v5, vcc
	s_mov_b64 s[12:13], 0
	v_mov_b32_e32 v17, v10
.LBB9_5:                                ; =>This Inner Loop Header: Depth=1
	global_load_dwordx4 v[22:25], v[4:5], off offset:-8
	v_add_co_u32_e32 v4, vcc, 0x100, v4
	v_add_u32_e32 v17, 16, v17
	v_addc_co_u32_e32 v5, vcc, 0, v5, vcc
	v_cmp_ge_i32_e32 vcc, v17, v14
	s_or_b64 s[12:13], vcc, s[12:13]
	s_waitcnt vmcnt(0)
	v_max3_f32 v8, v8, |v22|, |v23|
	ds_write_b128 v16, v[22:25]
	v_add_u32_e32 v16, 0x100, v16
	v_max3_f32 v8, v8, |v24|, |v25|
	s_andn2_b64 exec, exec, s[12:13]
	s_cbranch_execnz .LBB9_5
; %bb.6:
	s_or_b64 exec, exec, s[12:13]
.LBB9_7:
	s_or_b64 exec, exec, s[10:11]
	v_lshl_add_u32 v4, v14, 2, v10
	v_cmp_lt_i32_e32 vcc, v4, v11
	s_and_saveexec_b64 s[10:11], vcc
	s_cbranch_execz .LBB9_11
; %bb.8:
	v_lshlrev_b32_e32 v5, 2, v20
	v_lshlrev_b32_e32 v14, 4, v14
	v_add3_u32 v5, v5, v14, v15
	v_lshlrev_b32_e32 v14, 2, v10
	v_add3_u32 v14, v5, v14, 0
	v_add_co_u32_e32 v2, vcc, v0, v2
	v_ashrrev_i32_e32 v5, 31, v4
	v_addc_co_u32_e32 v3, vcc, v1, v3, vcc
	v_lshlrev_b64 v[0:1], 2, v[4:5]
	v_add_co_u32_e32 v0, vcc, v2, v0
	v_addc_co_u32_e32 v1, vcc, v3, v1, vcc
	v_mov_b32_e32 v2, s1
	v_add_co_u32_e32 v0, vcc, s0, v0
	v_addc_co_u32_e32 v1, vcc, v2, v1, vcc
	s_mov_b64 s[12:13], 0
.LBB9_9:                                ; =>This Inner Loop Header: Depth=1
	global_load_dword v2, v[0:1], off
	v_add_co_u32_e32 v0, vcc, 64, v0
	v_add_u32_e32 v4, 16, v4
	v_addc_co_u32_e32 v1, vcc, 0, v1, vcc
	v_max_f32_e32 v3, v8, v8
	v_cmp_ge_i32_e32 vcc, v4, v11
	s_or_b64 s[12:13], vcc, s[12:13]
	s_waitcnt vmcnt(0)
	v_max_f32_e64 v5, |v2|, |v2|
	ds_write_b32 v14, v2
	v_add_u32_e32 v14, 64, v14
	v_max_f32_e32 v8, v3, v5
	s_andn2_b64 exec, exec, s[12:13]
	s_cbranch_execnz .LBB9_9
; %bb.10:
	s_or_b64 exec, exec, s[12:13]
.LBB9_11:
	s_or_b64 exec, exec, s[10:11]
                                        ; implicit-def: $vgpr0_vgpr1
.LBB9_12:
	s_andn2_saveexec_b64 s[6:7], s[6:7]
	s_cbranch_execz .LBB9_18
; %bb.13:
	s_ashr_i32 s12, s31, 2
	v_cmp_gt_i32_e32 vcc, s12, v10
	v_mov_b32_e32 v8, s17
	s_and_saveexec_b64 s[10:11], vcc
	s_cbranch_execz .LBB9_17
; %bb.14:
	v_lshlrev_b32_e32 v3, 4, v10
	v_add_co_u32_e32 v0, vcc, v0, v3
	v_lshlrev_b32_e32 v2, 2, v20
	v_addc_co_u32_e32 v1, vcc, 0, v1, vcc
	v_add3_u32 v2, v2, v3, 0
	v_mov_b32_e32 v3, s1
	v_add_co_u32_e32 v0, vcc, s0, v0
	v_addc_co_u32_e32 v1, vcc, v1, v3, vcc
	v_add_co_u32_e32 v0, vcc, 8, v0
	v_addc_co_u32_e32 v1, vcc, 0, v1, vcc
	s_mov_b64 s[0:1], 0
	v_mov_b32_e32 v8, s17
	v_mov_b32_e32 v3, v10
.LBB9_15:                               ; =>This Inner Loop Header: Depth=1
	global_load_dwordx4 v[14:17], v[0:1], off offset:-8
	v_add_co_u32_e32 v0, vcc, 0x100, v0
	v_add_u32_e32 v3, 16, v3
	v_addc_co_u32_e32 v1, vcc, 0, v1, vcc
	v_cmp_le_i32_e32 vcc, s12, v3
	s_or_b64 s[0:1], vcc, s[0:1]
	s_waitcnt vmcnt(0)
	v_max3_f32 v4, v8, |v14|, |v15|
	ds_write_b128 v2, v[14:17]
	v_add_u32_e32 v2, 0x100, v2
	v_max3_f32 v8, v4, |v16|, |v17|
	s_andn2_b64 exec, exec, s[0:1]
	s_cbranch_execnz .LBB9_15
; %bb.16:
	s_or_b64 exec, exec, s[0:1]
.LBB9_17:
	s_or_b64 exec, exec, s[10:11]
.LBB9_18:
	s_or_b64 exec, exec, s[6:7]
	v_mbcnt_lo_u32_b32 v0, -1, 0
	v_mbcnt_hi_u32_b32 v0, -1, v0
	v_and_b32_e32 v2, 0x70, v0
	v_xor_b32_e32 v1, 8, v0
	v_add_u32_e32 v2, 16, v2
	v_cmp_lt_i32_e32 vcc, v1, v2
	v_cndmask_b32_e32 v1, v0, v1, vcc
	v_lshlrev_b32_e32 v1, 2, v1
	ds_bpermute_b32 v1, v1, v8
	v_xor_b32_e32 v4, 4, v0
	v_max_f32_e32 v3, v8, v8
	v_cmp_lt_i32_e32 vcc, v4, v2
	s_load_dwordx2 s[20:21], s[4:5], 0x8
	s_waitcnt lgkmcnt(0)
	v_max_f32_e32 v1, v1, v1
	v_max_f32_e32 v1, v3, v1
	v_cndmask_b32_e32 v3, v0, v4, vcc
	v_lshlrev_b32_e32 v3, 2, v3
	ds_bpermute_b32 v3, v3, v1
	v_xor_b32_e32 v4, 2, v0
	v_cmp_lt_i32_e32 vcc, v4, v2
	s_waitcnt lgkmcnt(0)
	v_max_f32_e32 v3, v3, v3
	v_max_f32_e32 v1, v1, v3
	v_cndmask_b32_e32 v3, v0, v4, vcc
	v_lshlrev_b32_e32 v3, 2, v3
	ds_bpermute_b32 v3, v3, v1
	v_xor_b32_e32 v4, 1, v0
	v_cmp_lt_i32_e32 vcc, v4, v2
	v_cndmask_b32_e32 v0, v0, v4, vcc
	v_lshlrev_b32_e32 v0, 2, v0
	s_waitcnt lgkmcnt(0)
	v_max_f32_e32 v3, v3, v3
	v_max_f32_e32 v1, v1, v3
	ds_bpermute_b32 v0, v0, v1
	s_waitcnt lgkmcnt(0)
	v_max_f32_e32 v0, v0, v0
	v_max_f32_e32 v0, v1, v0
	v_div_scale_f32 v1, s[0:1], s19, s19, v0
	v_rcp_f32_e32 v2, v1
	v_div_scale_f32 v3, vcc, v0, s19, v0
	v_fma_f32 v4, -v1, v2, 1.0
	v_fmac_f32_e32 v2, v4, v2
	v_mul_f32_e32 v4, v3, v2
	v_fma_f32 v5, -v1, v4, v3
	v_fmac_f32_e32 v4, v5, v2
	v_fma_f32 v1, -v1, v4, v3
	v_div_fmas_f32 v1, v1, v2, v4
	v_div_fixup_f32 v8, v1, s19, v0
	v_cmp_eq_u32_e32 vcc, 0, v10
	s_and_saveexec_b64 s[6:7], vcc
	s_cbranch_execz .LBB9_24
; %bb.19:
	s_load_dwordx2 s[4:5], s[4:5], 0x10
	s_ashr_i32 s0, s8, 31
	v_or_b32_e32 v1, s0, v9
	v_mov_b32_e32 v0, 0
	v_cmp_ne_u64_e32 vcc, 0, v[0:1]
                                        ; implicit-def: $vgpr0_vgpr1
	s_and_saveexec_b64 s[10:11], vcc
	s_xor_b64 s[10:11], exec, s[10:11]
	s_cbranch_execz .LBB9_21
; %bb.20:
	s_add_u32 s14, s8, s0
	s_mov_b32 s12, s0
	s_mov_b32 s13, s0
	s_addc_u32 s15, s0, s0
	s_xor_b64 s[14:15], s[14:15], s[12:13]
	v_cvt_f32_u32_e32 v0, s14
	v_cvt_f32_u32_e32 v1, s15
	s_sub_u32 s0, 0, s14
	s_subb_u32 s1, 0, s15
	v_madmk_f32 v0, v1, 0x4f800000, v0
	v_rcp_f32_e32 v0, v0
	v_mul_f32_e32 v0, 0x5f7ffffc, v0
	v_mul_f32_e32 v1, 0x2f800000, v0
	v_trunc_f32_e32 v1, v1
	v_madmk_f32 v0, v1, 0xcf800000, v0
	v_cvt_u32_f32_e32 v1, v1
	v_cvt_u32_f32_e32 v0, v0
	v_mul_lo_u32 v2, s0, v1
	v_mul_hi_u32 v4, s0, v0
	v_mul_lo_u32 v3, s1, v0
	v_add_u32_e32 v2, v4, v2
	v_mul_lo_u32 v5, s0, v0
	v_add_u32_e32 v2, v2, v3
	v_mul_lo_u32 v4, v0, v2
	v_mul_hi_u32 v11, v0, v5
	v_mul_hi_u32 v3, v0, v2
	v_add_co_u32_e32 v4, vcc, v11, v4
	v_addc_co_u32_e32 v3, vcc, 0, v3, vcc
	v_mul_hi_u32 v14, v1, v5
	v_mul_lo_u32 v5, v1, v5
	v_add_co_u32_e32 v4, vcc, v4, v5
	v_mul_hi_u32 v11, v1, v2
	v_addc_co_u32_e32 v3, vcc, v3, v14, vcc
	v_addc_co_u32_e32 v4, vcc, 0, v11, vcc
	v_mul_lo_u32 v2, v1, v2
	v_add_co_u32_e32 v2, vcc, v3, v2
	v_addc_co_u32_e32 v3, vcc, 0, v4, vcc
	v_add_co_u32_e32 v0, vcc, v0, v2
	v_addc_co_u32_e32 v1, vcc, v1, v3, vcc
	v_mul_lo_u32 v2, s0, v1
	v_mul_hi_u32 v3, s0, v0
	v_add_u32_e32 v2, v3, v2
	v_mul_lo_u32 v3, s1, v0
	v_add_u32_e32 v2, v2, v3
	v_mul_lo_u32 v4, s0, v0
	v_mul_hi_u32 v5, v1, v4
	v_mul_lo_u32 v11, v1, v4
	v_mul_lo_u32 v15, v0, v2
	v_mul_hi_u32 v4, v0, v4
	v_mul_hi_u32 v14, v0, v2
	v_add_co_u32_e32 v4, vcc, v4, v15
	v_addc_co_u32_e32 v14, vcc, 0, v14, vcc
	v_add_co_u32_e32 v4, vcc, v4, v11
	v_mul_hi_u32 v3, v1, v2
	v_addc_co_u32_e32 v4, vcc, v14, v5, vcc
	v_addc_co_u32_e32 v3, vcc, 0, v3, vcc
	v_mul_lo_u32 v2, v1, v2
	v_add_co_u32_e32 v2, vcc, v4, v2
	v_addc_co_u32_e32 v3, vcc, 0, v3, vcc
	v_add_co_u32_e32 v2, vcc, v0, v2
	v_addc_co_u32_e32 v3, vcc, v1, v3, vcc
	v_mad_u64_u32 v[0:1], s[0:1], v7, v3, 0
	v_mul_hi_u32 v4, v7, v2
	v_add_co_u32_e32 v4, vcc, v4, v0
	v_addc_co_u32_e32 v5, vcc, 0, v1, vcc
	v_mad_u64_u32 v[0:1], s[0:1], v9, v3, 0
	v_mad_u64_u32 v[2:3], s[0:1], v9, v2, 0
	v_add_co_u32_e32 v2, vcc, v4, v2
	v_addc_co_u32_e32 v2, vcc, v5, v3, vcc
	v_addc_co_u32_e32 v1, vcc, 0, v1, vcc
	v_add_co_u32_e32 v2, vcc, v2, v0
	v_addc_co_u32_e32 v0, vcc, 0, v1, vcc
	v_mul_lo_u32 v3, s15, v2
	v_mul_lo_u32 v4, s14, v0
	v_mad_u64_u32 v[0:1], s[0:1], s14, v2, 0
	v_add3_u32 v1, v1, v4, v3
	v_sub_u32_e32 v3, v9, v1
	v_mov_b32_e32 v4, s15
	v_sub_co_u32_e32 v0, vcc, v7, v0
	v_subb_co_u32_e64 v3, s[0:1], v3, v4, vcc
	v_subrev_co_u32_e64 v4, s[0:1], s14, v0
	v_subbrev_co_u32_e64 v3, s[0:1], 0, v3, s[0:1]
	v_cmp_le_u32_e64 s[0:1], s15, v3
	v_subb_co_u32_e32 v1, vcc, v9, v1, vcc
	v_cndmask_b32_e64 v5, 0, -1, s[0:1]
	v_cmp_le_u32_e64 s[0:1], s14, v4
	v_cmp_le_u32_e32 vcc, s15, v1
	v_cndmask_b32_e64 v4, 0, -1, s[0:1]
	v_cmp_eq_u32_e64 s[0:1], s15, v3
	v_cndmask_b32_e64 v9, 0, -1, vcc
	v_cmp_le_u32_e32 vcc, s14, v0
	v_cndmask_b32_e64 v3, v5, v4, s[0:1]
	v_cndmask_b32_e64 v0, 0, -1, vcc
	v_cmp_eq_u32_e32 vcc, s15, v1
	v_add_co_u32_e64 v4, s[0:1], 2, v2
	v_add_co_u32_e64 v5, s[0:1], 1, v2
	v_cndmask_b32_e32 v0, v9, v0, vcc
	v_cmp_ne_u32_e32 vcc, 0, v3
	v_cndmask_b32_e32 v1, v5, v4, vcc
	v_cmp_ne_u32_e32 vcc, 0, v0
	v_cndmask_b32_e32 v0, v2, v1, vcc
	v_xor_b32_e32 v0, s12, v0
	v_subrev_co_u32_e32 v0, vcc, s12, v0
.LBB9_21:
	s_andn2_saveexec_b64 s[0:1], s[10:11]
	s_cbranch_execz .LBB9_23
; %bb.22:
	v_cvt_f32_u32_e32 v0, s8
	s_sub_i32 s10, 0, s8
	v_rcp_iflag_f32_e32 v0, v0
	v_mul_f32_e32 v0, 0x4f7ffffe, v0
	v_cvt_u32_f32_e32 v0, v0
	v_mul_lo_u32 v1, s10, v0
	v_mul_hi_u32 v1, v0, v1
	v_add_u32_e32 v0, v0, v1
	v_mul_hi_u32 v0, v7, v0
	v_mul_lo_u32 v1, v0, s8
	v_sub_u32_e32 v1, v7, v1
	v_add_u32_e32 v2, 1, v0
	v_subrev_u32_e32 v3, s8, v1
	v_cmp_le_u32_e32 vcc, s8, v1
	v_cndmask_b32_e32 v1, v1, v3, vcc
	v_cndmask_b32_e32 v0, v0, v2, vcc
	v_add_u32_e32 v2, 1, v0
	v_cmp_le_u32_e32 vcc, s8, v1
	v_cndmask_b32_e32 v0, v0, v2, vcc
.LBB9_23:
	s_or_b64 exec, exec, s[0:1]
	v_mul_lo_u32 v1, v0, s8
	v_sub_u32_e32 v1, v7, v1
	v_mad_u64_u32 v[0:1], s[0:1], v1, s9, v[0:1]
	v_ashrrev_i32_e32 v1, 31, v0
	v_lshlrev_b64 v[0:1], 2, v[0:1]
	s_waitcnt lgkmcnt(0)
	v_mov_b32_e32 v2, s5
	v_add_co_u32_e32 v0, vcc, s4, v0
	v_addc_co_u32_e32 v1, vcc, v2, v1, vcc
	global_store_dword v[0:1], v8, off
.LBB9_24:
	s_or_b64 exec, exec, s[6:7]
	v_mov_b32_e32 v0, s21
	v_add_co_u32_e32 v18, vcc, s20, v12
	v_addc_co_u32_e32 v19, vcc, v0, v13, vcc
	v_and_b32_e32 v0, 15, v6
	v_mov_b32_e32 v1, 0
	v_cmp_ne_u64_e32 vcc, 0, v[0:1]
	s_xor_b64 s[0:1], s[2:3], -1
	s_or_b64 s[0:1], s[0:1], vcc
	s_barrier
	s_and_saveexec_b64 s[2:3], s[0:1]
	s_xor_b64 s[22:23], exec, s[2:3]
	s_cbranch_execz .LBB9_94
; %bb.25:
	v_sub_u32_e32 v0, 0, v6
	v_bfe_u32 v0, v0, 2, 2
	v_min_i32_e32 v14, s31, v0
	v_cmp_gt_i32_e32 vcc, v14, v10
	s_and_saveexec_b64 s[0:1], vcc
	s_cbranch_execz .LBB9_33
; %bb.26:
	v_lshl_add_u32 v0, v10, 2, v6
	ds_read_b32 v0, v0
	v_max_f32_e64 v1, s18, s18
	v_max_f32_e64 v2, s19, s19
	s_waitcnt lgkmcnt(0)
	v_div_scale_f32 v3, s[2:3], v8, v8, v0
	v_rcp_f32_e32 v4, v3
	v_div_scale_f32 v5, vcc, v0, v8, v0
	s_mov_b32 s2, 0x43800000
	v_fma_f32 v6, -v3, v4, 1.0
	v_fmac_f32_e32 v4, v6, v4
	v_mul_f32_e32 v6, v5, v4
	v_fma_f32 v7, -v3, v6, v5
	v_fmac_f32_e32 v6, v7, v4
	v_fma_f32 v3, -v3, v6, v5
	v_div_fmas_f32 v3, v3, v4, v6
	v_div_fixup_f32 v0, v3, v8, v0
	v_max_f32_e32 v0, v0, v1
	v_min_f32_e32 v0, v0, v2
	v_and_b32_e32 v1, 0x7fffffff, v0
	v_cmp_gt_u32_e32 vcc, s2, v1
	v_mov_b32_e32 v2, 0x80
	s_and_saveexec_b64 s[2:3], vcc
	s_cbranch_execz .LBB9_32
; %bb.27:
	s_mov_b32 s4, 0x3bffffff
	v_cmp_lt_u32_e32 vcc, s4, v1
	s_mov_b64 s[4:5], 0
                                        ; implicit-def: $vgpr1
	s_and_saveexec_b64 s[6:7], vcc
	s_xor_b64 s[6:7], exec, s[6:7]
	s_cbranch_execnz .LBB9_138
; %bb.28:
	s_or_saveexec_b64 s[6:7], s[6:7]
                                        ; implicit-def: $sgpr8
	s_xor_b64 exec, exec, s[6:7]
	s_cbranch_execnz .LBB9_139
.LBB9_29:
	s_or_b64 exec, exec, s[6:7]
	v_mov_b32_e32 v2, s8
	s_and_saveexec_b64 s[6:7], s[4:5]
.LBB9_30:
	v_lshrrev_b32_e32 v0, 24, v0
	s_movk_i32 s4, 0x80
	v_and_or_b32 v2, v0, s4, v1
.LBB9_31:
	s_or_b64 exec, exec, s[6:7]
.LBB9_32:
	s_or_b64 exec, exec, s[2:3]
	v_add_co_u32_e32 v0, vcc, v18, v10
	v_addc_co_u32_e32 v1, vcc, 0, v19, vcc
	global_store_byte v[0:1], v2, off
.LBB9_33:
	s_or_b64 exec, exec, s[0:1]
	v_sub_u32_e32 v21, s31, v14
	v_ashrrev_i32_e32 v0, 31, v21
	v_lshrrev_b32_e32 v0, 30, v0
	v_ashrrev_i32_e32 v9, 31, v14
	v_add_co_u32_e32 v22, vcc, v18, v14
	v_add_u32_e32 v0, v21, v0
	v_addc_co_u32_e32 v23, vcc, v19, v9, vcc
	v_ashrrev_i32_e32 v24, 2, v0
	v_cmp_gt_i32_e32 vcc, v24, v10
	s_and_saveexec_b64 s[24:25], vcc
	s_cbranch_execz .LBB9_75
; %bb.34:
	v_xad_u32 v0, v10, -1, v24
	v_cmp_lt_u32_e32 vcc, 15, v0
	s_mov_b64 s[0:1], 0
                                        ; implicit-def: $vgpr4
                                        ; implicit-def: $vgpr25
                                        ; implicit-def: $vgpr26
	s_and_saveexec_b64 s[2:3], vcc
	s_xor_b64 s[26:27], exec, s[2:3]
	s_cbranch_execnz .LBB9_37
; %bb.35:
	s_andn2_saveexec_b64 s[2:3], s[26:27]
	s_cbranch_execnz .LBB9_40
.LBB9_36:
	s_or_b64 exec, exec, s[2:3]
	s_and_b64 exec, exec, s[0:1]
	s_cbranch_execnz .LBB9_41
	s_branch .LBB9_75
.LBB9_37:
	v_lshrrev_b32_e32 v0, 4, v0
	v_add_u32_e32 v27, 1, v0
	v_lshlrev_b32_e32 v25, 2, v20
	v_and_b32_e32 v28, 0x1ffffffe, v27
	v_or_b32_e32 v11, 16, v10
	s_mov_b32 s0, s18
	s_mov_b32 s1, s18
	;; [unrolled: 1-line block ×4, first 2 shown]
	v_lshl_add_u32 v0, v10, 4, v25
	v_lshlrev_b32_e32 v26, 2, v14
	v_mov_b32_e32 v15, v8
	v_add3_u32 v29, v0, v26, 0
	s_mov_b64 s[28:29], 0
	v_max_f32_e64 v30, s1, s1
	v_max_f32_e64 v31, s0, s0
	;; [unrolled: 1-line block ×4, first 2 shown]
	s_mov_b32 s33, 0x437fffff
	s_brev_b32 s46, 60
	s_mov_b32 s47, 0x487ffff
	s_mov_b32 s30, 0x46000000
	s_movk_i32 s48, 0xff
	s_movk_i32 s49, 0x80
	v_mov_b32_e32 v34, 0x80
	s_mov_b32 s50, 0x43800000
	s_mov_b32 s51, 0x3bffffff
	s_brev_b32 s52, 1
	v_bfrev_b32_e32 v35, 1
	v_mov_b32_e32 v36, 0x800000
	v_mov_b32_e32 v37, 0x8000
	v_mov_b32_e32 v17, 0
	v_mov_b32_e32 v38, v28
	v_pk_mov_b32 v[18:19], v[10:11], v[10:11] op_sel:[0,1]
.LBB9_38:                               ; =>This Inner Loop Header: Depth=1
	ds_read_b128 v[4:7], v29
	ds_read_b128 v[0:3], v29 offset:256
	v_add_u32_e32 v38, -2, v38
	v_add_u32_e32 v29, 0x200, v29
	s_waitcnt lgkmcnt(1)
	v_div_scale_f32 v11, s[0:1], v8, v8, v4
	v_rcp_f32_e32 v16, v11
	v_fma_f32 v39, -v11, v16, 1.0
	v_fmac_f32_e32 v16, v39, v16
	v_div_scale_f32 v39, vcc, v4, v8, v4
	v_mul_f32_e32 v40, v39, v16
	v_fma_f32 v41, -v11, v40, v39
	v_fmac_f32_e32 v40, v41, v16
	v_fma_f32 v11, -v11, v40, v39
	v_div_fmas_f32 v11, v11, v16, v40
	v_div_fixup_f32 v4, v11, v8, v4
	s_waitcnt lgkmcnt(0)
	v_div_scale_f32 v11, s[0:1], v15, v15, v0
	v_rcp_f32_e32 v16, v11
	v_max_f32_e32 v4, v4, v31
	v_min_f32_e32 v4, v4, v32
	v_fma_f32 v39, -v11, v16, 1.0
	v_fmac_f32_e32 v16, v39, v16
	v_div_scale_f32 v39, vcc, v0, v15, v0
	v_mul_f32_e32 v40, v39, v16
	v_fma_f32 v41, -v11, v40, v39
	v_fmac_f32_e32 v40, v41, v16
	v_fma_f32 v11, -v11, v40, v39
	v_div_fmas_f32 v11, v11, v16, v40
	v_div_fixup_f32 v0, v11, v15, v0
	v_max_f32_e32 v0, v0, v30
	v_min_f32_e32 v0, v0, v33
	v_and_b32_e32 v41, 0x7fffffff, v0
	v_and_b32_e32 v40, 0x7fffffff, v4
	v_cmp_lt_u32_e32 vcc, s33, v41
	v_cmp_lt_u32_e64 s[0:1], s33, v40
	v_cmp_gt_u32_e64 s[2:3], s46, v41
	v_cmp_gt_u32_e64 s[4:5], s46, v40
	v_bfe_u32 v11, v4, 20, 1
	v_pk_add_f32 v[40:41], v[40:41], s[30:31] op_sel_hi:[1,0]
	s_xor_b64 s[6:7], s[4:5], s[0:1]
	v_add3_u32 v11, v4, v11, s47
	v_cmp_ne_u32_sdwa s[34:35], v40, v17 src0_sel:BYTE_0 src1_sel:DWORD
	s_xor_b64 s[12:13], s[6:7], -1
	v_bfe_u32 v16, v0, 20, 1
	v_lshrrev_b32_e32 v11, 20, v11
	v_cmp_eq_u32_sdwa s[16:17], v40, v17 src0_sel:BYTE_0 src1_sel:DWORD
	s_and_b64 s[34:35], s[4:5], s[34:35]
	s_xor_b64 s[8:9], s[2:3], vcc
	v_add3_u32 v16, v0, v16, s47
	v_cmp_ne_u32_sdwa s[36:37], v41, v17 src0_sel:BYTE_0 src1_sel:DWORD
	s_or_b64 s[12:13], s[34:35], s[12:13]
	v_cndmask_b32_e64 v11, v11, v40, s[6:7]
	v_and_b32_sdwa v4, v4, s49 dst_sel:DWORD dst_unused:UNUSED_PAD src0_sel:BYTE_3 src1_sel:DWORD
	s_and_b64 s[34:35], s[4:5], s[16:17]
	s_xor_b64 s[10:11], s[8:9], -1
	v_lshrrev_b32_e32 v16, 20, v16
	v_cmp_eq_u32_sdwa s[14:15], v41, v17 src0_sel:BYTE_0 src1_sel:DWORD
	s_and_b64 s[36:37], s[2:3], s[36:37]
	s_or_b64 s[4:5], s[12:13], s[34:35]
	v_and_or_b32 v4, v11, s48, v4
	s_or_b64 s[10:11], s[36:37], s[10:11]
	v_cndmask_b32_e64 v16, v16, v41, s[8:9]
	v_and_b32_sdwa v0, v0, s49 dst_sel:DWORD dst_unused:UNUSED_PAD src0_sel:BYTE_3 src1_sel:DWORD
	s_and_b64 s[36:37], s[2:3], s[14:15]
	s_or_b64 s[14:15], s[4:5], s[0:1]
	v_cndmask_b32_e64 v4, v4, v34, s[0:1]
	v_div_scale_f32 v11, s[0:1], v8, v8, v5
	v_and_or_b32 v0, v16, s48, v0
	v_rcp_f32_e32 v16, v11
	s_or_b64 s[2:3], s[10:11], s[36:37]
	s_or_b64 s[16:17], s[2:3], vcc
	v_cndmask_b32_e32 v0, v0, v34, vcc
	v_fma_f32 v39, -v11, v16, 1.0
	v_fmac_f32_e32 v16, v39, v16
	v_div_scale_f32 v39, vcc, v5, v8, v5
	v_mul_f32_e32 v40, v39, v16
	v_fma_f32 v41, -v11, v40, v39
	v_fmac_f32_e32 v40, v41, v16
	v_fma_f32 v11, -v11, v40, v39
	v_div_fmas_f32 v11, v11, v16, v40
	v_div_fixup_f32 v5, v11, v8, v5
	v_div_scale_f32 v11, s[0:1], v15, v15, v1
	v_rcp_f32_e32 v16, v11
	v_max_f32_e32 v5, v5, v31
	v_min_f32_e32 v5, v5, v32
	v_cndmask_b32_e64 v4, v4, 0, s[34:35]
	v_fma_f32 v39, -v11, v16, 1.0
	v_fmac_f32_e32 v16, v39, v16
	v_div_scale_f32 v39, vcc, v1, v15, v1
	v_mul_f32_e32 v40, v39, v16
	v_fma_f32 v41, -v11, v40, v39
	v_fmac_f32_e32 v40, v41, v16
	v_fma_f32 v11, -v11, v40, v39
	v_div_fmas_f32 v11, v11, v16, v40
	v_div_fixup_f32 v1, v11, v15, v1
	v_max_f32_e32 v1, v1, v30
	v_min_f32_e32 v1, v1, v33
	v_and_b32_e32 v41, 0x7fffffff, v1
	v_and_b32_e32 v40, 0x7fffffff, v5
	v_cmp_gt_u32_e64 s[2:3], s50, v40
	v_cmp_gt_u32_e64 s[4:5], s50, v41
	v_cmp_lt_u32_e32 vcc, s33, v41
	v_cmp_lt_u32_e64 s[0:1], s33, v40
	s_and_b64 s[10:11], s[16:17], s[4:5]
	s_and_b64 s[12:13], s[14:15], s[2:3]
	v_cmp_gt_u32_e64 s[2:3], s46, v40
	v_cmp_gt_u32_e64 s[4:5], s46, v41
	v_cmp_lt_u32_e64 s[6:7], s51, v41
	v_cmp_lt_u32_e64 s[8:9], s51, v40
	v_bfe_u32 v16, v1, 20, 1
	v_pk_add_f32 v[40:41], v[40:41], s[30:31] op_sel_hi:[1,0]
	v_bfe_u32 v11, v5, 20, 1
	v_add3_u32 v16, v1, v16, s47
	v_and_b32_e32 v40, 0xff, v40
	s_and_b64 s[8:9], s[12:13], s[8:9]
	s_and_b64 s[6:7], s[10:11], s[6:7]
	v_add3_u32 v11, v5, v11, s47
	v_lshrrev_b32_e32 v16, 20, v16
	s_and_b64 s[40:41], s[12:13], s[2:3]
	v_and_b32_e32 v39, 0xff, v41
	v_cmp_ne_u32_e64 s[12:13], 0, v40
	v_lshrrev_b32_e32 v11, 20, v11
	v_cmp_eq_u32_e64 s[2:3], 0, v40
	s_and_b64 s[12:13], s[40:41], s[12:13]
	v_cndmask_b32_e64 v16, v39, v16, s[6:7]
	v_lshrrev_b32_e32 v1, 24, v1
	s_and_b64 s[38:39], s[10:11], s[4:5]
	v_cmp_eq_u32_e64 s[4:5], 0, v39
	v_cmp_ne_u32_e64 s[10:11], 0, v39
	s_or_b64 s[12:13], s[12:13], s[8:9]
	v_cndmask_b32_e64 v11, v40, v11, s[8:9]
	v_lshrrev_b32_e32 v5, 24, v5
	v_and_or_b32 v1, v1, s49, v16
	s_and_b64 s[40:41], s[40:41], s[2:3]
	s_and_b64 s[10:11], s[38:39], s[10:11]
	v_and_or_b32 v5, v5, s49, v11
	s_and_b64 s[38:39], s[38:39], s[4:5]
	s_or_b64 s[4:5], s[12:13], s[40:41]
	s_and_b64 s[0:1], s[14:15], s[0:1]
	v_lshlrev_b32_e32 v11, 8, v1
	s_or_b64 s[56:57], s[4:5], s[0:1]
	v_lshlrev_b32_e32 v1, 8, v5
	v_and_b32_e32 v5, 0xff00, v11
	v_div_scale_f32 v11, s[4:5], v8, v8, v6
	v_rcp_f32_e32 v16, v11
	s_and_b64 s[2:3], s[16:17], vcc
	s_or_b64 s[10:11], s[10:11], s[6:7]
	s_or_b64 s[6:7], s[10:11], s[38:39]
	v_fma_f32 v39, -v11, v16, 1.0
	v_fmac_f32_e32 v16, v39, v16
	v_div_scale_f32 v39, vcc, v6, v8, v6
	v_mul_f32_e32 v40, v39, v16
	v_fma_f32 v41, -v11, v40, v39
	v_fmac_f32_e32 v40, v41, v16
	v_fma_f32 v11, -v11, v40, v39
	v_div_fmas_f32 v11, v11, v16, v40
	v_div_fixup_f32 v6, v11, v8, v6
	v_div_scale_f32 v11, s[4:5], v15, v15, v2
	v_rcp_f32_e32 v16, v11
	v_max_f32_e32 v6, v6, v31
	v_min_f32_e32 v6, v6, v32
	s_or_b64 s[54:55], s[6:7], s[2:3]
	v_fma_f32 v39, -v11, v16, 1.0
	v_fmac_f32_e32 v16, v39, v16
	v_div_scale_f32 v39, vcc, v2, v15, v2
	v_mul_f32_e32 v40, v39, v16
	v_fma_f32 v41, -v11, v40, v39
	v_fmac_f32_e32 v40, v41, v16
	v_fma_f32 v11, -v11, v40, v39
	v_div_fmas_f32 v11, v11, v16, v40
	v_div_fixup_f32 v2, v11, v15, v2
	v_max_f32_e32 v2, v2, v30
	v_min_f32_e32 v2, v2, v33
	v_and_b32_e32 v41, 0x7fffffff, v2
	v_and_b32_e32 v40, 0x7fffffff, v6
	v_cmp_gt_u32_e64 s[6:7], s50, v41
	v_cmp_gt_u32_e64 s[8:9], s50, v40
	v_cmp_lt_u32_e32 vcc, s33, v40
	v_cmp_lt_u32_e64 s[4:5], s33, v41
	s_and_b64 s[14:15], s[56:57], s[8:9]
	s_and_b64 s[16:17], s[54:55], s[6:7]
	v_cmp_gt_u32_e64 s[6:7], s46, v41
	v_cmp_gt_u32_e64 s[8:9], s46, v40
	v_cmp_lt_u32_e64 s[10:11], s51, v40
	v_cmp_lt_u32_e64 s[12:13], s51, v41
	v_pk_add_f32 v[40:41], v[40:41], s[30:31] op_sel_hi:[1,0]
	v_and_b32_e32 v39, 0xff, v40
	v_and_b32_e32 v40, 0xff, v41
	s_and_b64 s[12:13], s[16:17], s[12:13]
	v_bfe_u32 v11, v2, 20, 1
	s_and_b64 s[44:45], s[16:17], s[6:7]
	v_cmp_ne_u32_e64 s[16:17], 0, v40
	v_bfe_u32 v16, v6, 20, 1
	v_add3_u32 v11, v2, v11, s47
	v_cmp_eq_u32_e64 s[6:7], 0, v40
	s_and_b64 s[16:17], s[44:45], s[16:17]
	s_and_b64 s[10:11], s[14:15], s[10:11]
	v_add3_u32 v16, v6, v16, s47
	v_lshrrev_b32_e32 v11, 20, v11
	s_and_b64 s[42:43], s[14:15], s[8:9]
	v_cmp_eq_u32_e64 s[8:9], 0, v39
	v_cmp_ne_u32_e64 s[14:15], 0, v39
	s_or_b64 s[16:17], s[16:17], s[12:13]
	s_and_b64 s[44:45], s[44:45], s[6:7]
	v_lshrrev_b32_e32 v16, 20, v16
	s_and_b64 s[14:15], s[42:43], s[14:15]
	v_cndmask_b32_e64 v11, v40, v11, s[12:13]
	v_lshrrev_b32_e32 v2, 24, v2
	s_and_b64 s[42:43], s[42:43], s[8:9]
	s_or_b64 s[8:9], s[16:17], s[44:45]
	s_and_b64 s[4:5], s[54:55], s[4:5]
	v_cndmask_b32_e64 v16, v39, v16, s[10:11]
	v_lshrrev_b32_e32 v6, 24, v6
	v_and_or_b32 v2, v2, s49, v11
	s_and_b64 s[6:7], s[56:57], vcc
	s_or_b64 s[56:57], s[8:9], s[4:5]
	v_div_scale_f32 v11, s[8:9], v8, v8, v7
	v_and_or_b32 v6, v6, s49, v16
	v_rcp_f32_e32 v16, v11
	s_or_b64 s[14:15], s[14:15], s[10:11]
	s_or_b64 s[10:11], s[14:15], s[42:43]
	s_or_b64 s[54:55], s[10:11], s[6:7]
	v_fma_f32 v39, -v11, v16, 1.0
	v_fmac_f32_e32 v16, v39, v16
	v_div_scale_f32 v39, vcc, v7, v8, v7
	v_mul_f32_e32 v40, v39, v16
	v_fma_f32 v41, -v11, v40, v39
	v_fmac_f32_e32 v40, v41, v16
	v_fma_f32 v11, -v11, v40, v39
	v_div_fmas_f32 v11, v11, v16, v40
	v_div_fixup_f32 v7, v11, v8, v7
	v_div_scale_f32 v11, s[8:9], v15, v15, v3
	v_rcp_f32_e32 v16, v11
	v_max_f32_e32 v7, v7, v31
	v_min_f32_e32 v7, v7, v32
	v_lshlrev_b32_e32 v6, 16, v6
	v_fma_f32 v39, -v11, v16, 1.0
	v_fmac_f32_e32 v16, v39, v16
	v_div_scale_f32 v39, vcc, v3, v15, v3
	v_mul_f32_e32 v40, v39, v16
	v_fma_f32 v41, -v11, v40, v39
	v_fmac_f32_e32 v40, v41, v16
	v_fma_f32 v11, -v11, v40, v39
	v_div_fmas_f32 v11, v11, v16, v40
	v_div_fixup_f32 v3, v11, v15, v3
	v_max_f32_e32 v3, v3, v30
	v_min_f32_e32 v3, v3, v33
	v_and_b32_e32 v41, 0x7fffffff, v3
	v_and_b32_e32 v40, 0x7fffffff, v7
	v_cmp_gt_u32_e64 s[12:13], s50, v41
	v_bfe_u32 v16, v3, 20, 1
	v_cmp_gt_u32_e64 s[10:11], s50, v40
	s_and_b64 s[58:59], s[56:57], s[12:13]
	v_cmp_lt_u32_e64 s[14:15], s51, v41
	v_bfe_u32 v11, v7, 20, 1
	v_add3_u32 v16, v3, v16, s47
	v_cmp_lt_u32_e32 vcc, s33, v40
	v_cmp_lt_u32_e64 s[8:9], s33, v41
	s_and_b64 s[60:61], s[54:55], s[10:11]
	v_cmp_gt_u32_e64 s[10:11], s46, v40
	v_cmp_gt_u32_e64 s[12:13], s46, v41
	v_cmp_lt_u32_e64 s[16:17], s51, v40
	s_and_b64 s[14:15], s[58:59], s[14:15]
	v_add3_u32 v11, v7, v11, s47
	v_lshrrev_b32_e32 v16, 20, v16
	v_pk_add_f32 v[40:41], v[40:41], s[30:31] op_sel_hi:[1,0]
	s_and_b64 s[16:17], s[60:61], s[16:17]
	v_lshrrev_b32_e32 v11, 20, v11
	v_cndmask_b32_e64 v16, v41, v16, s[14:15]
	v_cndmask_b32_e64 v11, v40, v11, s[16:17]
	v_lshlrev_b32_e32 v16, 24, v16
	s_and_b64 s[8:9], s[56:57], s[8:9]
	v_lshlrev_b32_e32 v11, 24, v11
	v_and_or_b32 v16, v3, s52, v16
	v_and_or_b32 v3, v7, s52, v11
	v_cndmask_b32_e64 v7, v16, v35, s[8:9]
	v_mov_b32_e32 v16, v18
	s_and_b64 s[12:13], s[58:59], s[12:13]
	s_and_b64 s[10:11], s[60:61], s[10:11]
	v_cmp_eq_u32_sdwa s[58:59], v41, v17 src0_sel:BYTE_0 src1_sel:DWORD
	v_cmp_eq_u32_sdwa s[60:61], v40, v17 src0_sel:BYTE_0 src1_sel:DWORD
	s_and_b64 vcc, s[54:55], vcc
	v_lshlrev_b64 v[40:41], 2, v[16:17]
	v_cndmask_b32_e32 v3, v3, v35, vcc
	v_add_co_u32_e32 v40, vcc, v22, v40
	v_mov_b32_e32 v16, v19
	v_lshlrev_b32_e32 v2, 16, v2
	v_and_b32_e32 v6, 0xff0000, v6
	v_addc_co_u32_e32 v41, vcc, v23, v41, vcc
	v_lshlrev_b64 v[42:43], 2, v[16:17]
	v_and_b32_e32 v1, 0xff00, v1
	v_and_b32_e32 v2, 0xff0000, v2
	s_and_b64 s[10:11], s[10:11], s[60:61]
	v_add_co_u32_e32 v42, vcc, v22, v42
	v_cndmask_b32_e64 v6, v6, v36, s[6:7]
	s_and_b64 s[12:13], s[12:13], s[58:59]
	v_addc_co_u32_e32 v43, vcc, v23, v43, vcc
	v_cndmask_b32_e64 v3, v3, 0, s[10:11]
	v_cndmask_b32_e64 v2, v2, v36, s[4:5]
	;; [unrolled: 1-line block ×6, first 2 shown]
	v_or_b32_e32 v3, v3, v6
	v_cndmask_b32_e64 v5, v5, v37, s[2:3]
	v_cndmask_b32_e64 v1, v1, 0, s[40:41]
	v_cmp_eq_u32_e32 vcc, 0, v38
	v_or_b32_e32 v2, v7, v2
	v_cndmask_b32_e64 v5, v5, 0, s[38:39]
	v_cndmask_b32_e64 v0, v0, 0, s[36:37]
	v_or3_b32 v1, v3, v1, v4
	v_add_u32_e32 v19, 32, v19
	v_add_u32_e32 v18, 32, v18
	s_or_b64 s[28:29], vcc, s[28:29]
	v_or3_b32 v0, v2, v5, v0
	global_store_dword v[40:41], v1, off
	global_store_dword v[42:43], v0, off
	s_andn2_b64 exec, exec, s[28:29]
	s_cbranch_execnz .LBB9_38
; %bb.39:
	s_or_b64 exec, exec, s[28:29]
	v_cmp_ne_u32_e32 vcc, v27, v28
	v_lshl_or_b32 v4, v28, 4, v10
	s_and_b64 s[0:1], vcc, exec
	s_andn2_saveexec_b64 s[2:3], s[26:27]
	s_cbranch_execz .LBB9_36
.LBB9_40:
	v_lshlrev_b32_e32 v25, 2, v20
	v_lshlrev_b32_e32 v26, 2, v14
	s_or_b64 s[0:1], s[0:1], exec
	v_mov_b32_e32 v4, v10
	s_or_b64 exec, exec, s[2:3]
	s_and_b64 exec, exec, s[0:1]
	s_cbranch_execz .LBB9_75
.LBB9_41:
	v_lshl_add_u32 v0, v4, 4, v25
	v_add_co_u32_e32 v2, vcc, v14, v12
	v_mov_b32_e32 v5, 0
	v_add3_u32 v11, v0, v26, 0
	v_addc_co_u32_e32 v3, vcc, v9, v13, vcc
	v_lshlrev_b64 v[0:1], 2, v[4:5]
	v_add_co_u32_e32 v0, vcc, v2, v0
	v_addc_co_u32_e32 v1, vcc, v3, v1, vcc
	v_mov_b32_e32 v2, s21
	v_add_co_u32_e32 v6, vcc, s20, v0
	v_addc_co_u32_e32 v7, vcc, v2, v1, vcc
	s_mov_b64 s[0:1], 0
	v_max_f32_e64 v5, s18, s18
	v_max_f32_e64 v15, s19, s19
	s_mov_b32 s8, 0x43800000
	s_mov_b32 s9, 0x3bffffff
	;; [unrolled: 1-line block ×4, first 2 shown]
	s_movk_i32 s12, 0x80
	s_mov_b32 s13, 0x4020c0c
	s_branch .LBB9_44
.LBB9_42:                               ;   in Loop: Header=BB9_44 Depth=1
	s_or_b64 exec, exec, s[6:7]
.LBB9_43:                               ;   in Loop: Header=BB9_44 Depth=1
	s_or_b64 exec, exec, s[2:3]
	v_lshlrev_b32_e32 v2, 16, v2
	v_perm_b32 v1, v1, v2, s13
	v_lshlrev_b32_e32 v2, 8, v16
	v_and_b32_e32 v2, 0xff00, v2
	v_and_b32_e32 v0, 0xff, v0
	v_add_u32_e32 v4, 16, v4
	v_or3_b32 v0, v1, v2, v0
	v_cmp_ge_i32_e32 vcc, v4, v24
	global_store_dword v[6:7], v0, off
	s_or_b64 s[0:1], vcc, s[0:1]
	v_add_co_u32_e32 v6, vcc, 64, v6
	v_add_u32_e32 v11, 0x100, v11
	v_addc_co_u32_e32 v7, vcc, 0, v7, vcc
	s_andn2_b64 exec, exec, s[0:1]
	s_cbranch_execz .LBB9_75
.LBB9_44:                               ; =>This Inner Loop Header: Depth=1
	ds_read_b128 v[0:3], v11
	v_mov_b32_e32 v16, 0x80
	s_waitcnt lgkmcnt(0)
	v_div_scale_f32 v17, s[2:3], v8, v8, v0
	v_rcp_f32_e32 v18, v17
	v_div_scale_f32 v19, vcc, v0, v8, v0
	v_fma_f32 v25, -v17, v18, 1.0
	v_fmac_f32_e32 v18, v25, v18
	v_mul_f32_e32 v25, v19, v18
	v_fma_f32 v26, -v17, v25, v19
	v_fmac_f32_e32 v25, v26, v18
	v_fma_f32 v17, -v17, v25, v19
	v_div_fmas_f32 v17, v17, v18, v25
	v_div_fixup_f32 v0, v17, v8, v0
	v_max_f32_e32 v0, v0, v5
	v_min_f32_e32 v17, v0, v15
	v_and_b32_e32 v18, 0x7fffffff, v17
	v_cmp_gt_u32_e32 vcc, s8, v18
	v_mov_b32_e32 v0, 0x80
	s_and_saveexec_b64 s[2:3], vcc
	s_cbranch_execz .LBB9_50
; %bb.45:                               ;   in Loop: Header=BB9_44 Depth=1
	v_cmp_lt_u32_e32 vcc, s9, v18
	s_mov_b64 s[4:5], 0
                                        ; implicit-def: $vgpr18
	s_and_saveexec_b64 s[6:7], vcc
	s_xor_b64 s[6:7], exec, s[6:7]
	s_cbranch_execnz .LBB9_66
; %bb.46:                               ;   in Loop: Header=BB9_44 Depth=1
	s_or_saveexec_b64 s[6:7], s[6:7]
                                        ; implicit-def: $sgpr14
	s_xor_b64 exec, exec, s[6:7]
	s_cbranch_execnz .LBB9_67
.LBB9_47:                               ;   in Loop: Header=BB9_44 Depth=1
	s_or_b64 exec, exec, s[6:7]
	v_mov_b32_e32 v0, s14
	s_and_saveexec_b64 s[6:7], s[4:5]
.LBB9_48:                               ;   in Loop: Header=BB9_44 Depth=1
	v_lshrrev_b32_e32 v0, 24, v17
	v_and_or_b32 v0, v0, s12, v18
.LBB9_49:                               ;   in Loop: Header=BB9_44 Depth=1
	s_or_b64 exec, exec, s[6:7]
.LBB9_50:                               ;   in Loop: Header=BB9_44 Depth=1
	s_or_b64 exec, exec, s[2:3]
	v_div_scale_f32 v17, s[2:3], v8, v8, v1
	v_rcp_f32_e32 v18, v17
	v_div_scale_f32 v19, vcc, v1, v8, v1
	v_fma_f32 v25, -v17, v18, 1.0
	v_fmac_f32_e32 v18, v25, v18
	v_mul_f32_e32 v25, v19, v18
	v_fma_f32 v26, -v17, v25, v19
	v_fmac_f32_e32 v25, v26, v18
	v_fma_f32 v17, -v17, v25, v19
	v_div_fmas_f32 v17, v17, v18, v25
	v_div_fixup_f32 v1, v17, v8, v1
	v_max_f32_e32 v1, v1, v5
	v_min_f32_e32 v1, v1, v15
	v_and_b32_e32 v17, 0x7fffffff, v1
	v_cmp_gt_u32_e32 vcc, s8, v17
	s_and_saveexec_b64 s[2:3], vcc
	s_cbranch_execz .LBB9_56
; %bb.51:                               ;   in Loop: Header=BB9_44 Depth=1
	v_cmp_lt_u32_e32 vcc, s9, v17
	s_mov_b64 s[4:5], 0
                                        ; implicit-def: $vgpr17
	s_and_saveexec_b64 s[6:7], vcc
	s_xor_b64 s[6:7], exec, s[6:7]
	s_cbranch_execnz .LBB9_68
; %bb.52:                               ;   in Loop: Header=BB9_44 Depth=1
	s_or_saveexec_b64 s[6:7], s[6:7]
                                        ; implicit-def: $sgpr14
	s_xor_b64 exec, exec, s[6:7]
	s_cbranch_execnz .LBB9_69
.LBB9_53:                               ;   in Loop: Header=BB9_44 Depth=1
	s_or_b64 exec, exec, s[6:7]
	v_mov_b32_e32 v16, s14
	s_and_saveexec_b64 s[6:7], s[4:5]
.LBB9_54:                               ;   in Loop: Header=BB9_44 Depth=1
	v_lshrrev_b32_e32 v1, 24, v1
	v_and_or_b32 v16, v1, s12, v17
.LBB9_55:                               ;   in Loop: Header=BB9_44 Depth=1
	s_or_b64 exec, exec, s[6:7]
.LBB9_56:                               ;   in Loop: Header=BB9_44 Depth=1
	s_or_b64 exec, exec, s[2:3]
	v_div_scale_f32 v1, s[2:3], v8, v8, v2
	v_rcp_f32_e32 v17, v1
	v_div_scale_f32 v18, vcc, v2, v8, v2
	v_fma_f32 v19, -v1, v17, 1.0
	v_fmac_f32_e32 v17, v19, v17
	v_mul_f32_e32 v19, v18, v17
	v_fma_f32 v25, -v1, v19, v18
	v_fmac_f32_e32 v19, v25, v17
	v_fma_f32 v1, -v1, v19, v18
	v_div_fmas_f32 v1, v1, v17, v19
	v_div_fixup_f32 v1, v1, v8, v2
	v_max_f32_e32 v1, v1, v5
	v_min_f32_e32 v17, v1, v15
	v_and_b32_e32 v18, 0x7fffffff, v17
	v_cmp_gt_u32_e32 vcc, s8, v18
	v_mov_b32_e32 v1, 0x80
	v_mov_b32_e32 v2, 0x80
	s_and_saveexec_b64 s[2:3], vcc
	s_cbranch_execz .LBB9_62
; %bb.57:                               ;   in Loop: Header=BB9_44 Depth=1
	v_cmp_lt_u32_e32 vcc, s9, v18
	s_mov_b64 s[4:5], 0
                                        ; implicit-def: $vgpr18
	s_and_saveexec_b64 s[6:7], vcc
	s_xor_b64 s[6:7], exec, s[6:7]
	s_cbranch_execnz .LBB9_70
; %bb.58:                               ;   in Loop: Header=BB9_44 Depth=1
	s_or_saveexec_b64 s[6:7], s[6:7]
                                        ; implicit-def: $sgpr14
	s_xor_b64 exec, exec, s[6:7]
	s_cbranch_execnz .LBB9_71
.LBB9_59:                               ;   in Loop: Header=BB9_44 Depth=1
	s_or_b64 exec, exec, s[6:7]
	v_mov_b32_e32 v2, s14
	s_and_saveexec_b64 s[6:7], s[4:5]
.LBB9_60:                               ;   in Loop: Header=BB9_44 Depth=1
	v_lshrrev_b32_e32 v2, 24, v17
	v_and_or_b32 v2, v2, s12, v18
.LBB9_61:                               ;   in Loop: Header=BB9_44 Depth=1
	s_or_b64 exec, exec, s[6:7]
.LBB9_62:                               ;   in Loop: Header=BB9_44 Depth=1
	s_or_b64 exec, exec, s[2:3]
	v_div_scale_f32 v17, s[2:3], v8, v8, v3
	v_rcp_f32_e32 v18, v17
	v_div_scale_f32 v19, vcc, v3, v8, v3
	v_fma_f32 v25, -v17, v18, 1.0
	v_fmac_f32_e32 v18, v25, v18
	v_mul_f32_e32 v25, v19, v18
	v_fma_f32 v26, -v17, v25, v19
	v_fmac_f32_e32 v25, v26, v18
	v_fma_f32 v17, -v17, v25, v19
	v_div_fmas_f32 v17, v17, v18, v25
	v_div_fixup_f32 v3, v17, v8, v3
	v_max_f32_e32 v3, v3, v5
	v_min_f32_e32 v3, v3, v15
	v_and_b32_e32 v17, 0x7fffffff, v3
	v_cmp_gt_u32_e32 vcc, s8, v17
	s_and_saveexec_b64 s[2:3], vcc
	s_cbranch_execz .LBB9_43
; %bb.63:                               ;   in Loop: Header=BB9_44 Depth=1
	v_cmp_lt_u32_e32 vcc, s9, v17
	s_mov_b64 s[4:5], 0
                                        ; implicit-def: $vgpr17
	s_and_saveexec_b64 s[6:7], vcc
	s_xor_b64 s[6:7], exec, s[6:7]
	s_cbranch_execnz .LBB9_72
; %bb.64:                               ;   in Loop: Header=BB9_44 Depth=1
	s_or_saveexec_b64 s[6:7], s[6:7]
                                        ; implicit-def: $sgpr14
	s_xor_b64 exec, exec, s[6:7]
	s_cbranch_execnz .LBB9_73
.LBB9_65:                               ;   in Loop: Header=BB9_44 Depth=1
	s_or_b64 exec, exec, s[6:7]
	v_mov_b32_e32 v1, s14
	s_and_saveexec_b64 s[6:7], s[4:5]
	s_cbranch_execz .LBB9_42
	s_branch .LBB9_74
.LBB9_66:                               ;   in Loop: Header=BB9_44 Depth=1
	v_bfe_u32 v0, v17, 20, 1
	v_add3_u32 v0, v17, v0, s10
	s_mov_b64 s[4:5], exec
	v_lshrrev_b32_e32 v18, 20, v0
	s_or_saveexec_b64 s[6:7], s[6:7]
                                        ; implicit-def: $sgpr14
	s_xor_b64 exec, exec, s[6:7]
	s_cbranch_execz .LBB9_47
.LBB9_67:                               ;   in Loop: Header=BB9_44 Depth=1
	v_add_f32_e64 v0, |v17|, s11
	v_and_b32_e32 v18, 0xff, v0
	v_cmp_ne_u32_e32 vcc, 0, v18
	s_andn2_b64 s[4:5], s[4:5], exec
	s_and_b64 s[16:17], vcc, exec
	s_mov_b32 s14, 0
	s_or_b64 s[4:5], s[4:5], s[16:17]
	s_or_b64 exec, exec, s[6:7]
	v_mov_b32_e32 v0, s14
	s_and_saveexec_b64 s[6:7], s[4:5]
	s_cbranch_execnz .LBB9_48
	s_branch .LBB9_49
.LBB9_68:                               ;   in Loop: Header=BB9_44 Depth=1
	v_bfe_u32 v16, v1, 20, 1
	v_add3_u32 v16, v1, v16, s10
	s_mov_b64 s[4:5], exec
	v_lshrrev_b32_e32 v17, 20, v16
	s_or_saveexec_b64 s[6:7], s[6:7]
                                        ; implicit-def: $sgpr14
	s_xor_b64 exec, exec, s[6:7]
	s_cbranch_execz .LBB9_53
.LBB9_69:                               ;   in Loop: Header=BB9_44 Depth=1
	v_add_f32_e64 v16, |v1|, s11
	v_and_b32_e32 v17, 0xff, v16
	v_cmp_ne_u32_e32 vcc, 0, v17
	s_andn2_b64 s[4:5], s[4:5], exec
	s_and_b64 s[16:17], vcc, exec
	s_mov_b32 s14, 0
	s_or_b64 s[4:5], s[4:5], s[16:17]
	s_or_b64 exec, exec, s[6:7]
	v_mov_b32_e32 v16, s14
	s_and_saveexec_b64 s[6:7], s[4:5]
	s_cbranch_execnz .LBB9_54
	s_branch .LBB9_55
.LBB9_70:                               ;   in Loop: Header=BB9_44 Depth=1
	v_bfe_u32 v2, v17, 20, 1
	v_add3_u32 v2, v17, v2, s10
	s_mov_b64 s[4:5], exec
	v_lshrrev_b32_e32 v18, 20, v2
	s_or_saveexec_b64 s[6:7], s[6:7]
                                        ; implicit-def: $sgpr14
	s_xor_b64 exec, exec, s[6:7]
	s_cbranch_execz .LBB9_59
.LBB9_71:                               ;   in Loop: Header=BB9_44 Depth=1
	v_add_f32_e64 v2, |v17|, s11
	v_and_b32_e32 v18, 0xff, v2
	v_cmp_ne_u32_e32 vcc, 0, v18
	s_andn2_b64 s[4:5], s[4:5], exec
	s_and_b64 s[16:17], vcc, exec
	s_mov_b32 s14, 0
	s_or_b64 s[4:5], s[4:5], s[16:17]
	s_or_b64 exec, exec, s[6:7]
	v_mov_b32_e32 v2, s14
	s_and_saveexec_b64 s[6:7], s[4:5]
	s_cbranch_execnz .LBB9_60
	s_branch .LBB9_61
.LBB9_72:                               ;   in Loop: Header=BB9_44 Depth=1
	v_bfe_u32 v1, v3, 20, 1
	v_add3_u32 v1, v3, v1, s10
	s_mov_b64 s[4:5], exec
	v_lshrrev_b32_e32 v17, 20, v1
	s_or_saveexec_b64 s[6:7], s[6:7]
                                        ; implicit-def: $sgpr14
	s_xor_b64 exec, exec, s[6:7]
	s_cbranch_execz .LBB9_65
.LBB9_73:                               ;   in Loop: Header=BB9_44 Depth=1
	v_add_f32_e64 v1, |v3|, s11
	v_and_b32_e32 v17, 0xff, v1
	v_cmp_ne_u32_e32 vcc, 0, v17
	s_andn2_b64 s[4:5], s[4:5], exec
	s_and_b64 s[16:17], vcc, exec
	s_mov_b32 s14, 0
	s_or_b64 s[4:5], s[4:5], s[16:17]
	s_or_b64 exec, exec, s[6:7]
	v_mov_b32_e32 v1, s14
	s_and_saveexec_b64 s[6:7], s[4:5]
	s_cbranch_execz .LBB9_42
.LBB9_74:                               ;   in Loop: Header=BB9_44 Depth=1
	v_lshrrev_b32_e32 v1, 24, v3
	v_and_or_b32 v1, v1, s12, v17
	s_branch .LBB9_42
.LBB9_75:
	s_or_b64 exec, exec, s[24:25]
	v_lshlrev_b32_e32 v2, 2, v24
	v_add_u32_e32 v0, v2, v10
	v_cmp_lt_i32_e32 vcc, v0, v21
	s_and_saveexec_b64 s[10:11], vcc
	s_cbranch_execz .LBB9_93
; %bb.76:
	v_add_u32_e32 v1, 16, v0
	v_max_i32_e32 v3, v1, v21
	v_xad_u32 v3, v10, -1, v3
	v_sub_u32_e32 v3, v3, v2
	v_cmp_lt_u32_e32 vcc, 15, v3
	s_mov_b64 s[0:1], 0
	v_lshlrev_b32_e32 v2, 2, v14
                                        ; implicit-def: $vgpr6
	s_and_saveexec_b64 s[2:3], vcc
	s_xor_b64 s[12:13], exec, s[2:3]
	s_cbranch_execnz .LBB9_79
; %bb.77:
	s_andn2_saveexec_b64 s[2:3], s[12:13]
	s_cbranch_execnz .LBB9_82
.LBB9_78:
	s_or_b64 exec, exec, s[2:3]
	s_and_b64 exec, exec, s[0:1]
	s_cbranch_execnz .LBB9_83
	s_branch .LBB9_93
.LBB9_79:
	v_lshrrev_b32_e32 v2, 4, v3
	v_add_u32_e32 v7, 1, v2
	v_lshlrev_b32_e32 v6, 2, v20
	v_lshlrev_b32_e32 v4, 4, v24
	;; [unrolled: 1-line block ×3, first 2 shown]
	v_and_b32_e32 v11, 0x1ffffffe, v7
	s_mov_b32 s0, s18
	s_mov_b32 s1, s18
	;; [unrolled: 1-line block ×4, first 2 shown]
	v_add3_u32 v4, v6, v4, v2
	v_lshlrev_b32_e32 v5, 2, v10
	v_mov_b32_e32 v3, v8
	v_add3_u32 v10, v4, v5, 0
	s_mov_b64 s[14:15], 0
	v_max_f32_e64 v15, s1, s1
	v_max_f32_e64 v16, s0, s0
	;; [unrolled: 1-line block ×4, first 2 shown]
	s_mov_b32 s17, 0x43800000
	s_brev_b32 s24, 60
	s_mov_b32 s25, 0x487ffff
	s_mov_b32 s16, 0x46000000
	s_movk_i32 s26, 0x80
	v_mov_b32_e32 v19, 0xffffff80
	v_mov_b32_e32 v20, 0
	;; [unrolled: 1-line block ×3, first 2 shown]
	v_pk_mov_b32 v[4:5], v[0:1], v[0:1] op_sel:[0,1]
.LBB9_80:                               ; =>This Inner Loop Header: Depth=1
	ds_read2_b32 v[28:29], v10 offset1:16
	v_ashrrev_i32_e32 v25, 31, v4
	v_add_co_u32_e32 v30, vcc, v22, v4
	v_mov_b32_e32 v26, v5
	v_addc_co_u32_e32 v31, vcc, v23, v25, vcc
	v_ashrrev_i32_e32 v1, 31, v5
	v_add_co_u32_e32 v26, vcc, v22, v26
	v_addc_co_u32_e32 v27, vcc, v23, v1, vcc
	s_waitcnt lgkmcnt(0)
	v_div_scale_f32 v1, s[2:3], v8, v8, v28
	v_div_scale_f32 v32, s[2:3], v3, v3, v29
	v_rcp_f32_e32 v34, v1
	v_rcp_f32_e32 v35, v32
	v_div_scale_f32 v25, vcc, v28, v8, v28
	v_fma_f32 v36, -v1, v34, 1.0
	v_fma_f32 v37, -v32, v35, 1.0
	v_fmac_f32_e32 v34, v36, v34
	v_div_scale_f32 v33, s[2:3], v29, v3, v29
	v_fmac_f32_e32 v35, v37, v35
	v_mul_f32_e32 v36, v25, v34
	v_mul_f32_e32 v37, v33, v35
	v_fma_f32 v38, -v1, v36, v25
	v_fma_f32 v39, -v32, v37, v33
	v_fmac_f32_e32 v36, v38, v34
	v_fmac_f32_e32 v37, v39, v35
	v_fma_f32 v1, -v1, v36, v25
	v_fma_f32 v25, -v32, v37, v33
	v_div_fmas_f32 v1, v1, v34, v36
	s_mov_b64 vcc, s[2:3]
	v_div_fixup_f32 v1, v1, v8, v28
	v_div_fmas_f32 v25, v25, v35, v37
	v_div_fixup_f32 v25, v25, v3, v29
	v_max_f32_e32 v1, v1, v16
	v_max_f32_e32 v25, v25, v15
	v_min_f32_e32 v1, v1, v17
	v_min_f32_e32 v25, v25, v18
	v_and_b32_e32 v28, 0x7fffffff, v1
	v_bfe_u32 v32, v1, 20, 1
	v_lshrrev_b32_e32 v33, 24, v1
	v_and_b32_e32 v29, 0x7fffffff, v25
	v_cmp_gt_u32_e32 vcc, s17, v28
	v_cmp_gt_u32_e64 s[2:3], s24, v28
	v_bfe_u32 v34, v25, 20, 1
	v_add3_u32 v1, v1, v32, s25
	v_lshrrev_b32_e32 v32, 24, v25
	v_cmp_gt_u32_e64 s[4:5], s17, v29
	v_cmp_gt_u32_e64 s[6:7], s24, v29
	v_add3_u32 v25, v25, v34, s25
	v_lshrrev_b32_e32 v1, 20, v1
	v_pk_add_f32 v[28:29], v[28:29], s[16:17] op_sel_hi:[1,0]
	s_xor_b64 s[8:9], s[2:3], vcc
	v_lshrrev_b32_e32 v25, 20, v25
	v_cndmask_b32_e64 v1, v28, v1, s[8:9]
	s_xor_b64 s[8:9], s[6:7], s[4:5]
	v_cmp_eq_u32_sdwa s[34:35], v28, v20 src0_sel:BYTE_0 src1_sel:DWORD
	v_cndmask_b32_e64 v25, v29, v25, s[8:9]
	v_and_or_b32 v1, v33, s26, v1
	v_add_u32_e32 v24, -2, v24
	v_cmp_eq_u32_sdwa s[28:29], v29, v20 src0_sel:BYTE_0 src1_sel:DWORD
	v_and_or_b32 v25, v32, s26, v25
	v_cndmask_b32_e32 v1, v19, v1, vcc
	s_and_b64 s[2:3], s[2:3], s[34:35]
	v_cmp_eq_u32_e64 s[0:1], 0, v24
	v_cndmask_b32_e64 v25, v19, v25, s[4:5]
	v_cndmask_b32_e64 v1, v1, 0, s[2:3]
	s_and_b64 s[2:3], s[6:7], s[28:29]
	v_add_u32_e32 v5, 32, v5
	v_add_u32_e32 v4, 32, v4
	;; [unrolled: 1-line block ×3, first 2 shown]
	v_cndmask_b32_e64 v25, v25, 0, s[2:3]
	s_or_b64 s[14:15], s[0:1], s[14:15]
	global_store_byte v[30:31], v1, off
	global_store_byte v[26:27], v25, off
	s_andn2_b64 exec, exec, s[14:15]
	s_cbranch_execnz .LBB9_80
; %bb.81:
	s_or_b64 exec, exec, s[14:15]
	v_cmp_ne_u32_e32 vcc, v7, v11
	v_lshl_add_u32 v0, v11, 4, v0
	s_and_b64 s[0:1], vcc, exec
                                        ; implicit-def: $vgpr20
	s_andn2_saveexec_b64 s[2:3], s[12:13]
	s_cbranch_execz .LBB9_78
.LBB9_82:
	v_lshlrev_b32_e32 v6, 2, v20
	s_or_b64 s[0:1], s[0:1], exec
	s_or_b64 exec, exec, s[2:3]
	s_and_b64 exec, exec, s[0:1]
	s_cbranch_execz .LBB9_93
.LBB9_83:
	v_lshl_add_u32 v1, v0, 2, v6
	v_add3_u32 v1, v1, v2, 0
	v_add_co_u32_e32 v2, vcc, v14, v12
	v_addc_co_u32_e32 v3, vcc, v9, v13, vcc
	v_ashrrev_i32_e32 v4, 31, v0
	v_add_co_u32_e32 v2, vcc, v2, v0
	v_addc_co_u32_e32 v3, vcc, v3, v4, vcc
	v_mov_b32_e32 v4, s21
	v_add_co_u32_e32 v2, vcc, s20, v2
	v_addc_co_u32_e32 v3, vcc, v4, v3, vcc
	s_mov_b64 s[0:1], 0
	v_max_f32_e64 v4, s18, s18
	v_max_f32_e64 v5, s19, s19
	s_mov_b32 s8, 0x43800000
	s_mov_b32 s9, 0x3bffffff
	;; [unrolled: 1-line block ×4, first 2 shown]
	s_movk_i32 s14, 0x80
	s_branch .LBB9_86
.LBB9_84:                               ;   in Loop: Header=BB9_86 Depth=1
	s_or_b64 exec, exec, s[6:7]
.LBB9_85:                               ;   in Loop: Header=BB9_86 Depth=1
	s_or_b64 exec, exec, s[2:3]
	v_add_u32_e32 v0, 16, v0
	v_cmp_ge_i32_e32 vcc, v0, v21
	global_store_byte v[2:3], v9, off
	s_or_b64 s[0:1], vcc, s[0:1]
	v_add_co_u32_e32 v2, vcc, 16, v2
	v_add_u32_e32 v1, 64, v1
	v_addc_co_u32_e32 v3, vcc, 0, v3, vcc
	s_andn2_b64 exec, exec, s[0:1]
	s_cbranch_execz .LBB9_93
.LBB9_86:                               ; =>This Inner Loop Header: Depth=1
	ds_read_b32 v6, v1
	s_waitcnt lgkmcnt(0)
	v_div_scale_f32 v7, s[2:3], v8, v8, v6
	v_rcp_f32_e32 v9, v7
	v_div_scale_f32 v10, vcc, v6, v8, v6
	v_fma_f32 v11, -v7, v9, 1.0
	v_fmac_f32_e32 v9, v11, v9
	v_mul_f32_e32 v11, v10, v9
	v_fma_f32 v12, -v7, v11, v10
	v_fmac_f32_e32 v11, v12, v9
	v_fma_f32 v7, -v7, v11, v10
	v_div_fmas_f32 v7, v7, v9, v11
	v_div_fixup_f32 v6, v7, v8, v6
	v_max_f32_e32 v6, v6, v4
	v_min_f32_e32 v6, v6, v5
	v_and_b32_e32 v7, 0x7fffffff, v6
	v_cmp_gt_u32_e32 vcc, s8, v7
	v_mov_b32_e32 v9, 0x80
	s_and_saveexec_b64 s[2:3], vcc
	s_cbranch_execz .LBB9_85
; %bb.87:                               ;   in Loop: Header=BB9_86 Depth=1
	v_cmp_lt_u32_e32 vcc, s9, v7
	s_mov_b64 s[4:5], 0
                                        ; implicit-def: $vgpr7
	s_and_saveexec_b64 s[6:7], vcc
	s_xor_b64 s[6:7], exec, s[6:7]
	s_cbranch_execnz .LBB9_90
; %bb.88:                               ;   in Loop: Header=BB9_86 Depth=1
	s_or_saveexec_b64 s[6:7], s[6:7]
                                        ; implicit-def: $sgpr15
	s_xor_b64 exec, exec, s[6:7]
	s_cbranch_execnz .LBB9_91
.LBB9_89:                               ;   in Loop: Header=BB9_86 Depth=1
	s_or_b64 exec, exec, s[6:7]
	v_mov_b32_e32 v9, s15
	s_and_saveexec_b64 s[6:7], s[4:5]
	s_cbranch_execz .LBB9_84
	s_branch .LBB9_92
.LBB9_90:                               ;   in Loop: Header=BB9_86 Depth=1
	v_bfe_u32 v7, v6, 20, 1
	v_add3_u32 v7, v6, v7, s12
	s_mov_b64 s[4:5], exec
	v_lshrrev_b32_e32 v7, 20, v7
	s_or_saveexec_b64 s[6:7], s[6:7]
                                        ; implicit-def: $sgpr15
	s_xor_b64 exec, exec, s[6:7]
	s_cbranch_execz .LBB9_89
.LBB9_91:                               ;   in Loop: Header=BB9_86 Depth=1
	v_add_f32_e64 v7, |v6|, s13
	v_and_b32_e32 v7, 0xff, v7
	v_cmp_ne_u32_e32 vcc, 0, v7
	s_andn2_b64 s[4:5], s[4:5], exec
	s_and_b64 s[16:17], vcc, exec
	s_mov_b32 s15, 0
	s_or_b64 s[4:5], s[4:5], s[16:17]
	s_or_b64 exec, exec, s[6:7]
	v_mov_b32_e32 v9, s15
	s_and_saveexec_b64 s[6:7], s[4:5]
	s_cbranch_execz .LBB9_84
.LBB9_92:                               ;   in Loop: Header=BB9_86 Depth=1
	v_lshrrev_b32_e32 v6, 24, v6
	v_and_or_b32 v9, v6, s14, v7
	s_branch .LBB9_84
.LBB9_93:
	s_or_b64 exec, exec, s[10:11]
                                        ; implicit-def: $vgpr10
                                        ; implicit-def: $vgpr20
                                        ; implicit-def: $vgpr8
                                        ; implicit-def: $vgpr18
                                        ; implicit-def: $vgpr19
                                        ; implicit-def: $vgpr12_vgpr13
.LBB9_94:
	s_andn2_saveexec_b64 s[0:1], s[22:23]
	s_cbranch_execz .LBB9_137
; %bb.95:
	s_ashr_i32 s27, s31, 2
	v_cmp_gt_i32_e32 vcc, s27, v10
	s_and_saveexec_b64 s[0:1], vcc
	s_cbranch_execz .LBB9_137
; %bb.96:
	v_xad_u32 v0, v10, -1, s27
	v_cmp_lt_u32_e32 vcc, 15, v0
	s_mov_b64 s[0:1], 0
	v_lshlrev_b32_e32 v21, 2, v20
	s_and_saveexec_b64 s[2:3], vcc
	s_xor_b64 s[22:23], exec, s[2:3]
	s_cbranch_execnz .LBB9_99
; %bb.97:
	s_andn2_saveexec_b64 s[2:3], s[22:23]
	s_cbranch_execnz .LBB9_102
.LBB9_98:
	s_or_b64 exec, exec, s[2:3]
	s_and_b64 exec, exec, s[0:1]
	s_cbranch_execnz .LBB9_103
	s_branch .LBB9_137
.LBB9_99:
	v_lshrrev_b32_e32 v0, 4, v0
	v_add_u32_e32 v22, 1, v0
	v_and_b32_e32 v23, 0x1ffffffe, v22
	v_or_b32_e32 v11, 16, v10
	s_mov_b32 s0, s18
	s_mov_b32 s1, s18
	;; [unrolled: 1-line block ×4, first 2 shown]
	v_lshlrev_b32_e32 v21, 2, v20
	v_lshlrev_b32_e32 v0, 4, v10
	v_mov_b32_e32 v9, v8
	v_add3_u32 v20, v21, v0, 0
	s_mov_b64 s[24:25], 0
	v_max_f32_e64 v24, s1, s1
	v_max_f32_e64 v25, s0, s0
	v_max_f32_e64 v26, s2, s2
	v_max_f32_e64 v27, s3, s3
	s_mov_b32 s33, 0x437fffff
	s_brev_b32 s42, 60
	s_mov_b32 s43, 0x487ffff
	s_mov_b32 s26, 0x46000000
	s_movk_i32 s44, 0xff
	s_movk_i32 s45, 0x80
	v_mov_b32_e32 v28, 0x80
	s_mov_b32 s46, 0x43800000
	s_mov_b32 s47, 0x3bffffff
	s_brev_b32 s48, 1
	v_bfrev_b32_e32 v29, 1
	v_mov_b32_e32 v30, 0x800000
	v_mov_b32_e32 v31, 0x8000
	;; [unrolled: 1-line block ×4, first 2 shown]
	v_pk_mov_b32 v[16:17], v[10:11], v[10:11] op_sel:[0,1]
.LBB9_100:                              ; =>This Inner Loop Header: Depth=1
	ds_read_b128 v[4:7], v20
	ds_read_b128 v[0:3], v20 offset:256
	v_add_u32_e32 v32, -2, v32
	v_add_u32_e32 v20, 0x200, v20
	s_waitcnt lgkmcnt(1)
	v_div_scale_f32 v11, s[0:1], v8, v8, v4
	v_rcp_f32_e32 v14, v11
	v_fma_f32 v33, -v11, v14, 1.0
	v_fmac_f32_e32 v14, v33, v14
	v_div_scale_f32 v33, vcc, v4, v8, v4
	v_mul_f32_e32 v34, v33, v14
	v_fma_f32 v35, -v11, v34, v33
	v_fmac_f32_e32 v34, v35, v14
	v_fma_f32 v11, -v11, v34, v33
	v_div_fmas_f32 v11, v11, v14, v34
	v_div_fixup_f32 v4, v11, v8, v4
	s_waitcnt lgkmcnt(0)
	v_div_scale_f32 v11, s[0:1], v9, v9, v0
	v_rcp_f32_e32 v14, v11
	v_max_f32_e32 v4, v4, v25
	v_min_f32_e32 v4, v4, v26
	v_fma_f32 v33, -v11, v14, 1.0
	v_fmac_f32_e32 v14, v33, v14
	v_div_scale_f32 v33, vcc, v0, v9, v0
	v_mul_f32_e32 v34, v33, v14
	v_fma_f32 v35, -v11, v34, v33
	v_fmac_f32_e32 v34, v35, v14
	v_fma_f32 v11, -v11, v34, v33
	v_div_fmas_f32 v11, v11, v14, v34
	v_div_fixup_f32 v0, v11, v9, v0
	v_max_f32_e32 v0, v0, v24
	v_min_f32_e32 v0, v0, v27
	v_and_b32_e32 v35, 0x7fffffff, v0
	v_and_b32_e32 v34, 0x7fffffff, v4
	v_cmp_lt_u32_e32 vcc, s33, v35
	v_cmp_lt_u32_e64 s[0:1], s33, v34
	v_cmp_gt_u32_e64 s[2:3], s42, v35
	v_cmp_gt_u32_e64 s[4:5], s42, v34
	v_bfe_u32 v11, v4, 20, 1
	v_pk_add_f32 v[34:35], v[34:35], s[26:27] op_sel_hi:[1,0]
	s_xor_b64 s[6:7], s[4:5], s[0:1]
	v_add3_u32 v11, v4, v11, s43
	v_cmp_ne_u32_sdwa s[28:29], v34, v15 src0_sel:BYTE_0 src1_sel:DWORD
	s_xor_b64 s[12:13], s[6:7], -1
	v_bfe_u32 v14, v0, 20, 1
	v_lshrrev_b32_e32 v11, 20, v11
	v_cmp_eq_u32_sdwa s[16:17], v34, v15 src0_sel:BYTE_0 src1_sel:DWORD
	s_and_b64 s[28:29], s[4:5], s[28:29]
	s_xor_b64 s[8:9], s[2:3], vcc
	v_add3_u32 v14, v0, v14, s43
	v_cmp_ne_u32_sdwa s[30:31], v35, v15 src0_sel:BYTE_0 src1_sel:DWORD
	s_or_b64 s[12:13], s[28:29], s[12:13]
	v_cndmask_b32_e64 v11, v11, v34, s[6:7]
	v_and_b32_sdwa v4, v4, s45 dst_sel:DWORD dst_unused:UNUSED_PAD src0_sel:BYTE_3 src1_sel:DWORD
	s_and_b64 s[28:29], s[4:5], s[16:17]
	s_xor_b64 s[10:11], s[8:9], -1
	v_lshrrev_b32_e32 v14, 20, v14
	v_cmp_eq_u32_sdwa s[14:15], v35, v15 src0_sel:BYTE_0 src1_sel:DWORD
	s_and_b64 s[30:31], s[2:3], s[30:31]
	s_or_b64 s[4:5], s[12:13], s[28:29]
	v_and_or_b32 v4, v11, s44, v4
	s_or_b64 s[10:11], s[30:31], s[10:11]
	v_cndmask_b32_e64 v14, v14, v35, s[8:9]
	v_and_b32_sdwa v0, v0, s45 dst_sel:DWORD dst_unused:UNUSED_PAD src0_sel:BYTE_3 src1_sel:DWORD
	s_and_b64 s[30:31], s[2:3], s[14:15]
	s_or_b64 s[14:15], s[4:5], s[0:1]
	v_cndmask_b32_e64 v4, v4, v28, s[0:1]
	v_div_scale_f32 v11, s[0:1], v8, v8, v5
	v_and_or_b32 v0, v14, s44, v0
	v_rcp_f32_e32 v14, v11
	s_or_b64 s[2:3], s[10:11], s[30:31]
	s_or_b64 s[16:17], s[2:3], vcc
	v_cndmask_b32_e32 v0, v0, v28, vcc
	v_fma_f32 v33, -v11, v14, 1.0
	v_fmac_f32_e32 v14, v33, v14
	v_div_scale_f32 v33, vcc, v5, v8, v5
	v_mul_f32_e32 v34, v33, v14
	v_fma_f32 v35, -v11, v34, v33
	v_fmac_f32_e32 v34, v35, v14
	v_fma_f32 v11, -v11, v34, v33
	v_div_fmas_f32 v11, v11, v14, v34
	v_div_fixup_f32 v5, v11, v8, v5
	v_div_scale_f32 v11, s[0:1], v9, v9, v1
	v_rcp_f32_e32 v14, v11
	v_max_f32_e32 v5, v5, v25
	v_min_f32_e32 v5, v5, v26
	v_cndmask_b32_e64 v4, v4, 0, s[28:29]
	v_fma_f32 v33, -v11, v14, 1.0
	v_fmac_f32_e32 v14, v33, v14
	v_div_scale_f32 v33, vcc, v1, v9, v1
	v_mul_f32_e32 v34, v33, v14
	v_fma_f32 v35, -v11, v34, v33
	v_fmac_f32_e32 v34, v35, v14
	v_fma_f32 v11, -v11, v34, v33
	v_div_fmas_f32 v11, v11, v14, v34
	v_div_fixup_f32 v1, v11, v9, v1
	v_max_f32_e32 v1, v1, v24
	v_min_f32_e32 v1, v1, v27
	v_and_b32_e32 v35, 0x7fffffff, v1
	v_and_b32_e32 v34, 0x7fffffff, v5
	v_cmp_gt_u32_e64 s[2:3], s46, v34
	v_cmp_gt_u32_e64 s[4:5], s46, v35
	v_cmp_lt_u32_e32 vcc, s33, v35
	v_cmp_lt_u32_e64 s[0:1], s33, v34
	s_and_b64 s[10:11], s[16:17], s[4:5]
	s_and_b64 s[12:13], s[14:15], s[2:3]
	v_cmp_gt_u32_e64 s[2:3], s42, v34
	v_cmp_gt_u32_e64 s[4:5], s42, v35
	v_cmp_lt_u32_e64 s[6:7], s47, v35
	v_cmp_lt_u32_e64 s[8:9], s47, v34
	v_bfe_u32 v14, v1, 20, 1
	v_pk_add_f32 v[34:35], v[34:35], s[26:27] op_sel_hi:[1,0]
	v_bfe_u32 v11, v5, 20, 1
	v_add3_u32 v14, v1, v14, s43
	v_and_b32_e32 v34, 0xff, v34
	s_and_b64 s[8:9], s[12:13], s[8:9]
	s_and_b64 s[6:7], s[10:11], s[6:7]
	v_add3_u32 v11, v5, v11, s43
	v_lshrrev_b32_e32 v14, 20, v14
	s_and_b64 s[36:37], s[12:13], s[2:3]
	v_and_b32_e32 v33, 0xff, v35
	v_cmp_ne_u32_e64 s[12:13], 0, v34
	v_lshrrev_b32_e32 v11, 20, v11
	v_cmp_eq_u32_e64 s[2:3], 0, v34
	s_and_b64 s[12:13], s[36:37], s[12:13]
	v_cndmask_b32_e64 v14, v33, v14, s[6:7]
	v_lshrrev_b32_e32 v1, 24, v1
	s_and_b64 s[34:35], s[10:11], s[4:5]
	v_cmp_eq_u32_e64 s[4:5], 0, v33
	v_cmp_ne_u32_e64 s[10:11], 0, v33
	s_or_b64 s[12:13], s[12:13], s[8:9]
	v_cndmask_b32_e64 v11, v34, v11, s[8:9]
	v_lshrrev_b32_e32 v5, 24, v5
	v_and_or_b32 v1, v1, s45, v14
	s_and_b64 s[36:37], s[36:37], s[2:3]
	s_and_b64 s[10:11], s[34:35], s[10:11]
	v_and_or_b32 v5, v5, s45, v11
	s_and_b64 s[34:35], s[34:35], s[4:5]
	s_or_b64 s[4:5], s[12:13], s[36:37]
	s_and_b64 s[0:1], s[14:15], s[0:1]
	v_lshlrev_b32_e32 v11, 8, v1
	s_or_b64 s[52:53], s[4:5], s[0:1]
	v_lshlrev_b32_e32 v1, 8, v5
	v_and_b32_e32 v5, 0xff00, v11
	v_div_scale_f32 v11, s[4:5], v8, v8, v6
	v_rcp_f32_e32 v14, v11
	s_and_b64 s[2:3], s[16:17], vcc
	s_or_b64 s[10:11], s[10:11], s[6:7]
	s_or_b64 s[6:7], s[10:11], s[34:35]
	v_fma_f32 v33, -v11, v14, 1.0
	v_fmac_f32_e32 v14, v33, v14
	v_div_scale_f32 v33, vcc, v6, v8, v6
	v_mul_f32_e32 v34, v33, v14
	v_fma_f32 v35, -v11, v34, v33
	v_fmac_f32_e32 v34, v35, v14
	v_fma_f32 v11, -v11, v34, v33
	v_div_fmas_f32 v11, v11, v14, v34
	v_div_fixup_f32 v6, v11, v8, v6
	v_div_scale_f32 v11, s[4:5], v9, v9, v2
	v_rcp_f32_e32 v14, v11
	v_max_f32_e32 v6, v6, v25
	v_min_f32_e32 v6, v6, v26
	s_or_b64 s[50:51], s[6:7], s[2:3]
	v_fma_f32 v33, -v11, v14, 1.0
	v_fmac_f32_e32 v14, v33, v14
	v_div_scale_f32 v33, vcc, v2, v9, v2
	v_mul_f32_e32 v34, v33, v14
	v_fma_f32 v35, -v11, v34, v33
	v_fmac_f32_e32 v34, v35, v14
	v_fma_f32 v11, -v11, v34, v33
	v_div_fmas_f32 v11, v11, v14, v34
	v_div_fixup_f32 v2, v11, v9, v2
	v_max_f32_e32 v2, v2, v24
	v_min_f32_e32 v2, v2, v27
	v_and_b32_e32 v35, 0x7fffffff, v2
	v_and_b32_e32 v34, 0x7fffffff, v6
	v_cmp_gt_u32_e64 s[6:7], s46, v35
	v_cmp_gt_u32_e64 s[8:9], s46, v34
	v_cmp_lt_u32_e32 vcc, s33, v34
	v_cmp_lt_u32_e64 s[4:5], s33, v35
	s_and_b64 s[14:15], s[52:53], s[8:9]
	s_and_b64 s[16:17], s[50:51], s[6:7]
	v_cmp_gt_u32_e64 s[6:7], s42, v35
	v_cmp_gt_u32_e64 s[8:9], s42, v34
	v_cmp_lt_u32_e64 s[10:11], s47, v34
	v_cmp_lt_u32_e64 s[12:13], s47, v35
	v_pk_add_f32 v[34:35], v[34:35], s[26:27] op_sel_hi:[1,0]
	v_and_b32_e32 v33, 0xff, v34
	v_and_b32_e32 v34, 0xff, v35
	s_and_b64 s[12:13], s[16:17], s[12:13]
	v_bfe_u32 v11, v2, 20, 1
	s_and_b64 s[40:41], s[16:17], s[6:7]
	v_cmp_ne_u32_e64 s[16:17], 0, v34
	v_bfe_u32 v14, v6, 20, 1
	v_add3_u32 v11, v2, v11, s43
	v_cmp_eq_u32_e64 s[6:7], 0, v34
	s_and_b64 s[16:17], s[40:41], s[16:17]
	s_and_b64 s[10:11], s[14:15], s[10:11]
	v_add3_u32 v14, v6, v14, s43
	v_lshrrev_b32_e32 v11, 20, v11
	s_and_b64 s[38:39], s[14:15], s[8:9]
	v_cmp_eq_u32_e64 s[8:9], 0, v33
	v_cmp_ne_u32_e64 s[14:15], 0, v33
	s_or_b64 s[16:17], s[16:17], s[12:13]
	s_and_b64 s[40:41], s[40:41], s[6:7]
	v_lshrrev_b32_e32 v14, 20, v14
	s_and_b64 s[14:15], s[38:39], s[14:15]
	v_cndmask_b32_e64 v11, v34, v11, s[12:13]
	v_lshrrev_b32_e32 v2, 24, v2
	s_and_b64 s[38:39], s[38:39], s[8:9]
	s_or_b64 s[8:9], s[16:17], s[40:41]
	s_and_b64 s[4:5], s[50:51], s[4:5]
	v_cndmask_b32_e64 v14, v33, v14, s[10:11]
	v_lshrrev_b32_e32 v6, 24, v6
	v_and_or_b32 v2, v2, s45, v11
	s_and_b64 s[6:7], s[52:53], vcc
	s_or_b64 s[52:53], s[8:9], s[4:5]
	v_div_scale_f32 v11, s[8:9], v8, v8, v7
	v_and_or_b32 v6, v6, s45, v14
	v_rcp_f32_e32 v14, v11
	s_or_b64 s[14:15], s[14:15], s[10:11]
	s_or_b64 s[10:11], s[14:15], s[38:39]
	;; [unrolled: 1-line block ×3, first 2 shown]
	v_fma_f32 v33, -v11, v14, 1.0
	v_fmac_f32_e32 v14, v33, v14
	v_div_scale_f32 v33, vcc, v7, v8, v7
	v_mul_f32_e32 v34, v33, v14
	v_fma_f32 v35, -v11, v34, v33
	v_fmac_f32_e32 v34, v35, v14
	v_fma_f32 v11, -v11, v34, v33
	v_div_fmas_f32 v11, v11, v14, v34
	v_div_fixup_f32 v7, v11, v8, v7
	v_div_scale_f32 v11, s[8:9], v9, v9, v3
	v_rcp_f32_e32 v14, v11
	v_max_f32_e32 v7, v7, v25
	v_min_f32_e32 v7, v7, v26
	v_lshlrev_b32_e32 v6, 16, v6
	v_fma_f32 v33, -v11, v14, 1.0
	v_fmac_f32_e32 v14, v33, v14
	v_div_scale_f32 v33, vcc, v3, v9, v3
	v_mul_f32_e32 v34, v33, v14
	v_fma_f32 v35, -v11, v34, v33
	v_fmac_f32_e32 v34, v35, v14
	v_fma_f32 v11, -v11, v34, v33
	v_div_fmas_f32 v11, v11, v14, v34
	v_div_fixup_f32 v3, v11, v9, v3
	v_max_f32_e32 v3, v3, v24
	v_min_f32_e32 v3, v3, v27
	v_and_b32_e32 v35, 0x7fffffff, v3
	v_and_b32_e32 v34, 0x7fffffff, v7
	v_cmp_gt_u32_e64 s[12:13], s46, v35
	v_bfe_u32 v14, v3, 20, 1
	v_cmp_gt_u32_e64 s[10:11], s46, v34
	s_and_b64 s[54:55], s[52:53], s[12:13]
	v_cmp_lt_u32_e64 s[14:15], s47, v35
	v_bfe_u32 v11, v7, 20, 1
	v_add3_u32 v14, v3, v14, s43
	v_cmp_lt_u32_e32 vcc, s33, v34
	v_cmp_lt_u32_e64 s[8:9], s33, v35
	s_and_b64 s[56:57], s[50:51], s[10:11]
	v_cmp_gt_u32_e64 s[10:11], s42, v34
	v_cmp_gt_u32_e64 s[12:13], s42, v35
	v_cmp_lt_u32_e64 s[16:17], s47, v34
	s_and_b64 s[14:15], s[54:55], s[14:15]
	v_add3_u32 v11, v7, v11, s43
	v_lshrrev_b32_e32 v14, 20, v14
	v_pk_add_f32 v[34:35], v[34:35], s[26:27] op_sel_hi:[1,0]
	s_and_b64 s[16:17], s[56:57], s[16:17]
	v_lshrrev_b32_e32 v11, 20, v11
	v_cndmask_b32_e64 v14, v35, v14, s[14:15]
	v_cndmask_b32_e64 v11, v34, v11, s[16:17]
	v_lshlrev_b32_e32 v14, 24, v14
	s_and_b64 s[8:9], s[52:53], s[8:9]
	v_lshlrev_b32_e32 v11, 24, v11
	v_and_or_b32 v14, v3, s48, v14
	v_and_or_b32 v3, v7, s48, v11
	v_cndmask_b32_e64 v7, v14, v29, s[8:9]
	v_mov_b32_e32 v14, v16
	s_and_b64 s[12:13], s[54:55], s[12:13]
	s_and_b64 s[10:11], s[56:57], s[10:11]
	v_cmp_eq_u32_sdwa s[54:55], v35, v15 src0_sel:BYTE_0 src1_sel:DWORD
	v_cmp_eq_u32_sdwa s[56:57], v34, v15 src0_sel:BYTE_0 src1_sel:DWORD
	s_and_b64 vcc, s[50:51], vcc
	v_lshlrev_b64 v[34:35], 2, v[14:15]
	v_cndmask_b32_e32 v3, v3, v29, vcc
	v_add_co_u32_e32 v34, vcc, v18, v34
	v_mov_b32_e32 v14, v17
	v_lshlrev_b32_e32 v2, 16, v2
	v_and_b32_e32 v6, 0xff0000, v6
	v_addc_co_u32_e32 v35, vcc, v19, v35, vcc
	v_lshlrev_b64 v[36:37], 2, v[14:15]
	v_and_b32_e32 v1, 0xff00, v1
	v_and_b32_e32 v2, 0xff0000, v2
	s_and_b64 s[10:11], s[10:11], s[56:57]
	v_add_co_u32_e32 v36, vcc, v18, v36
	v_cndmask_b32_e64 v6, v6, v30, s[6:7]
	s_and_b64 s[12:13], s[12:13], s[54:55]
	v_addc_co_u32_e32 v37, vcc, v19, v37, vcc
	v_cndmask_b32_e64 v3, v3, 0, s[10:11]
	v_cndmask_b32_e64 v2, v2, v30, s[4:5]
	;; [unrolled: 1-line block ×6, first 2 shown]
	v_or_b32_e32 v3, v3, v6
	v_cndmask_b32_e64 v5, v5, v31, s[2:3]
	v_cndmask_b32_e64 v1, v1, 0, s[36:37]
	v_cmp_eq_u32_e32 vcc, 0, v32
	v_or_b32_e32 v2, v7, v2
	v_cndmask_b32_e64 v5, v5, 0, s[34:35]
	v_cndmask_b32_e64 v0, v0, 0, s[30:31]
	v_or3_b32 v1, v3, v1, v4
	v_add_u32_e32 v17, 32, v17
	v_add_u32_e32 v16, 32, v16
	s_or_b64 s[24:25], vcc, s[24:25]
	v_or3_b32 v0, v2, v5, v0
	global_store_dword v[34:35], v1, off
	global_store_dword v[36:37], v0, off
	s_andn2_b64 exec, exec, s[24:25]
	s_cbranch_execnz .LBB9_100
; %bb.101:
	s_or_b64 exec, exec, s[24:25]
	v_cmp_ne_u32_e32 vcc, v22, v23
	v_lshl_or_b32 v10, v23, 4, v10
	s_and_b64 s[0:1], vcc, exec
	s_andn2_saveexec_b64 s[2:3], s[22:23]
	s_cbranch_execz .LBB9_98
.LBB9_102:
	s_or_b64 s[0:1], s[0:1], exec
	s_or_b64 exec, exec, s[2:3]
	s_and_b64 exec, exec, s[0:1]
	s_cbranch_execz .LBB9_137
.LBB9_103:
	v_lshlrev_b32_e32 v0, 4, v10
	v_mov_b32_e32 v11, 0
	v_add3_u32 v6, v21, v0, 0
	v_lshlrev_b64 v[0:1], 2, v[10:11]
	v_add_co_u32_e32 v0, vcc, v12, v0
	v_addc_co_u32_e32 v1, vcc, v13, v1, vcc
	v_mov_b32_e32 v2, s21
	v_add_co_u32_e32 v4, vcc, s20, v0
	v_addc_co_u32_e32 v5, vcc, v2, v1, vcc
	s_mov_b64 s[0:1], 0
	v_max_f32_e64 v7, s18, s18
	v_max_f32_e64 v9, s19, s19
	s_mov_b32 s8, 0x43800000
	s_mov_b32 s9, 0x3bffffff
	;; [unrolled: 1-line block ×4, first 2 shown]
	s_movk_i32 s12, 0x80
	s_mov_b32 s13, 0x4020c0c
	s_branch .LBB9_106
.LBB9_104:                              ;   in Loop: Header=BB9_106 Depth=1
	s_or_b64 exec, exec, s[6:7]
.LBB9_105:                              ;   in Loop: Header=BB9_106 Depth=1
	s_or_b64 exec, exec, s[2:3]
	v_lshlrev_b32_e32 v2, 16, v2
	v_perm_b32 v1, v1, v2, s13
	v_lshlrev_b32_e32 v2, 8, v11
	v_and_b32_e32 v2, 0xff00, v2
	v_and_b32_e32 v0, 0xff, v0
	v_add_u32_e32 v10, 16, v10
	v_or3_b32 v0, v1, v2, v0
	v_cmp_le_i32_e32 vcc, s27, v10
	global_store_dword v[4:5], v0, off
	s_or_b64 s[0:1], vcc, s[0:1]
	v_add_co_u32_e32 v4, vcc, 64, v4
	v_add_u32_e32 v6, 0x100, v6
	v_addc_co_u32_e32 v5, vcc, 0, v5, vcc
	s_andn2_b64 exec, exec, s[0:1]
	s_cbranch_execz .LBB9_137
.LBB9_106:                              ; =>This Inner Loop Header: Depth=1
	ds_read_b128 v[0:3], v6
	v_mov_b32_e32 v11, 0x80
	s_waitcnt lgkmcnt(0)
	v_div_scale_f32 v12, s[2:3], v8, v8, v0
	v_rcp_f32_e32 v13, v12
	v_div_scale_f32 v14, vcc, v0, v8, v0
	v_fma_f32 v15, -v12, v13, 1.0
	v_fmac_f32_e32 v13, v15, v13
	v_mul_f32_e32 v15, v14, v13
	v_fma_f32 v16, -v12, v15, v14
	v_fmac_f32_e32 v15, v16, v13
	v_fma_f32 v12, -v12, v15, v14
	v_div_fmas_f32 v12, v12, v13, v15
	v_div_fixup_f32 v0, v12, v8, v0
	v_max_f32_e32 v0, v0, v7
	v_min_f32_e32 v12, v0, v9
	v_and_b32_e32 v13, 0x7fffffff, v12
	v_cmp_gt_u32_e32 vcc, s8, v13
	v_mov_b32_e32 v0, 0x80
	s_and_saveexec_b64 s[2:3], vcc
	s_cbranch_execz .LBB9_112
; %bb.107:                              ;   in Loop: Header=BB9_106 Depth=1
	v_cmp_lt_u32_e32 vcc, s9, v13
	s_mov_b64 s[4:5], 0
                                        ; implicit-def: $vgpr13
	s_and_saveexec_b64 s[6:7], vcc
	s_xor_b64 s[6:7], exec, s[6:7]
	s_cbranch_execnz .LBB9_128
; %bb.108:                              ;   in Loop: Header=BB9_106 Depth=1
	s_or_saveexec_b64 s[6:7], s[6:7]
                                        ; implicit-def: $sgpr14
	s_xor_b64 exec, exec, s[6:7]
	s_cbranch_execnz .LBB9_129
.LBB9_109:                              ;   in Loop: Header=BB9_106 Depth=1
	s_or_b64 exec, exec, s[6:7]
	v_mov_b32_e32 v0, s14
	s_and_saveexec_b64 s[6:7], s[4:5]
.LBB9_110:                              ;   in Loop: Header=BB9_106 Depth=1
	v_lshrrev_b32_e32 v0, 24, v12
	v_and_or_b32 v0, v0, s12, v13
.LBB9_111:                              ;   in Loop: Header=BB9_106 Depth=1
	s_or_b64 exec, exec, s[6:7]
.LBB9_112:                              ;   in Loop: Header=BB9_106 Depth=1
	s_or_b64 exec, exec, s[2:3]
	v_div_scale_f32 v12, s[2:3], v8, v8, v1
	v_rcp_f32_e32 v13, v12
	v_div_scale_f32 v14, vcc, v1, v8, v1
	v_fma_f32 v15, -v12, v13, 1.0
	v_fmac_f32_e32 v13, v15, v13
	v_mul_f32_e32 v15, v14, v13
	v_fma_f32 v16, -v12, v15, v14
	v_fmac_f32_e32 v15, v16, v13
	v_fma_f32 v12, -v12, v15, v14
	v_div_fmas_f32 v12, v12, v13, v15
	v_div_fixup_f32 v1, v12, v8, v1
	v_max_f32_e32 v1, v1, v7
	v_min_f32_e32 v1, v1, v9
	v_and_b32_e32 v12, 0x7fffffff, v1
	v_cmp_gt_u32_e32 vcc, s8, v12
	s_and_saveexec_b64 s[2:3], vcc
	s_cbranch_execz .LBB9_118
; %bb.113:                              ;   in Loop: Header=BB9_106 Depth=1
	v_cmp_lt_u32_e32 vcc, s9, v12
	s_mov_b64 s[4:5], 0
                                        ; implicit-def: $vgpr12
	s_and_saveexec_b64 s[6:7], vcc
	s_xor_b64 s[6:7], exec, s[6:7]
	s_cbranch_execnz .LBB9_130
; %bb.114:                              ;   in Loop: Header=BB9_106 Depth=1
	s_or_saveexec_b64 s[6:7], s[6:7]
                                        ; implicit-def: $sgpr14
	s_xor_b64 exec, exec, s[6:7]
	s_cbranch_execnz .LBB9_131
.LBB9_115:                              ;   in Loop: Header=BB9_106 Depth=1
	s_or_b64 exec, exec, s[6:7]
	v_mov_b32_e32 v11, s14
	s_and_saveexec_b64 s[6:7], s[4:5]
.LBB9_116:                              ;   in Loop: Header=BB9_106 Depth=1
	v_lshrrev_b32_e32 v1, 24, v1
	v_and_or_b32 v11, v1, s12, v12
.LBB9_117:                              ;   in Loop: Header=BB9_106 Depth=1
	s_or_b64 exec, exec, s[6:7]
.LBB9_118:                              ;   in Loop: Header=BB9_106 Depth=1
	s_or_b64 exec, exec, s[2:3]
	v_div_scale_f32 v1, s[2:3], v8, v8, v2
	v_rcp_f32_e32 v12, v1
	v_div_scale_f32 v13, vcc, v2, v8, v2
	v_fma_f32 v14, -v1, v12, 1.0
	v_fmac_f32_e32 v12, v14, v12
	v_mul_f32_e32 v14, v13, v12
	v_fma_f32 v15, -v1, v14, v13
	v_fmac_f32_e32 v14, v15, v12
	v_fma_f32 v1, -v1, v14, v13
	v_div_fmas_f32 v1, v1, v12, v14
	v_div_fixup_f32 v1, v1, v8, v2
	v_max_f32_e32 v1, v1, v7
	v_min_f32_e32 v12, v1, v9
	v_and_b32_e32 v13, 0x7fffffff, v12
	v_cmp_gt_u32_e32 vcc, s8, v13
	v_mov_b32_e32 v1, 0x80
	v_mov_b32_e32 v2, 0x80
	s_and_saveexec_b64 s[2:3], vcc
	s_cbranch_execz .LBB9_124
; %bb.119:                              ;   in Loop: Header=BB9_106 Depth=1
	v_cmp_lt_u32_e32 vcc, s9, v13
	s_mov_b64 s[4:5], 0
                                        ; implicit-def: $vgpr13
	s_and_saveexec_b64 s[6:7], vcc
	s_xor_b64 s[6:7], exec, s[6:7]
	s_cbranch_execnz .LBB9_132
; %bb.120:                              ;   in Loop: Header=BB9_106 Depth=1
	s_or_saveexec_b64 s[6:7], s[6:7]
                                        ; implicit-def: $sgpr14
	s_xor_b64 exec, exec, s[6:7]
	s_cbranch_execnz .LBB9_133
.LBB9_121:                              ;   in Loop: Header=BB9_106 Depth=1
	s_or_b64 exec, exec, s[6:7]
	v_mov_b32_e32 v2, s14
	s_and_saveexec_b64 s[6:7], s[4:5]
.LBB9_122:                              ;   in Loop: Header=BB9_106 Depth=1
	v_lshrrev_b32_e32 v2, 24, v12
	v_and_or_b32 v2, v2, s12, v13
.LBB9_123:                              ;   in Loop: Header=BB9_106 Depth=1
	s_or_b64 exec, exec, s[6:7]
.LBB9_124:                              ;   in Loop: Header=BB9_106 Depth=1
	s_or_b64 exec, exec, s[2:3]
	v_div_scale_f32 v12, s[2:3], v8, v8, v3
	v_rcp_f32_e32 v13, v12
	v_div_scale_f32 v14, vcc, v3, v8, v3
	v_fma_f32 v15, -v12, v13, 1.0
	v_fmac_f32_e32 v13, v15, v13
	v_mul_f32_e32 v15, v14, v13
	v_fma_f32 v16, -v12, v15, v14
	v_fmac_f32_e32 v15, v16, v13
	v_fma_f32 v12, -v12, v15, v14
	v_div_fmas_f32 v12, v12, v13, v15
	v_div_fixup_f32 v3, v12, v8, v3
	v_max_f32_e32 v3, v3, v7
	v_min_f32_e32 v3, v3, v9
	v_and_b32_e32 v12, 0x7fffffff, v3
	v_cmp_gt_u32_e32 vcc, s8, v12
	s_and_saveexec_b64 s[2:3], vcc
	s_cbranch_execz .LBB9_105
; %bb.125:                              ;   in Loop: Header=BB9_106 Depth=1
	v_cmp_lt_u32_e32 vcc, s9, v12
	s_mov_b64 s[4:5], 0
                                        ; implicit-def: $vgpr12
	s_and_saveexec_b64 s[6:7], vcc
	s_xor_b64 s[6:7], exec, s[6:7]
	s_cbranch_execnz .LBB9_134
; %bb.126:                              ;   in Loop: Header=BB9_106 Depth=1
	s_or_saveexec_b64 s[6:7], s[6:7]
                                        ; implicit-def: $sgpr14
	s_xor_b64 exec, exec, s[6:7]
	s_cbranch_execnz .LBB9_135
.LBB9_127:                              ;   in Loop: Header=BB9_106 Depth=1
	s_or_b64 exec, exec, s[6:7]
	v_mov_b32_e32 v1, s14
	s_and_saveexec_b64 s[6:7], s[4:5]
	s_cbranch_execz .LBB9_104
	s_branch .LBB9_136
.LBB9_128:                              ;   in Loop: Header=BB9_106 Depth=1
	v_bfe_u32 v0, v12, 20, 1
	v_add3_u32 v0, v12, v0, s10
	s_mov_b64 s[4:5], exec
	v_lshrrev_b32_e32 v13, 20, v0
	s_or_saveexec_b64 s[6:7], s[6:7]
                                        ; implicit-def: $sgpr14
	s_xor_b64 exec, exec, s[6:7]
	s_cbranch_execz .LBB9_109
.LBB9_129:                              ;   in Loop: Header=BB9_106 Depth=1
	v_add_f32_e64 v0, |v12|, s11
	v_and_b32_e32 v13, 0xff, v0
	v_cmp_ne_u32_e32 vcc, 0, v13
	s_andn2_b64 s[4:5], s[4:5], exec
	s_and_b64 s[16:17], vcc, exec
	s_mov_b32 s14, 0
	s_or_b64 s[4:5], s[4:5], s[16:17]
	s_or_b64 exec, exec, s[6:7]
	v_mov_b32_e32 v0, s14
	s_and_saveexec_b64 s[6:7], s[4:5]
	s_cbranch_execnz .LBB9_110
	s_branch .LBB9_111
.LBB9_130:                              ;   in Loop: Header=BB9_106 Depth=1
	v_bfe_u32 v11, v1, 20, 1
	v_add3_u32 v11, v1, v11, s10
	s_mov_b64 s[4:5], exec
	v_lshrrev_b32_e32 v12, 20, v11
	s_or_saveexec_b64 s[6:7], s[6:7]
                                        ; implicit-def: $sgpr14
	s_xor_b64 exec, exec, s[6:7]
	s_cbranch_execz .LBB9_115
.LBB9_131:                              ;   in Loop: Header=BB9_106 Depth=1
	v_add_f32_e64 v11, |v1|, s11
	v_and_b32_e32 v12, 0xff, v11
	v_cmp_ne_u32_e32 vcc, 0, v12
	s_andn2_b64 s[4:5], s[4:5], exec
	s_and_b64 s[16:17], vcc, exec
	s_mov_b32 s14, 0
	s_or_b64 s[4:5], s[4:5], s[16:17]
	s_or_b64 exec, exec, s[6:7]
	v_mov_b32_e32 v11, s14
	s_and_saveexec_b64 s[6:7], s[4:5]
	s_cbranch_execnz .LBB9_116
	s_branch .LBB9_117
.LBB9_132:                              ;   in Loop: Header=BB9_106 Depth=1
	v_bfe_u32 v2, v12, 20, 1
	v_add3_u32 v2, v12, v2, s10
	s_mov_b64 s[4:5], exec
	v_lshrrev_b32_e32 v13, 20, v2
	s_or_saveexec_b64 s[6:7], s[6:7]
                                        ; implicit-def: $sgpr14
	s_xor_b64 exec, exec, s[6:7]
	s_cbranch_execz .LBB9_121
.LBB9_133:                              ;   in Loop: Header=BB9_106 Depth=1
	v_add_f32_e64 v2, |v12|, s11
	v_and_b32_e32 v13, 0xff, v2
	v_cmp_ne_u32_e32 vcc, 0, v13
	s_andn2_b64 s[4:5], s[4:5], exec
	s_and_b64 s[16:17], vcc, exec
	s_mov_b32 s14, 0
	s_or_b64 s[4:5], s[4:5], s[16:17]
	s_or_b64 exec, exec, s[6:7]
	v_mov_b32_e32 v2, s14
	s_and_saveexec_b64 s[6:7], s[4:5]
	s_cbranch_execnz .LBB9_122
	s_branch .LBB9_123
.LBB9_134:                              ;   in Loop: Header=BB9_106 Depth=1
	v_bfe_u32 v1, v3, 20, 1
	v_add3_u32 v1, v3, v1, s10
	s_mov_b64 s[4:5], exec
	v_lshrrev_b32_e32 v12, 20, v1
	s_or_saveexec_b64 s[6:7], s[6:7]
                                        ; implicit-def: $sgpr14
	s_xor_b64 exec, exec, s[6:7]
	s_cbranch_execz .LBB9_127
.LBB9_135:                              ;   in Loop: Header=BB9_106 Depth=1
	v_add_f32_e64 v1, |v3|, s11
	v_and_b32_e32 v12, 0xff, v1
	v_cmp_ne_u32_e32 vcc, 0, v12
	s_andn2_b64 s[4:5], s[4:5], exec
	s_and_b64 s[16:17], vcc, exec
	s_mov_b32 s14, 0
	s_or_b64 s[4:5], s[4:5], s[16:17]
	s_or_b64 exec, exec, s[6:7]
	v_mov_b32_e32 v1, s14
	s_and_saveexec_b64 s[6:7], s[4:5]
	s_cbranch_execz .LBB9_104
.LBB9_136:                              ;   in Loop: Header=BB9_106 Depth=1
	v_lshrrev_b32_e32 v1, 24, v3
	v_and_or_b32 v1, v1, s12, v12
	s_branch .LBB9_104
.LBB9_137:
	s_endpgm
.LBB9_138:
	v_bfe_u32 v1, v0, 20, 1
	s_mov_b32 s8, 0x487ffff
	v_add3_u32 v1, v0, v1, s8
	s_mov_b64 s[4:5], exec
	v_lshrrev_b32_e32 v1, 20, v1
	s_or_saveexec_b64 s[6:7], s[6:7]
                                        ; implicit-def: $sgpr8
	s_xor_b64 exec, exec, s[6:7]
	s_cbranch_execz .LBB9_29
.LBB9_139:
	s_mov_b32 s8, 0x46000000
	v_add_f32_e64 v1, |v0|, s8
	v_and_b32_e32 v1, 0xff, v1
	v_cmp_ne_u32_e32 vcc, 0, v1
	s_andn2_b64 s[4:5], s[4:5], exec
	s_and_b64 s[10:11], vcc, exec
	s_mov_b32 s8, 0
	s_or_b64 s[4:5], s[4:5], s[10:11]
	s_or_b64 exec, exec, s[6:7]
	v_mov_b32_e32 v2, s8
	s_and_saveexec_b64 s[6:7], s[4:5]
	s_cbranch_execnz .LBB9_30
	s_branch .LBB9_31
	.section	.rodata,"a",@progbits
	.p2align	6, 0x0
	.amdhsa_kernel _Z33per_token_group_quant_8bit_kernelIfN3c1015Float8_e4m3fnuzELb1ELb0EfEvPKT_PvPT3_iiifffii
		.amdhsa_group_segment_fixed_size 0
		.amdhsa_private_segment_fixed_size 0
		.amdhsa_kernarg_size 56
		.amdhsa_user_sgpr_count 6
		.amdhsa_user_sgpr_private_segment_buffer 1
		.amdhsa_user_sgpr_dispatch_ptr 0
		.amdhsa_user_sgpr_queue_ptr 0
		.amdhsa_user_sgpr_kernarg_segment_ptr 1
		.amdhsa_user_sgpr_dispatch_id 0
		.amdhsa_user_sgpr_flat_scratch_init 0
		.amdhsa_user_sgpr_kernarg_preload_length 0
		.amdhsa_user_sgpr_kernarg_preload_offset 0
		.amdhsa_user_sgpr_private_segment_size 0
		.amdhsa_uses_dynamic_stack 0
		.amdhsa_system_sgpr_private_segment_wavefront_offset 0
		.amdhsa_system_sgpr_workgroup_id_x 1
		.amdhsa_system_sgpr_workgroup_id_y 0
		.amdhsa_system_sgpr_workgroup_id_z 0
		.amdhsa_system_sgpr_workgroup_info 0
		.amdhsa_system_vgpr_workitem_id 0
		.amdhsa_next_free_vgpr 44
		.amdhsa_next_free_sgpr 62
		.amdhsa_accum_offset 44
		.amdhsa_reserve_vcc 1
		.amdhsa_reserve_flat_scratch 0
		.amdhsa_float_round_mode_32 0
		.amdhsa_float_round_mode_16_64 0
		.amdhsa_float_denorm_mode_32 3
		.amdhsa_float_denorm_mode_16_64 3
		.amdhsa_dx10_clamp 1
		.amdhsa_ieee_mode 1
		.amdhsa_fp16_overflow 0
		.amdhsa_tg_split 0
		.amdhsa_exception_fp_ieee_invalid_op 0
		.amdhsa_exception_fp_denorm_src 0
		.amdhsa_exception_fp_ieee_div_zero 0
		.amdhsa_exception_fp_ieee_overflow 0
		.amdhsa_exception_fp_ieee_underflow 0
		.amdhsa_exception_fp_ieee_inexact 0
		.amdhsa_exception_int_div_zero 0
	.end_amdhsa_kernel
	.section	.text._Z33per_token_group_quant_8bit_kernelIfN3c1015Float8_e4m3fnuzELb1ELb0EfEvPKT_PvPT3_iiifffii,"axG",@progbits,_Z33per_token_group_quant_8bit_kernelIfN3c1015Float8_e4m3fnuzELb1ELb0EfEvPKT_PvPT3_iiifffii,comdat
.Lfunc_end9:
	.size	_Z33per_token_group_quant_8bit_kernelIfN3c1015Float8_e4m3fnuzELb1ELb0EfEvPKT_PvPT3_iiifffii, .Lfunc_end9-_Z33per_token_group_quant_8bit_kernelIfN3c1015Float8_e4m3fnuzELb1ELb0EfEvPKT_PvPT3_iiifffii
                                        ; -- End function
	.section	.AMDGPU.csdata,"",@progbits
; Kernel info:
; codeLenInByte = 10664
; NumSgprs: 66
; NumVgprs: 44
; NumAgprs: 0
; TotalNumVgprs: 44
; ScratchSize: 0
; MemoryBound: 0
; FloatMode: 240
; IeeeMode: 1
; LDSByteSize: 0 bytes/workgroup (compile time only)
; SGPRBlocks: 8
; VGPRBlocks: 5
; NumSGPRsForWavesPerEU: 66
; NumVGPRsForWavesPerEU: 44
; AccumOffset: 44
; Occupancy: 8
; WaveLimiterHint : 0
; COMPUTE_PGM_RSRC2:SCRATCH_EN: 0
; COMPUTE_PGM_RSRC2:USER_SGPR: 6
; COMPUTE_PGM_RSRC2:TRAP_HANDLER: 0
; COMPUTE_PGM_RSRC2:TGID_X_EN: 1
; COMPUTE_PGM_RSRC2:TGID_Y_EN: 0
; COMPUTE_PGM_RSRC2:TGID_Z_EN: 0
; COMPUTE_PGM_RSRC2:TIDIG_COMP_CNT: 0
; COMPUTE_PGM_RSRC3_GFX90A:ACCUM_OFFSET: 10
; COMPUTE_PGM_RSRC3_GFX90A:TG_SPLIT: 0
	.section	.text._Z33per_token_group_quant_8bit_kernelIfN3c1015Float8_e4m3fnuzELb0ELb1EfEvPKT_PvPT3_iiifffii,"axG",@progbits,_Z33per_token_group_quant_8bit_kernelIfN3c1015Float8_e4m3fnuzELb0ELb1EfEvPKT_PvPT3_iiifffii,comdat
	.protected	_Z33per_token_group_quant_8bit_kernelIfN3c1015Float8_e4m3fnuzELb0ELb1EfEvPKT_PvPT3_iiifffii ; -- Begin function _Z33per_token_group_quant_8bit_kernelIfN3c1015Float8_e4m3fnuzELb0ELb1EfEvPKT_PvPT3_iiifffii
	.globl	_Z33per_token_group_quant_8bit_kernelIfN3c1015Float8_e4m3fnuzELb0ELb1EfEvPKT_PvPT3_iiifffii
	.p2align	8
	.type	_Z33per_token_group_quant_8bit_kernelIfN3c1015Float8_e4m3fnuzELb0ELb1EfEvPKT_PvPT3_iiifffii,@function
_Z33per_token_group_quant_8bit_kernelIfN3c1015Float8_e4m3fnuzELb0ELb1EfEvPKT_PvPT3_iiifffii: ; @_Z33per_token_group_quant_8bit_kernelIfN3c1015Float8_e4m3fnuzELb0ELb1EfEvPKT_PvPT3_iiifffii
; %bb.0:
	s_load_dword s31, s[4:5], 0x18
	s_load_dwordx4 s[16:19], s[4:5], 0x20
	s_load_dwordx2 s[2:3], s[4:5], 0x0
	v_lshrrev_b32_e32 v4, 4, v0
	v_and_b32_e32 v8, 15, v0
	s_waitcnt lgkmcnt(0)
	s_ashr_i32 s7, s31, 31
	s_mul_i32 s6, s6, s16
	v_add_co_u32_e32 v0, vcc, s6, v4
	v_addc_co_u32_e64 v1, s[0:1], 0, 0, vcc
	v_mul_lo_u32 v2, v1, s31
	v_mul_lo_u32 v3, v0, s7
	v_mad_u64_u32 v[12:13], s[0:1], v0, s31, 0
	v_add3_u32 v13, v13, v3, v2
	v_lshlrev_b64 v[2:3], 2, v[12:13]
	s_and_b32 s6, s31, 3
	v_mov_b32_e32 v6, s3
	v_add_co_u32_e32 v5, vcc, s2, v2
	s_cmp_eq_u32 s6, 0
	v_addc_co_u32_e32 v6, vcc, v6, v3, vcc
	v_mov_b32_e32 v11, 0
	v_and_b32_e32 v10, 15, v5
	s_cselect_b64 s[0:1], -1, 0
	s_cmp_lg_u32 s6, 0
	v_mul_lo_u32 v20, v4, s31
	v_cmp_ne_u64_e32 vcc, 0, v[10:11]
	s_cselect_b64 s[6:7], -1, 0
	v_lshl_add_u32 v9, v20, 2, 0
	s_or_b64 s[6:7], s[6:7], vcc
                                        ; implicit-def: $vgpr10
	s_and_saveexec_b64 s[8:9], s[6:7]
	s_xor_b64 s[6:7], exec, s[8:9]
	s_cbranch_execz .LBB10_12
; %bb.1:
	v_sub_u32_e32 v4, 0, v5
	v_bfe_u32 v4, v4, 2, 2
	v_min_i32_e32 v4, s31, v4
	v_cmp_gt_i32_e32 vcc, v4, v8
	v_mov_b32_e32 v10, s17
	s_and_saveexec_b64 s[8:9], vcc
	s_cbranch_execz .LBB10_3
; %bb.2:
	v_lshlrev_b32_e32 v7, 2, v8
	v_add_co_u32_e32 v10, vcc, v5, v7
	v_addc_co_u32_e32 v11, vcc, 0, v6, vcc
	global_load_dword v5, v[10:11], off
	v_max_f32_e64 v6, s17, s17
	v_add_u32_e32 v7, v9, v7
	s_waitcnt vmcnt(0)
	v_max_f32_e64 v10, |v5|, |v5|
	v_max_f32_e32 v10, v6, v10
	ds_write_b32 v7, v5
.LBB10_3:
	s_or_b64 exec, exec, s[8:9]
	v_sub_u32_e32 v11, s31, v4
	v_ashrrev_i32_e32 v6, 31, v11
	v_lshrrev_b32_e32 v6, 30, v6
	v_add_u32_e32 v6, v11, v6
	v_ashrrev_i32_e32 v5, 31, v4
	v_ashrrev_i32_e32 v14, 2, v6
	v_cmp_gt_i32_e32 vcc, v14, v8
	v_lshlrev_b32_e32 v15, 2, v4
	v_lshlrev_b64 v[4:5], 2, v[4:5]
	s_and_saveexec_b64 s[8:9], vcc
	s_cbranch_execz .LBB10_7
; %bb.4:
	v_lshlrev_b32_e32 v6, 4, v8
	v_lshl_add_u32 v7, v20, 2, v6
	v_add_co_u32_e32 v6, vcc, v2, v6
	v_add3_u32 v16, v7, v15, 0
	v_addc_co_u32_e32 v7, vcc, 0, v3, vcc
	v_add_co_u32_e32 v6, vcc, v6, v4
	v_addc_co_u32_e32 v7, vcc, v7, v5, vcc
	v_mov_b32_e32 v17, s3
	v_add_co_u32_e32 v6, vcc, s2, v6
	v_addc_co_u32_e32 v7, vcc, v7, v17, vcc
	v_add_co_u32_e32 v6, vcc, 8, v6
	v_addc_co_u32_e32 v7, vcc, 0, v7, vcc
	s_mov_b64 s[10:11], 0
	v_mov_b32_e32 v17, v8
.LBB10_5:                               ; =>This Inner Loop Header: Depth=1
	global_load_dwordx4 v[22:25], v[6:7], off offset:-8
	v_add_co_u32_e32 v6, vcc, 0x100, v6
	v_add_u32_e32 v17, 16, v17
	v_addc_co_u32_e32 v7, vcc, 0, v7, vcc
	v_cmp_ge_i32_e32 vcc, v17, v14
	s_or_b64 s[10:11], vcc, s[10:11]
	s_waitcnt vmcnt(0)
	v_max3_f32 v10, v10, |v22|, |v23|
	ds_write_b128 v16, v[22:25]
	v_add_u32_e32 v16, 0x100, v16
	v_max3_f32 v10, v10, |v24|, |v25|
	s_andn2_b64 exec, exec, s[10:11]
	s_cbranch_execnz .LBB10_5
; %bb.6:
	s_or_b64 exec, exec, s[10:11]
.LBB10_7:
	s_or_b64 exec, exec, s[8:9]
	v_lshl_add_u32 v6, v14, 2, v8
	v_cmp_lt_i32_e32 vcc, v6, v11
	s_and_saveexec_b64 s[8:9], vcc
	s_cbranch_execz .LBB10_11
; %bb.8:
	v_lshlrev_b32_e32 v7, 2, v20
	v_lshlrev_b32_e32 v14, 4, v14
	v_add3_u32 v7, v7, v14, v15
	v_lshlrev_b32_e32 v14, 2, v8
	v_add3_u32 v14, v7, v14, 0
	v_add_co_u32_e32 v4, vcc, v2, v4
	v_ashrrev_i32_e32 v7, 31, v6
	v_addc_co_u32_e32 v5, vcc, v3, v5, vcc
	v_lshlrev_b64 v[2:3], 2, v[6:7]
	v_add_co_u32_e32 v2, vcc, v4, v2
	v_addc_co_u32_e32 v3, vcc, v5, v3, vcc
	v_mov_b32_e32 v4, s3
	v_add_co_u32_e32 v2, vcc, s2, v2
	v_addc_co_u32_e32 v3, vcc, v4, v3, vcc
	s_mov_b64 s[10:11], 0
.LBB10_9:                               ; =>This Inner Loop Header: Depth=1
	global_load_dword v4, v[2:3], off
	v_add_co_u32_e32 v2, vcc, 64, v2
	v_add_u32_e32 v6, 16, v6
	v_addc_co_u32_e32 v3, vcc, 0, v3, vcc
	v_max_f32_e32 v5, v10, v10
	v_cmp_ge_i32_e32 vcc, v6, v11
	s_or_b64 s[10:11], vcc, s[10:11]
	s_waitcnt vmcnt(0)
	v_max_f32_e64 v7, |v4|, |v4|
	ds_write_b32 v14, v4
	v_add_u32_e32 v14, 64, v14
	v_max_f32_e32 v10, v5, v7
	s_andn2_b64 exec, exec, s[10:11]
	s_cbranch_execnz .LBB10_9
; %bb.10:
	s_or_b64 exec, exec, s[10:11]
.LBB10_11:
	s_or_b64 exec, exec, s[8:9]
                                        ; implicit-def: $vgpr2_vgpr3
.LBB10_12:
	s_or_saveexec_b64 s[6:7], s[6:7]
	s_load_dwordx2 s[20:21], s[4:5], 0x8
	s_xor_b64 exec, exec, s[6:7]
	s_cbranch_execz .LBB10_18
; %bb.13:
	s_ashr_i32 s10, s31, 2
	v_cmp_gt_i32_e32 vcc, s10, v8
	v_mov_b32_e32 v10, s17
	s_and_saveexec_b64 s[8:9], vcc
	s_cbranch_execz .LBB10_17
; %bb.14:
	v_lshlrev_b32_e32 v5, 4, v8
	v_add_co_u32_e32 v2, vcc, v2, v5
	v_lshlrev_b32_e32 v4, 2, v20
	v_addc_co_u32_e32 v3, vcc, 0, v3, vcc
	v_add3_u32 v4, v4, v5, 0
	v_mov_b32_e32 v5, s3
	v_add_co_u32_e32 v2, vcc, s2, v2
	v_addc_co_u32_e32 v3, vcc, v3, v5, vcc
	v_add_co_u32_e32 v2, vcc, 8, v2
	v_addc_co_u32_e32 v3, vcc, 0, v3, vcc
	s_mov_b64 s[2:3], 0
	v_mov_b32_e32 v10, s17
	v_mov_b32_e32 v5, v8
.LBB10_15:                              ; =>This Inner Loop Header: Depth=1
	global_load_dwordx4 v[14:17], v[2:3], off offset:-8
	v_add_co_u32_e32 v2, vcc, 0x100, v2
	v_add_u32_e32 v5, 16, v5
	v_addc_co_u32_e32 v3, vcc, 0, v3, vcc
	v_cmp_le_i32_e32 vcc, s10, v5
	s_or_b64 s[2:3], vcc, s[2:3]
	s_waitcnt vmcnt(0)
	v_max3_f32 v6, v10, |v14|, |v15|
	ds_write_b128 v4, v[14:17]
	v_add_u32_e32 v4, 0x100, v4
	v_max3_f32 v10, v6, |v16|, |v17|
	s_andn2_b64 exec, exec, s[2:3]
	s_cbranch_execnz .LBB10_15
; %bb.16:
	s_or_b64 exec, exec, s[2:3]
.LBB10_17:
	s_or_b64 exec, exec, s[8:9]
.LBB10_18:
	s_or_b64 exec, exec, s[6:7]
	v_mbcnt_lo_u32_b32 v2, -1, 0
	v_mbcnt_hi_u32_b32 v2, -1, v2
	v_and_b32_e32 v4, 0x70, v2
	v_xor_b32_e32 v3, 8, v2
	v_add_u32_e32 v4, 16, v4
	v_cmp_lt_i32_e32 vcc, v3, v4
	v_cndmask_b32_e32 v3, v2, v3, vcc
	v_lshlrev_b32_e32 v3, 2, v3
	ds_bpermute_b32 v3, v3, v10
	v_xor_b32_e32 v6, 4, v2
	v_max_f32_e32 v5, v10, v10
	v_cmp_lt_i32_e32 vcc, v6, v4
	s_waitcnt lgkmcnt(0)
	v_max_f32_e32 v3, v3, v3
	v_max_f32_e32 v3, v5, v3
	v_cndmask_b32_e32 v5, v2, v6, vcc
	v_lshlrev_b32_e32 v5, 2, v5
	ds_bpermute_b32 v5, v5, v3
	v_xor_b32_e32 v6, 2, v2
	v_cmp_lt_i32_e32 vcc, v6, v4
	s_waitcnt lgkmcnt(0)
	v_max_f32_e32 v5, v5, v5
	v_max_f32_e32 v3, v3, v5
	v_cndmask_b32_e32 v5, v2, v6, vcc
	v_lshlrev_b32_e32 v5, 2, v5
	ds_bpermute_b32 v5, v5, v3
	v_xor_b32_e32 v6, 1, v2
	v_cmp_lt_i32_e32 vcc, v6, v4
	v_cndmask_b32_e32 v2, v2, v6, vcc
	v_lshlrev_b32_e32 v2, 2, v2
	s_waitcnt lgkmcnt(0)
	v_max_f32_e32 v5, v5, v5
	v_max_f32_e32 v3, v3, v5
	ds_bpermute_b32 v2, v2, v3
	s_waitcnt lgkmcnt(0)
	v_max_f32_e32 v2, v2, v2
	v_max_f32_e32 v2, v3, v2
	v_div_scale_f32 v3, s[2:3], s19, s19, v2
	v_rcp_f32_e32 v4, v3
	v_div_scale_f32 v5, vcc, v2, s19, v2
	s_mov_b32 s2, 0x2edbe6ff
	v_fma_f32 v6, -v3, v4, 1.0
	v_fmac_f32_e32 v4, v6, v4
	v_mul_f32_e32 v6, v5, v4
	v_fma_f32 v7, -v3, v6, v5
	v_fmac_f32_e32 v6, v7, v4
	v_fma_f32 v3, -v3, v6, v5
	v_div_fmas_f32 v3, v3, v4, v6
	v_div_fixup_f32 v2, v3, s19, v2
	v_max_f32_e64 v2, |v2|, s2
	s_mov_b32 s2, 0x800000
	v_mov_b32_e32 v3, 0x4f800000
	v_cmp_gt_f32_e32 vcc, s2, v2
	v_cndmask_b32_e32 v3, 1.0, v3, vcc
	v_mul_f32_e32 v2, v2, v3
	v_log_f32_e32 v2, v2
	v_mov_b32_e32 v3, 0x42000000
	v_cndmask_b32_e32 v3, 0, v3, vcc
	s_mov_b32 s2, 0xc2fc0000
	v_sub_f32_e32 v2, v2, v3
	v_ceil_f32_e32 v2, v2
	v_mov_b32_e32 v3, 0x42800000
	v_cmp_gt_f32_e32 vcc, s2, v2
	v_cndmask_b32_e32 v3, 0, v3, vcc
	v_add_f32_e32 v2, v2, v3
	v_exp_f32_e32 v2, v2
	v_mov_b32_e32 v3, 0x1f800000
	v_cndmask_b32_e32 v3, 1.0, v3, vcc
	v_cmp_eq_u32_e32 vcc, 0, v8
	v_mul_f32_e32 v10, v2, v3
	s_and_saveexec_b64 s[2:3], vcc
	s_cbranch_execz .LBB10_20
; %bb.19:
	s_load_dwordx2 s[4:5], s[4:5], 0x10
	v_lshlrev_b64 v[0:1], 2, v[0:1]
	s_waitcnt lgkmcnt(0)
	v_mov_b32_e32 v2, s5
	v_add_co_u32_e32 v0, vcc, s4, v0
	v_addc_co_u32_e32 v1, vcc, v2, v1, vcc
	global_store_dword v[0:1], v10, off
.LBB10_20:
	s_or_b64 exec, exec, s[2:3]
	v_mov_b32_e32 v0, s21
	v_add_co_u32_e32 v18, vcc, s20, v12
	v_addc_co_u32_e32 v19, vcc, v0, v13, vcc
	v_and_b32_e32 v0, 15, v9
	v_mov_b32_e32 v1, 0
	v_cmp_ne_u64_e32 vcc, 0, v[0:1]
	s_xor_b64 s[0:1], s[0:1], -1
	s_or_b64 s[0:1], s[0:1], vcc
	s_barrier
	s_and_saveexec_b64 s[2:3], s[0:1]
	s_xor_b64 s[22:23], exec, s[2:3]
	s_cbranch_execz .LBB10_90
; %bb.21:
	v_sub_u32_e32 v0, 0, v9
	v_bfe_u32 v0, v0, 2, 2
	v_min_i32_e32 v14, s31, v0
	v_cmp_gt_i32_e32 vcc, v14, v8
	s_and_saveexec_b64 s[0:1], vcc
	s_cbranch_execz .LBB10_29
; %bb.22:
	v_lshl_add_u32 v0, v8, 2, v9
	ds_read_b32 v0, v0
	v_max_f32_e64 v1, s18, s18
	v_max_f32_e64 v2, s19, s19
	s_waitcnt lgkmcnt(0)
	v_div_scale_f32 v3, s[2:3], v10, v10, v0
	v_rcp_f32_e32 v4, v3
	v_div_scale_f32 v5, vcc, v0, v10, v0
	s_mov_b32 s2, 0x43800000
	v_fma_f32 v6, -v3, v4, 1.0
	v_fmac_f32_e32 v4, v6, v4
	v_mul_f32_e32 v6, v5, v4
	v_fma_f32 v7, -v3, v6, v5
	v_fmac_f32_e32 v6, v7, v4
	v_fma_f32 v3, -v3, v6, v5
	v_div_fmas_f32 v3, v3, v4, v6
	v_div_fixup_f32 v0, v3, v10, v0
	v_max_f32_e32 v0, v0, v1
	v_min_f32_e32 v0, v0, v2
	v_and_b32_e32 v1, 0x7fffffff, v0
	v_cmp_gt_u32_e32 vcc, s2, v1
	v_mov_b32_e32 v2, 0x80
	s_and_saveexec_b64 s[2:3], vcc
	s_cbranch_execz .LBB10_28
; %bb.23:
	s_mov_b32 s4, 0x3bffffff
	v_cmp_lt_u32_e32 vcc, s4, v1
	s_mov_b64 s[4:5], 0
                                        ; implicit-def: $vgpr1
	s_and_saveexec_b64 s[6:7], vcc
	s_xor_b64 s[6:7], exec, s[6:7]
	s_cbranch_execnz .LBB10_134
; %bb.24:
	s_or_saveexec_b64 s[6:7], s[6:7]
                                        ; implicit-def: $sgpr8
	s_xor_b64 exec, exec, s[6:7]
	s_cbranch_execnz .LBB10_135
.LBB10_25:
	s_or_b64 exec, exec, s[6:7]
	v_mov_b32_e32 v2, s8
	s_and_saveexec_b64 s[6:7], s[4:5]
.LBB10_26:
	v_lshrrev_b32_e32 v0, 24, v0
	s_movk_i32 s4, 0x80
	v_and_or_b32 v2, v0, s4, v1
.LBB10_27:
	s_or_b64 exec, exec, s[6:7]
.LBB10_28:
	s_or_b64 exec, exec, s[2:3]
	v_add_co_u32_e32 v0, vcc, v18, v8
	v_addc_co_u32_e32 v1, vcc, 0, v19, vcc
	global_store_byte v[0:1], v2, off
.LBB10_29:
	s_or_b64 exec, exec, s[0:1]
	v_sub_u32_e32 v21, s31, v14
	v_ashrrev_i32_e32 v0, 31, v21
	v_lshrrev_b32_e32 v0, 30, v0
	v_ashrrev_i32_e32 v11, 31, v14
	v_add_co_u32_e32 v22, vcc, v18, v14
	v_add_u32_e32 v0, v21, v0
	v_addc_co_u32_e32 v23, vcc, v19, v11, vcc
	v_ashrrev_i32_e32 v24, 2, v0
	v_cmp_gt_i32_e32 vcc, v24, v8
	s_and_saveexec_b64 s[24:25], vcc
	s_cbranch_execz .LBB10_71
; %bb.30:
	v_xad_u32 v0, v8, -1, v24
	v_cmp_lt_u32_e32 vcc, 15, v0
	s_mov_b64 s[0:1], 0
                                        ; implicit-def: $vgpr4
                                        ; implicit-def: $vgpr25
                                        ; implicit-def: $vgpr26
	s_and_saveexec_b64 s[2:3], vcc
	s_xor_b64 s[26:27], exec, s[2:3]
	s_cbranch_execnz .LBB10_33
; %bb.31:
	s_andn2_saveexec_b64 s[2:3], s[26:27]
	s_cbranch_execnz .LBB10_36
.LBB10_32:
	s_or_b64 exec, exec, s[2:3]
	s_and_b64 exec, exec, s[0:1]
	s_cbranch_execnz .LBB10_37
	s_branch .LBB10_71
.LBB10_33:
	v_lshrrev_b32_e32 v0, 4, v0
	v_add_u32_e32 v27, 1, v0
	v_lshlrev_b32_e32 v25, 2, v20
	v_and_b32_e32 v28, 0x1ffffffe, v27
	v_or_b32_e32 v9, 16, v8
	s_mov_b32 s0, s18
	s_mov_b32 s1, s18
	s_mov_b32 s2, s19
	s_mov_b32 s3, s19
	v_lshl_add_u32 v0, v8, 4, v25
	v_lshlrev_b32_e32 v26, 2, v14
	v_mov_b32_e32 v15, v10
	v_add3_u32 v29, v0, v26, 0
	s_mov_b64 s[28:29], 0
	v_max_f32_e64 v30, s1, s1
	v_max_f32_e64 v31, s0, s0
	;; [unrolled: 1-line block ×4, first 2 shown]
	s_mov_b32 s33, 0x437fffff
	s_brev_b32 s46, 60
	s_mov_b32 s47, 0x487ffff
	s_mov_b32 s30, 0x46000000
	s_movk_i32 s48, 0xff
	s_movk_i32 s49, 0x80
	v_mov_b32_e32 v34, 0x80
	s_mov_b32 s50, 0x43800000
	s_mov_b32 s51, 0x3bffffff
	s_brev_b32 s52, 1
	v_bfrev_b32_e32 v35, 1
	v_mov_b32_e32 v36, 0x800000
	v_mov_b32_e32 v37, 0x8000
	;; [unrolled: 1-line block ×4, first 2 shown]
	v_pk_mov_b32 v[18:19], v[8:9], v[8:9] op_sel:[0,1]
.LBB10_34:                              ; =>This Inner Loop Header: Depth=1
	ds_read_b128 v[4:7], v29
	ds_read_b128 v[0:3], v29 offset:256
	v_add_u32_e32 v38, -2, v38
	v_add_u32_e32 v29, 0x200, v29
	s_waitcnt lgkmcnt(1)
	v_div_scale_f32 v9, s[0:1], v10, v10, v4
	v_rcp_f32_e32 v16, v9
	v_fma_f32 v39, -v9, v16, 1.0
	v_fmac_f32_e32 v16, v39, v16
	v_div_scale_f32 v39, vcc, v4, v10, v4
	v_mul_f32_e32 v40, v39, v16
	v_fma_f32 v41, -v9, v40, v39
	v_fmac_f32_e32 v40, v41, v16
	v_fma_f32 v9, -v9, v40, v39
	v_div_fmas_f32 v9, v9, v16, v40
	v_div_fixup_f32 v4, v9, v10, v4
	s_waitcnt lgkmcnt(0)
	v_div_scale_f32 v9, s[0:1], v15, v15, v0
	v_rcp_f32_e32 v16, v9
	v_max_f32_e32 v4, v4, v31
	v_min_f32_e32 v4, v4, v32
	v_fma_f32 v39, -v9, v16, 1.0
	v_fmac_f32_e32 v16, v39, v16
	v_div_scale_f32 v39, vcc, v0, v15, v0
	v_mul_f32_e32 v40, v39, v16
	v_fma_f32 v41, -v9, v40, v39
	v_fmac_f32_e32 v40, v41, v16
	v_fma_f32 v9, -v9, v40, v39
	v_div_fmas_f32 v9, v9, v16, v40
	v_div_fixup_f32 v0, v9, v15, v0
	v_max_f32_e32 v0, v0, v30
	v_min_f32_e32 v0, v0, v33
	v_and_b32_e32 v41, 0x7fffffff, v0
	v_and_b32_e32 v40, 0x7fffffff, v4
	v_cmp_lt_u32_e32 vcc, s33, v41
	v_cmp_lt_u32_e64 s[0:1], s33, v40
	v_cmp_gt_u32_e64 s[2:3], s46, v41
	v_cmp_gt_u32_e64 s[4:5], s46, v40
	v_bfe_u32 v9, v4, 20, 1
	v_pk_add_f32 v[40:41], v[40:41], s[30:31] op_sel_hi:[1,0]
	s_xor_b64 s[6:7], s[4:5], s[0:1]
	v_add3_u32 v9, v4, v9, s47
	v_cmp_ne_u32_sdwa s[34:35], v40, v17 src0_sel:BYTE_0 src1_sel:DWORD
	s_xor_b64 s[12:13], s[6:7], -1
	v_bfe_u32 v16, v0, 20, 1
	v_lshrrev_b32_e32 v9, 20, v9
	v_cmp_eq_u32_sdwa s[16:17], v40, v17 src0_sel:BYTE_0 src1_sel:DWORD
	s_and_b64 s[34:35], s[4:5], s[34:35]
	s_xor_b64 s[8:9], s[2:3], vcc
	v_add3_u32 v16, v0, v16, s47
	v_cmp_ne_u32_sdwa s[36:37], v41, v17 src0_sel:BYTE_0 src1_sel:DWORD
	s_or_b64 s[12:13], s[34:35], s[12:13]
	v_cndmask_b32_e64 v9, v9, v40, s[6:7]
	v_and_b32_sdwa v4, v4, s49 dst_sel:DWORD dst_unused:UNUSED_PAD src0_sel:BYTE_3 src1_sel:DWORD
	s_and_b64 s[34:35], s[4:5], s[16:17]
	s_xor_b64 s[10:11], s[8:9], -1
	v_lshrrev_b32_e32 v16, 20, v16
	v_cmp_eq_u32_sdwa s[14:15], v41, v17 src0_sel:BYTE_0 src1_sel:DWORD
	s_and_b64 s[36:37], s[2:3], s[36:37]
	s_or_b64 s[4:5], s[12:13], s[34:35]
	v_and_or_b32 v4, v9, s48, v4
	s_or_b64 s[10:11], s[36:37], s[10:11]
	v_cndmask_b32_e64 v16, v16, v41, s[8:9]
	v_and_b32_sdwa v0, v0, s49 dst_sel:DWORD dst_unused:UNUSED_PAD src0_sel:BYTE_3 src1_sel:DWORD
	s_and_b64 s[36:37], s[2:3], s[14:15]
	s_or_b64 s[14:15], s[4:5], s[0:1]
	v_cndmask_b32_e64 v4, v4, v34, s[0:1]
	v_div_scale_f32 v9, s[0:1], v10, v10, v5
	v_and_or_b32 v0, v16, s48, v0
	v_rcp_f32_e32 v16, v9
	s_or_b64 s[2:3], s[10:11], s[36:37]
	s_or_b64 s[16:17], s[2:3], vcc
	v_cndmask_b32_e32 v0, v0, v34, vcc
	v_fma_f32 v39, -v9, v16, 1.0
	v_fmac_f32_e32 v16, v39, v16
	v_div_scale_f32 v39, vcc, v5, v10, v5
	v_mul_f32_e32 v40, v39, v16
	v_fma_f32 v41, -v9, v40, v39
	v_fmac_f32_e32 v40, v41, v16
	v_fma_f32 v9, -v9, v40, v39
	v_div_fmas_f32 v9, v9, v16, v40
	v_div_fixup_f32 v5, v9, v10, v5
	v_div_scale_f32 v9, s[0:1], v15, v15, v1
	v_rcp_f32_e32 v16, v9
	v_max_f32_e32 v5, v5, v31
	v_min_f32_e32 v5, v5, v32
	v_cndmask_b32_e64 v4, v4, 0, s[34:35]
	v_fma_f32 v39, -v9, v16, 1.0
	v_fmac_f32_e32 v16, v39, v16
	v_div_scale_f32 v39, vcc, v1, v15, v1
	v_mul_f32_e32 v40, v39, v16
	v_fma_f32 v41, -v9, v40, v39
	v_fmac_f32_e32 v40, v41, v16
	v_fma_f32 v9, -v9, v40, v39
	v_div_fmas_f32 v9, v9, v16, v40
	v_div_fixup_f32 v1, v9, v15, v1
	v_max_f32_e32 v1, v1, v30
	v_min_f32_e32 v1, v1, v33
	v_and_b32_e32 v41, 0x7fffffff, v1
	v_and_b32_e32 v40, 0x7fffffff, v5
	v_cmp_gt_u32_e64 s[2:3], s50, v40
	v_cmp_gt_u32_e64 s[4:5], s50, v41
	v_cmp_lt_u32_e32 vcc, s33, v41
	v_cmp_lt_u32_e64 s[0:1], s33, v40
	s_and_b64 s[10:11], s[16:17], s[4:5]
	s_and_b64 s[12:13], s[14:15], s[2:3]
	v_cmp_gt_u32_e64 s[2:3], s46, v40
	v_cmp_gt_u32_e64 s[4:5], s46, v41
	v_cmp_lt_u32_e64 s[6:7], s51, v41
	v_cmp_lt_u32_e64 s[8:9], s51, v40
	v_bfe_u32 v16, v1, 20, 1
	v_pk_add_f32 v[40:41], v[40:41], s[30:31] op_sel_hi:[1,0]
	v_bfe_u32 v9, v5, 20, 1
	v_add3_u32 v16, v1, v16, s47
	v_and_b32_e32 v40, 0xff, v40
	s_and_b64 s[8:9], s[12:13], s[8:9]
	s_and_b64 s[6:7], s[10:11], s[6:7]
	v_add3_u32 v9, v5, v9, s47
	v_lshrrev_b32_e32 v16, 20, v16
	s_and_b64 s[40:41], s[12:13], s[2:3]
	v_and_b32_e32 v39, 0xff, v41
	v_cmp_ne_u32_e64 s[12:13], 0, v40
	v_lshrrev_b32_e32 v9, 20, v9
	v_cmp_eq_u32_e64 s[2:3], 0, v40
	s_and_b64 s[12:13], s[40:41], s[12:13]
	v_cndmask_b32_e64 v16, v39, v16, s[6:7]
	v_lshrrev_b32_e32 v1, 24, v1
	s_and_b64 s[38:39], s[10:11], s[4:5]
	v_cmp_eq_u32_e64 s[4:5], 0, v39
	v_cmp_ne_u32_e64 s[10:11], 0, v39
	s_or_b64 s[12:13], s[12:13], s[8:9]
	v_cndmask_b32_e64 v9, v40, v9, s[8:9]
	v_lshrrev_b32_e32 v5, 24, v5
	v_and_or_b32 v1, v1, s49, v16
	s_and_b64 s[40:41], s[40:41], s[2:3]
	s_and_b64 s[10:11], s[38:39], s[10:11]
	v_and_or_b32 v5, v5, s49, v9
	s_and_b64 s[38:39], s[38:39], s[4:5]
	s_or_b64 s[4:5], s[12:13], s[40:41]
	s_and_b64 s[0:1], s[14:15], s[0:1]
	v_lshlrev_b32_e32 v9, 8, v1
	s_or_b64 s[56:57], s[4:5], s[0:1]
	v_lshlrev_b32_e32 v1, 8, v5
	v_and_b32_e32 v5, 0xff00, v9
	v_div_scale_f32 v9, s[4:5], v10, v10, v6
	v_rcp_f32_e32 v16, v9
	s_and_b64 s[2:3], s[16:17], vcc
	s_or_b64 s[10:11], s[10:11], s[6:7]
	s_or_b64 s[6:7], s[10:11], s[38:39]
	v_fma_f32 v39, -v9, v16, 1.0
	v_fmac_f32_e32 v16, v39, v16
	v_div_scale_f32 v39, vcc, v6, v10, v6
	v_mul_f32_e32 v40, v39, v16
	v_fma_f32 v41, -v9, v40, v39
	v_fmac_f32_e32 v40, v41, v16
	v_fma_f32 v9, -v9, v40, v39
	v_div_fmas_f32 v9, v9, v16, v40
	v_div_fixup_f32 v6, v9, v10, v6
	v_div_scale_f32 v9, s[4:5], v15, v15, v2
	v_rcp_f32_e32 v16, v9
	v_max_f32_e32 v6, v6, v31
	v_min_f32_e32 v6, v6, v32
	s_or_b64 s[54:55], s[6:7], s[2:3]
	v_fma_f32 v39, -v9, v16, 1.0
	v_fmac_f32_e32 v16, v39, v16
	v_div_scale_f32 v39, vcc, v2, v15, v2
	v_mul_f32_e32 v40, v39, v16
	v_fma_f32 v41, -v9, v40, v39
	v_fmac_f32_e32 v40, v41, v16
	v_fma_f32 v9, -v9, v40, v39
	v_div_fmas_f32 v9, v9, v16, v40
	v_div_fixup_f32 v2, v9, v15, v2
	v_max_f32_e32 v2, v2, v30
	v_min_f32_e32 v2, v2, v33
	v_and_b32_e32 v41, 0x7fffffff, v2
	v_and_b32_e32 v40, 0x7fffffff, v6
	v_cmp_gt_u32_e64 s[6:7], s50, v41
	v_cmp_gt_u32_e64 s[8:9], s50, v40
	v_cmp_lt_u32_e32 vcc, s33, v40
	v_cmp_lt_u32_e64 s[4:5], s33, v41
	s_and_b64 s[14:15], s[56:57], s[8:9]
	s_and_b64 s[16:17], s[54:55], s[6:7]
	v_cmp_gt_u32_e64 s[6:7], s46, v41
	v_cmp_gt_u32_e64 s[8:9], s46, v40
	v_cmp_lt_u32_e64 s[10:11], s51, v40
	v_cmp_lt_u32_e64 s[12:13], s51, v41
	v_pk_add_f32 v[40:41], v[40:41], s[30:31] op_sel_hi:[1,0]
	v_and_b32_e32 v39, 0xff, v40
	v_and_b32_e32 v40, 0xff, v41
	s_and_b64 s[12:13], s[16:17], s[12:13]
	v_bfe_u32 v9, v2, 20, 1
	s_and_b64 s[44:45], s[16:17], s[6:7]
	v_cmp_ne_u32_e64 s[16:17], 0, v40
	v_bfe_u32 v16, v6, 20, 1
	v_add3_u32 v9, v2, v9, s47
	v_cmp_eq_u32_e64 s[6:7], 0, v40
	s_and_b64 s[16:17], s[44:45], s[16:17]
	s_and_b64 s[10:11], s[14:15], s[10:11]
	v_add3_u32 v16, v6, v16, s47
	v_lshrrev_b32_e32 v9, 20, v9
	s_and_b64 s[42:43], s[14:15], s[8:9]
	v_cmp_eq_u32_e64 s[8:9], 0, v39
	v_cmp_ne_u32_e64 s[14:15], 0, v39
	s_or_b64 s[16:17], s[16:17], s[12:13]
	s_and_b64 s[44:45], s[44:45], s[6:7]
	v_lshrrev_b32_e32 v16, 20, v16
	s_and_b64 s[14:15], s[42:43], s[14:15]
	v_cndmask_b32_e64 v9, v40, v9, s[12:13]
	v_lshrrev_b32_e32 v2, 24, v2
	s_and_b64 s[42:43], s[42:43], s[8:9]
	s_or_b64 s[8:9], s[16:17], s[44:45]
	s_and_b64 s[4:5], s[54:55], s[4:5]
	v_cndmask_b32_e64 v16, v39, v16, s[10:11]
	v_lshrrev_b32_e32 v6, 24, v6
	v_and_or_b32 v2, v2, s49, v9
	s_and_b64 s[6:7], s[56:57], vcc
	s_or_b64 s[56:57], s[8:9], s[4:5]
	v_div_scale_f32 v9, s[8:9], v10, v10, v7
	v_and_or_b32 v6, v6, s49, v16
	v_rcp_f32_e32 v16, v9
	s_or_b64 s[14:15], s[14:15], s[10:11]
	s_or_b64 s[10:11], s[14:15], s[42:43]
	;; [unrolled: 1-line block ×3, first 2 shown]
	v_fma_f32 v39, -v9, v16, 1.0
	v_fmac_f32_e32 v16, v39, v16
	v_div_scale_f32 v39, vcc, v7, v10, v7
	v_mul_f32_e32 v40, v39, v16
	v_fma_f32 v41, -v9, v40, v39
	v_fmac_f32_e32 v40, v41, v16
	v_fma_f32 v9, -v9, v40, v39
	v_div_fmas_f32 v9, v9, v16, v40
	v_div_fixup_f32 v7, v9, v10, v7
	v_div_scale_f32 v9, s[8:9], v15, v15, v3
	v_rcp_f32_e32 v16, v9
	v_max_f32_e32 v7, v7, v31
	v_min_f32_e32 v7, v7, v32
	v_lshlrev_b32_e32 v6, 16, v6
	v_fma_f32 v39, -v9, v16, 1.0
	v_fmac_f32_e32 v16, v39, v16
	v_div_scale_f32 v39, vcc, v3, v15, v3
	v_mul_f32_e32 v40, v39, v16
	v_fma_f32 v41, -v9, v40, v39
	v_fmac_f32_e32 v40, v41, v16
	v_fma_f32 v9, -v9, v40, v39
	v_div_fmas_f32 v9, v9, v16, v40
	v_div_fixup_f32 v3, v9, v15, v3
	v_max_f32_e32 v3, v3, v30
	v_min_f32_e32 v3, v3, v33
	v_and_b32_e32 v41, 0x7fffffff, v3
	v_and_b32_e32 v40, 0x7fffffff, v7
	v_cmp_gt_u32_e64 s[12:13], s50, v41
	v_bfe_u32 v16, v3, 20, 1
	v_cmp_gt_u32_e64 s[10:11], s50, v40
	s_and_b64 s[58:59], s[56:57], s[12:13]
	v_cmp_lt_u32_e64 s[14:15], s51, v41
	v_bfe_u32 v9, v7, 20, 1
	v_add3_u32 v16, v3, v16, s47
	v_cmp_lt_u32_e32 vcc, s33, v40
	v_cmp_lt_u32_e64 s[8:9], s33, v41
	s_and_b64 s[60:61], s[54:55], s[10:11]
	v_cmp_gt_u32_e64 s[10:11], s46, v40
	v_cmp_gt_u32_e64 s[12:13], s46, v41
	v_cmp_lt_u32_e64 s[16:17], s51, v40
	s_and_b64 s[14:15], s[58:59], s[14:15]
	v_add3_u32 v9, v7, v9, s47
	v_lshrrev_b32_e32 v16, 20, v16
	v_pk_add_f32 v[40:41], v[40:41], s[30:31] op_sel_hi:[1,0]
	s_and_b64 s[16:17], s[60:61], s[16:17]
	v_lshrrev_b32_e32 v9, 20, v9
	v_cndmask_b32_e64 v16, v41, v16, s[14:15]
	v_cndmask_b32_e64 v9, v40, v9, s[16:17]
	v_lshlrev_b32_e32 v16, 24, v16
	s_and_b64 s[8:9], s[56:57], s[8:9]
	v_lshlrev_b32_e32 v9, 24, v9
	v_and_or_b32 v16, v3, s52, v16
	v_and_or_b32 v3, v7, s52, v9
	v_cndmask_b32_e64 v7, v16, v35, s[8:9]
	v_mov_b32_e32 v16, v18
	s_and_b64 s[12:13], s[58:59], s[12:13]
	s_and_b64 s[10:11], s[60:61], s[10:11]
	v_cmp_eq_u32_sdwa s[58:59], v41, v17 src0_sel:BYTE_0 src1_sel:DWORD
	v_cmp_eq_u32_sdwa s[60:61], v40, v17 src0_sel:BYTE_0 src1_sel:DWORD
	s_and_b64 vcc, s[54:55], vcc
	v_lshlrev_b64 v[40:41], 2, v[16:17]
	v_cndmask_b32_e32 v3, v3, v35, vcc
	v_add_co_u32_e32 v40, vcc, v22, v40
	v_mov_b32_e32 v16, v19
	v_lshlrev_b32_e32 v2, 16, v2
	v_and_b32_e32 v6, 0xff0000, v6
	v_addc_co_u32_e32 v41, vcc, v23, v41, vcc
	v_lshlrev_b64 v[42:43], 2, v[16:17]
	v_and_b32_e32 v1, 0xff00, v1
	v_and_b32_e32 v2, 0xff0000, v2
	s_and_b64 s[10:11], s[10:11], s[60:61]
	v_add_co_u32_e32 v42, vcc, v22, v42
	v_cndmask_b32_e64 v6, v6, v36, s[6:7]
	s_and_b64 s[12:13], s[12:13], s[58:59]
	v_addc_co_u32_e32 v43, vcc, v23, v43, vcc
	v_cndmask_b32_e64 v3, v3, 0, s[10:11]
	v_cndmask_b32_e64 v2, v2, v36, s[4:5]
	;; [unrolled: 1-line block ×6, first 2 shown]
	v_or_b32_e32 v3, v3, v6
	v_cndmask_b32_e64 v5, v5, v37, s[2:3]
	v_cndmask_b32_e64 v1, v1, 0, s[40:41]
	v_cmp_eq_u32_e32 vcc, 0, v38
	v_or_b32_e32 v2, v7, v2
	v_cndmask_b32_e64 v5, v5, 0, s[38:39]
	v_cndmask_b32_e64 v0, v0, 0, s[36:37]
	v_or3_b32 v1, v3, v1, v4
	v_add_u32_e32 v19, 32, v19
	v_add_u32_e32 v18, 32, v18
	s_or_b64 s[28:29], vcc, s[28:29]
	v_or3_b32 v0, v2, v5, v0
	global_store_dword v[40:41], v1, off
	global_store_dword v[42:43], v0, off
	s_andn2_b64 exec, exec, s[28:29]
	s_cbranch_execnz .LBB10_34
; %bb.35:
	s_or_b64 exec, exec, s[28:29]
	v_cmp_ne_u32_e32 vcc, v27, v28
	v_lshl_or_b32 v4, v28, 4, v8
	s_and_b64 s[0:1], vcc, exec
	s_andn2_saveexec_b64 s[2:3], s[26:27]
	s_cbranch_execz .LBB10_32
.LBB10_36:
	v_lshlrev_b32_e32 v25, 2, v20
	v_lshlrev_b32_e32 v26, 2, v14
	s_or_b64 s[0:1], s[0:1], exec
	v_mov_b32_e32 v4, v8
	s_or_b64 exec, exec, s[2:3]
	s_and_b64 exec, exec, s[0:1]
	s_cbranch_execz .LBB10_71
.LBB10_37:
	v_lshl_add_u32 v0, v4, 4, v25
	v_add_co_u32_e32 v2, vcc, v14, v12
	v_mov_b32_e32 v5, 0
	v_add3_u32 v9, v0, v26, 0
	v_addc_co_u32_e32 v3, vcc, v11, v13, vcc
	v_lshlrev_b64 v[0:1], 2, v[4:5]
	v_add_co_u32_e32 v0, vcc, v2, v0
	v_addc_co_u32_e32 v1, vcc, v3, v1, vcc
	v_mov_b32_e32 v2, s21
	v_add_co_u32_e32 v6, vcc, s20, v0
	v_addc_co_u32_e32 v7, vcc, v2, v1, vcc
	s_mov_b64 s[0:1], 0
	v_max_f32_e64 v5, s18, s18
	v_max_f32_e64 v15, s19, s19
	s_mov_b32 s8, 0x43800000
	s_mov_b32 s9, 0x3bffffff
	;; [unrolled: 1-line block ×4, first 2 shown]
	s_movk_i32 s12, 0x80
	s_mov_b32 s13, 0x4020c0c
	s_branch .LBB10_40
.LBB10_38:                              ;   in Loop: Header=BB10_40 Depth=1
	s_or_b64 exec, exec, s[6:7]
.LBB10_39:                              ;   in Loop: Header=BB10_40 Depth=1
	s_or_b64 exec, exec, s[2:3]
	v_lshlrev_b32_e32 v2, 16, v2
	v_perm_b32 v1, v1, v2, s13
	v_lshlrev_b32_e32 v2, 8, v16
	v_and_b32_e32 v2, 0xff00, v2
	v_and_b32_e32 v0, 0xff, v0
	v_add_u32_e32 v4, 16, v4
	v_or3_b32 v0, v1, v2, v0
	v_cmp_ge_i32_e32 vcc, v4, v24
	global_store_dword v[6:7], v0, off
	s_or_b64 s[0:1], vcc, s[0:1]
	v_add_co_u32_e32 v6, vcc, 64, v6
	v_add_u32_e32 v9, 0x100, v9
	v_addc_co_u32_e32 v7, vcc, 0, v7, vcc
	s_andn2_b64 exec, exec, s[0:1]
	s_cbranch_execz .LBB10_71
.LBB10_40:                              ; =>This Inner Loop Header: Depth=1
	ds_read_b128 v[0:3], v9
	v_mov_b32_e32 v16, 0x80
	s_waitcnt lgkmcnt(0)
	v_div_scale_f32 v17, s[2:3], v10, v10, v0
	v_rcp_f32_e32 v18, v17
	v_div_scale_f32 v19, vcc, v0, v10, v0
	v_fma_f32 v25, -v17, v18, 1.0
	v_fmac_f32_e32 v18, v25, v18
	v_mul_f32_e32 v25, v19, v18
	v_fma_f32 v26, -v17, v25, v19
	v_fmac_f32_e32 v25, v26, v18
	v_fma_f32 v17, -v17, v25, v19
	v_div_fmas_f32 v17, v17, v18, v25
	v_div_fixup_f32 v0, v17, v10, v0
	v_max_f32_e32 v0, v0, v5
	v_min_f32_e32 v17, v0, v15
	v_and_b32_e32 v18, 0x7fffffff, v17
	v_cmp_gt_u32_e32 vcc, s8, v18
	v_mov_b32_e32 v0, 0x80
	s_and_saveexec_b64 s[2:3], vcc
	s_cbranch_execz .LBB10_46
; %bb.41:                               ;   in Loop: Header=BB10_40 Depth=1
	v_cmp_lt_u32_e32 vcc, s9, v18
	s_mov_b64 s[4:5], 0
                                        ; implicit-def: $vgpr18
	s_and_saveexec_b64 s[6:7], vcc
	s_xor_b64 s[6:7], exec, s[6:7]
	s_cbranch_execnz .LBB10_62
; %bb.42:                               ;   in Loop: Header=BB10_40 Depth=1
	s_or_saveexec_b64 s[6:7], s[6:7]
                                        ; implicit-def: $sgpr14
	s_xor_b64 exec, exec, s[6:7]
	s_cbranch_execnz .LBB10_63
.LBB10_43:                              ;   in Loop: Header=BB10_40 Depth=1
	s_or_b64 exec, exec, s[6:7]
	v_mov_b32_e32 v0, s14
	s_and_saveexec_b64 s[6:7], s[4:5]
.LBB10_44:                              ;   in Loop: Header=BB10_40 Depth=1
	v_lshrrev_b32_e32 v0, 24, v17
	v_and_or_b32 v0, v0, s12, v18
.LBB10_45:                              ;   in Loop: Header=BB10_40 Depth=1
	s_or_b64 exec, exec, s[6:7]
.LBB10_46:                              ;   in Loop: Header=BB10_40 Depth=1
	s_or_b64 exec, exec, s[2:3]
	v_div_scale_f32 v17, s[2:3], v10, v10, v1
	v_rcp_f32_e32 v18, v17
	v_div_scale_f32 v19, vcc, v1, v10, v1
	v_fma_f32 v25, -v17, v18, 1.0
	v_fmac_f32_e32 v18, v25, v18
	v_mul_f32_e32 v25, v19, v18
	v_fma_f32 v26, -v17, v25, v19
	v_fmac_f32_e32 v25, v26, v18
	v_fma_f32 v17, -v17, v25, v19
	v_div_fmas_f32 v17, v17, v18, v25
	v_div_fixup_f32 v1, v17, v10, v1
	v_max_f32_e32 v1, v1, v5
	v_min_f32_e32 v1, v1, v15
	v_and_b32_e32 v17, 0x7fffffff, v1
	v_cmp_gt_u32_e32 vcc, s8, v17
	s_and_saveexec_b64 s[2:3], vcc
	s_cbranch_execz .LBB10_52
; %bb.47:                               ;   in Loop: Header=BB10_40 Depth=1
	v_cmp_lt_u32_e32 vcc, s9, v17
	s_mov_b64 s[4:5], 0
                                        ; implicit-def: $vgpr17
	s_and_saveexec_b64 s[6:7], vcc
	s_xor_b64 s[6:7], exec, s[6:7]
	s_cbranch_execnz .LBB10_64
; %bb.48:                               ;   in Loop: Header=BB10_40 Depth=1
	s_or_saveexec_b64 s[6:7], s[6:7]
                                        ; implicit-def: $sgpr14
	s_xor_b64 exec, exec, s[6:7]
	s_cbranch_execnz .LBB10_65
.LBB10_49:                              ;   in Loop: Header=BB10_40 Depth=1
	s_or_b64 exec, exec, s[6:7]
	v_mov_b32_e32 v16, s14
	s_and_saveexec_b64 s[6:7], s[4:5]
.LBB10_50:                              ;   in Loop: Header=BB10_40 Depth=1
	v_lshrrev_b32_e32 v1, 24, v1
	v_and_or_b32 v16, v1, s12, v17
.LBB10_51:                              ;   in Loop: Header=BB10_40 Depth=1
	s_or_b64 exec, exec, s[6:7]
.LBB10_52:                              ;   in Loop: Header=BB10_40 Depth=1
	s_or_b64 exec, exec, s[2:3]
	v_div_scale_f32 v1, s[2:3], v10, v10, v2
	v_rcp_f32_e32 v17, v1
	v_div_scale_f32 v18, vcc, v2, v10, v2
	v_fma_f32 v19, -v1, v17, 1.0
	v_fmac_f32_e32 v17, v19, v17
	v_mul_f32_e32 v19, v18, v17
	v_fma_f32 v25, -v1, v19, v18
	v_fmac_f32_e32 v19, v25, v17
	v_fma_f32 v1, -v1, v19, v18
	v_div_fmas_f32 v1, v1, v17, v19
	v_div_fixup_f32 v1, v1, v10, v2
	v_max_f32_e32 v1, v1, v5
	v_min_f32_e32 v17, v1, v15
	v_and_b32_e32 v18, 0x7fffffff, v17
	v_cmp_gt_u32_e32 vcc, s8, v18
	v_mov_b32_e32 v1, 0x80
	v_mov_b32_e32 v2, 0x80
	s_and_saveexec_b64 s[2:3], vcc
	s_cbranch_execz .LBB10_58
; %bb.53:                               ;   in Loop: Header=BB10_40 Depth=1
	v_cmp_lt_u32_e32 vcc, s9, v18
	s_mov_b64 s[4:5], 0
                                        ; implicit-def: $vgpr18
	s_and_saveexec_b64 s[6:7], vcc
	s_xor_b64 s[6:7], exec, s[6:7]
	s_cbranch_execnz .LBB10_66
; %bb.54:                               ;   in Loop: Header=BB10_40 Depth=1
	s_or_saveexec_b64 s[6:7], s[6:7]
                                        ; implicit-def: $sgpr14
	s_xor_b64 exec, exec, s[6:7]
	s_cbranch_execnz .LBB10_67
.LBB10_55:                              ;   in Loop: Header=BB10_40 Depth=1
	s_or_b64 exec, exec, s[6:7]
	v_mov_b32_e32 v2, s14
	s_and_saveexec_b64 s[6:7], s[4:5]
.LBB10_56:                              ;   in Loop: Header=BB10_40 Depth=1
	v_lshrrev_b32_e32 v2, 24, v17
	v_and_or_b32 v2, v2, s12, v18
.LBB10_57:                              ;   in Loop: Header=BB10_40 Depth=1
	s_or_b64 exec, exec, s[6:7]
.LBB10_58:                              ;   in Loop: Header=BB10_40 Depth=1
	s_or_b64 exec, exec, s[2:3]
	v_div_scale_f32 v17, s[2:3], v10, v10, v3
	v_rcp_f32_e32 v18, v17
	v_div_scale_f32 v19, vcc, v3, v10, v3
	v_fma_f32 v25, -v17, v18, 1.0
	v_fmac_f32_e32 v18, v25, v18
	v_mul_f32_e32 v25, v19, v18
	v_fma_f32 v26, -v17, v25, v19
	v_fmac_f32_e32 v25, v26, v18
	v_fma_f32 v17, -v17, v25, v19
	v_div_fmas_f32 v17, v17, v18, v25
	v_div_fixup_f32 v3, v17, v10, v3
	v_max_f32_e32 v3, v3, v5
	v_min_f32_e32 v3, v3, v15
	v_and_b32_e32 v17, 0x7fffffff, v3
	v_cmp_gt_u32_e32 vcc, s8, v17
	s_and_saveexec_b64 s[2:3], vcc
	s_cbranch_execz .LBB10_39
; %bb.59:                               ;   in Loop: Header=BB10_40 Depth=1
	v_cmp_lt_u32_e32 vcc, s9, v17
	s_mov_b64 s[4:5], 0
                                        ; implicit-def: $vgpr17
	s_and_saveexec_b64 s[6:7], vcc
	s_xor_b64 s[6:7], exec, s[6:7]
	s_cbranch_execnz .LBB10_68
; %bb.60:                               ;   in Loop: Header=BB10_40 Depth=1
	s_or_saveexec_b64 s[6:7], s[6:7]
                                        ; implicit-def: $sgpr14
	s_xor_b64 exec, exec, s[6:7]
	s_cbranch_execnz .LBB10_69
.LBB10_61:                              ;   in Loop: Header=BB10_40 Depth=1
	s_or_b64 exec, exec, s[6:7]
	v_mov_b32_e32 v1, s14
	s_and_saveexec_b64 s[6:7], s[4:5]
	s_cbranch_execz .LBB10_38
	s_branch .LBB10_70
.LBB10_62:                              ;   in Loop: Header=BB10_40 Depth=1
	v_bfe_u32 v0, v17, 20, 1
	v_add3_u32 v0, v17, v0, s10
	s_mov_b64 s[4:5], exec
	v_lshrrev_b32_e32 v18, 20, v0
	s_or_saveexec_b64 s[6:7], s[6:7]
                                        ; implicit-def: $sgpr14
	s_xor_b64 exec, exec, s[6:7]
	s_cbranch_execz .LBB10_43
.LBB10_63:                              ;   in Loop: Header=BB10_40 Depth=1
	v_add_f32_e64 v0, |v17|, s11
	v_and_b32_e32 v18, 0xff, v0
	v_cmp_ne_u32_e32 vcc, 0, v18
	s_andn2_b64 s[4:5], s[4:5], exec
	s_and_b64 s[16:17], vcc, exec
	s_mov_b32 s14, 0
	s_or_b64 s[4:5], s[4:5], s[16:17]
	s_or_b64 exec, exec, s[6:7]
	v_mov_b32_e32 v0, s14
	s_and_saveexec_b64 s[6:7], s[4:5]
	s_cbranch_execnz .LBB10_44
	s_branch .LBB10_45
.LBB10_64:                              ;   in Loop: Header=BB10_40 Depth=1
	v_bfe_u32 v16, v1, 20, 1
	v_add3_u32 v16, v1, v16, s10
	s_mov_b64 s[4:5], exec
	v_lshrrev_b32_e32 v17, 20, v16
	s_or_saveexec_b64 s[6:7], s[6:7]
                                        ; implicit-def: $sgpr14
	s_xor_b64 exec, exec, s[6:7]
	s_cbranch_execz .LBB10_49
.LBB10_65:                              ;   in Loop: Header=BB10_40 Depth=1
	v_add_f32_e64 v16, |v1|, s11
	v_and_b32_e32 v17, 0xff, v16
	v_cmp_ne_u32_e32 vcc, 0, v17
	s_andn2_b64 s[4:5], s[4:5], exec
	s_and_b64 s[16:17], vcc, exec
	s_mov_b32 s14, 0
	s_or_b64 s[4:5], s[4:5], s[16:17]
	s_or_b64 exec, exec, s[6:7]
	v_mov_b32_e32 v16, s14
	s_and_saveexec_b64 s[6:7], s[4:5]
	s_cbranch_execnz .LBB10_50
	s_branch .LBB10_51
.LBB10_66:                              ;   in Loop: Header=BB10_40 Depth=1
	v_bfe_u32 v2, v17, 20, 1
	v_add3_u32 v2, v17, v2, s10
	s_mov_b64 s[4:5], exec
	v_lshrrev_b32_e32 v18, 20, v2
	s_or_saveexec_b64 s[6:7], s[6:7]
                                        ; implicit-def: $sgpr14
	s_xor_b64 exec, exec, s[6:7]
	s_cbranch_execz .LBB10_55
.LBB10_67:                              ;   in Loop: Header=BB10_40 Depth=1
	v_add_f32_e64 v2, |v17|, s11
	v_and_b32_e32 v18, 0xff, v2
	v_cmp_ne_u32_e32 vcc, 0, v18
	s_andn2_b64 s[4:5], s[4:5], exec
	s_and_b64 s[16:17], vcc, exec
	s_mov_b32 s14, 0
	s_or_b64 s[4:5], s[4:5], s[16:17]
	s_or_b64 exec, exec, s[6:7]
	v_mov_b32_e32 v2, s14
	s_and_saveexec_b64 s[6:7], s[4:5]
	s_cbranch_execnz .LBB10_56
	s_branch .LBB10_57
.LBB10_68:                              ;   in Loop: Header=BB10_40 Depth=1
	v_bfe_u32 v1, v3, 20, 1
	v_add3_u32 v1, v3, v1, s10
	s_mov_b64 s[4:5], exec
	v_lshrrev_b32_e32 v17, 20, v1
	s_or_saveexec_b64 s[6:7], s[6:7]
                                        ; implicit-def: $sgpr14
	s_xor_b64 exec, exec, s[6:7]
	s_cbranch_execz .LBB10_61
.LBB10_69:                              ;   in Loop: Header=BB10_40 Depth=1
	v_add_f32_e64 v1, |v3|, s11
	v_and_b32_e32 v17, 0xff, v1
	v_cmp_ne_u32_e32 vcc, 0, v17
	s_andn2_b64 s[4:5], s[4:5], exec
	s_and_b64 s[16:17], vcc, exec
	s_mov_b32 s14, 0
	s_or_b64 s[4:5], s[4:5], s[16:17]
	s_or_b64 exec, exec, s[6:7]
	v_mov_b32_e32 v1, s14
	s_and_saveexec_b64 s[6:7], s[4:5]
	s_cbranch_execz .LBB10_38
.LBB10_70:                              ;   in Loop: Header=BB10_40 Depth=1
	v_lshrrev_b32_e32 v1, 24, v3
	v_and_or_b32 v1, v1, s12, v17
	s_branch .LBB10_38
.LBB10_71:
	s_or_b64 exec, exec, s[24:25]
	v_lshlrev_b32_e32 v2, 2, v24
	v_add_u32_e32 v0, v2, v8
	v_cmp_lt_i32_e32 vcc, v0, v21
	s_and_saveexec_b64 s[10:11], vcc
	s_cbranch_execz .LBB10_89
; %bb.72:
	v_add_u32_e32 v1, 16, v0
	v_max_i32_e32 v3, v1, v21
	v_xad_u32 v3, v8, -1, v3
	v_sub_u32_e32 v3, v3, v2
	v_cmp_lt_u32_e32 vcc, 15, v3
	s_mov_b64 s[0:1], 0
	v_lshlrev_b32_e32 v2, 2, v14
                                        ; implicit-def: $vgpr6
	s_and_saveexec_b64 s[2:3], vcc
	s_xor_b64 s[12:13], exec, s[2:3]
	s_cbranch_execnz .LBB10_75
; %bb.73:
	s_andn2_saveexec_b64 s[2:3], s[12:13]
	s_cbranch_execnz .LBB10_78
.LBB10_74:
	s_or_b64 exec, exec, s[2:3]
	s_and_b64 exec, exec, s[0:1]
	s_cbranch_execnz .LBB10_79
	s_branch .LBB10_89
.LBB10_75:
	v_lshrrev_b32_e32 v2, 4, v3
	v_add_u32_e32 v7, 1, v2
	v_lshlrev_b32_e32 v6, 2, v20
	v_lshlrev_b32_e32 v4, 4, v24
	v_lshlrev_b32_e32 v2, 2, v14
	v_and_b32_e32 v9, 0x1ffffffe, v7
	s_mov_b32 s0, s18
	s_mov_b32 s1, s18
	;; [unrolled: 1-line block ×4, first 2 shown]
	v_add3_u32 v4, v6, v4, v2
	v_lshlrev_b32_e32 v5, 2, v8
	v_mov_b32_e32 v3, v10
	v_add3_u32 v8, v4, v5, 0
	s_mov_b64 s[14:15], 0
	v_max_f32_e64 v15, s1, s1
	v_max_f32_e64 v16, s0, s0
	;; [unrolled: 1-line block ×4, first 2 shown]
	s_mov_b32 s17, 0x43800000
	s_brev_b32 s24, 60
	s_mov_b32 s25, 0x487ffff
	s_mov_b32 s16, 0x46000000
	s_movk_i32 s26, 0x80
	v_mov_b32_e32 v19, 0xffffff80
	v_mov_b32_e32 v20, 0
	;; [unrolled: 1-line block ×3, first 2 shown]
	v_pk_mov_b32 v[4:5], v[0:1], v[0:1] op_sel:[0,1]
.LBB10_76:                              ; =>This Inner Loop Header: Depth=1
	ds_read2_b32 v[28:29], v8 offset1:16
	v_ashrrev_i32_e32 v25, 31, v4
	v_add_co_u32_e32 v30, vcc, v22, v4
	v_mov_b32_e32 v26, v5
	v_addc_co_u32_e32 v31, vcc, v23, v25, vcc
	v_ashrrev_i32_e32 v1, 31, v5
	v_add_co_u32_e32 v26, vcc, v22, v26
	v_addc_co_u32_e32 v27, vcc, v23, v1, vcc
	s_waitcnt lgkmcnt(0)
	v_div_scale_f32 v1, s[2:3], v10, v10, v28
	v_div_scale_f32 v32, s[2:3], v3, v3, v29
	v_rcp_f32_e32 v34, v1
	v_rcp_f32_e32 v35, v32
	v_div_scale_f32 v25, vcc, v28, v10, v28
	v_fma_f32 v36, -v1, v34, 1.0
	v_fma_f32 v37, -v32, v35, 1.0
	v_fmac_f32_e32 v34, v36, v34
	v_div_scale_f32 v33, s[2:3], v29, v3, v29
	v_fmac_f32_e32 v35, v37, v35
	v_mul_f32_e32 v36, v25, v34
	v_mul_f32_e32 v37, v33, v35
	v_fma_f32 v38, -v1, v36, v25
	v_fma_f32 v39, -v32, v37, v33
	v_fmac_f32_e32 v36, v38, v34
	v_fmac_f32_e32 v37, v39, v35
	v_fma_f32 v1, -v1, v36, v25
	v_fma_f32 v25, -v32, v37, v33
	v_div_fmas_f32 v1, v1, v34, v36
	s_mov_b64 vcc, s[2:3]
	v_div_fixup_f32 v1, v1, v10, v28
	v_div_fmas_f32 v25, v25, v35, v37
	v_div_fixup_f32 v25, v25, v3, v29
	v_max_f32_e32 v1, v1, v16
	v_max_f32_e32 v25, v25, v15
	v_min_f32_e32 v1, v1, v17
	v_min_f32_e32 v25, v25, v18
	v_and_b32_e32 v28, 0x7fffffff, v1
	v_bfe_u32 v32, v1, 20, 1
	v_lshrrev_b32_e32 v33, 24, v1
	v_and_b32_e32 v29, 0x7fffffff, v25
	v_cmp_gt_u32_e32 vcc, s17, v28
	v_cmp_gt_u32_e64 s[2:3], s24, v28
	v_bfe_u32 v34, v25, 20, 1
	v_add3_u32 v1, v1, v32, s25
	v_lshrrev_b32_e32 v32, 24, v25
	v_cmp_gt_u32_e64 s[4:5], s17, v29
	v_cmp_gt_u32_e64 s[6:7], s24, v29
	v_add3_u32 v25, v25, v34, s25
	v_lshrrev_b32_e32 v1, 20, v1
	v_pk_add_f32 v[28:29], v[28:29], s[16:17] op_sel_hi:[1,0]
	s_xor_b64 s[8:9], s[2:3], vcc
	v_lshrrev_b32_e32 v25, 20, v25
	v_cndmask_b32_e64 v1, v28, v1, s[8:9]
	s_xor_b64 s[8:9], s[6:7], s[4:5]
	v_cmp_eq_u32_sdwa s[34:35], v28, v20 src0_sel:BYTE_0 src1_sel:DWORD
	v_cndmask_b32_e64 v25, v29, v25, s[8:9]
	v_and_or_b32 v1, v33, s26, v1
	v_add_u32_e32 v24, -2, v24
	v_cmp_eq_u32_sdwa s[28:29], v29, v20 src0_sel:BYTE_0 src1_sel:DWORD
	v_and_or_b32 v25, v32, s26, v25
	v_cndmask_b32_e32 v1, v19, v1, vcc
	s_and_b64 s[2:3], s[2:3], s[34:35]
	v_cmp_eq_u32_e64 s[0:1], 0, v24
	v_cndmask_b32_e64 v25, v19, v25, s[4:5]
	v_cndmask_b32_e64 v1, v1, 0, s[2:3]
	s_and_b64 s[2:3], s[6:7], s[28:29]
	v_add_u32_e32 v5, 32, v5
	v_add_u32_e32 v4, 32, v4
	;; [unrolled: 1-line block ×3, first 2 shown]
	v_cndmask_b32_e64 v25, v25, 0, s[2:3]
	s_or_b64 s[14:15], s[0:1], s[14:15]
	global_store_byte v[30:31], v1, off
	global_store_byte v[26:27], v25, off
	s_andn2_b64 exec, exec, s[14:15]
	s_cbranch_execnz .LBB10_76
; %bb.77:
	s_or_b64 exec, exec, s[14:15]
	v_cmp_ne_u32_e32 vcc, v7, v9
	v_lshl_add_u32 v0, v9, 4, v0
	s_and_b64 s[0:1], vcc, exec
                                        ; implicit-def: $vgpr20
	s_andn2_saveexec_b64 s[2:3], s[12:13]
	s_cbranch_execz .LBB10_74
.LBB10_78:
	v_lshlrev_b32_e32 v6, 2, v20
	s_or_b64 s[0:1], s[0:1], exec
	s_or_b64 exec, exec, s[2:3]
	s_and_b64 exec, exec, s[0:1]
	s_cbranch_execz .LBB10_89
.LBB10_79:
	v_lshl_add_u32 v1, v0, 2, v6
	v_add3_u32 v1, v1, v2, 0
	v_add_co_u32_e32 v2, vcc, v14, v12
	v_addc_co_u32_e32 v3, vcc, v11, v13, vcc
	v_ashrrev_i32_e32 v4, 31, v0
	v_add_co_u32_e32 v2, vcc, v2, v0
	v_addc_co_u32_e32 v3, vcc, v3, v4, vcc
	v_mov_b32_e32 v4, s21
	v_add_co_u32_e32 v2, vcc, s20, v2
	v_addc_co_u32_e32 v3, vcc, v4, v3, vcc
	s_mov_b64 s[0:1], 0
	v_max_f32_e64 v4, s18, s18
	v_max_f32_e64 v5, s19, s19
	s_mov_b32 s8, 0x43800000
	s_mov_b32 s9, 0x3bffffff
	;; [unrolled: 1-line block ×4, first 2 shown]
	s_movk_i32 s14, 0x80
	s_branch .LBB10_82
.LBB10_80:                              ;   in Loop: Header=BB10_82 Depth=1
	s_or_b64 exec, exec, s[6:7]
.LBB10_81:                              ;   in Loop: Header=BB10_82 Depth=1
	s_or_b64 exec, exec, s[2:3]
	v_add_u32_e32 v0, 16, v0
	v_cmp_ge_i32_e32 vcc, v0, v21
	global_store_byte v[2:3], v8, off
	s_or_b64 s[0:1], vcc, s[0:1]
	v_add_co_u32_e32 v2, vcc, 16, v2
	v_add_u32_e32 v1, 64, v1
	v_addc_co_u32_e32 v3, vcc, 0, v3, vcc
	s_andn2_b64 exec, exec, s[0:1]
	s_cbranch_execz .LBB10_89
.LBB10_82:                              ; =>This Inner Loop Header: Depth=1
	ds_read_b32 v6, v1
	s_waitcnt lgkmcnt(0)
	v_div_scale_f32 v7, s[2:3], v10, v10, v6
	v_rcp_f32_e32 v8, v7
	v_div_scale_f32 v9, vcc, v6, v10, v6
	v_fma_f32 v11, -v7, v8, 1.0
	v_fmac_f32_e32 v8, v11, v8
	v_mul_f32_e32 v11, v9, v8
	v_fma_f32 v12, -v7, v11, v9
	v_fmac_f32_e32 v11, v12, v8
	v_fma_f32 v7, -v7, v11, v9
	v_div_fmas_f32 v7, v7, v8, v11
	v_div_fixup_f32 v6, v7, v10, v6
	v_max_f32_e32 v6, v6, v4
	v_min_f32_e32 v6, v6, v5
	v_and_b32_e32 v7, 0x7fffffff, v6
	v_cmp_gt_u32_e32 vcc, s8, v7
	v_mov_b32_e32 v8, 0x80
	s_and_saveexec_b64 s[2:3], vcc
	s_cbranch_execz .LBB10_81
; %bb.83:                               ;   in Loop: Header=BB10_82 Depth=1
	v_cmp_lt_u32_e32 vcc, s9, v7
	s_mov_b64 s[4:5], 0
                                        ; implicit-def: $vgpr7
	s_and_saveexec_b64 s[6:7], vcc
	s_xor_b64 s[6:7], exec, s[6:7]
	s_cbranch_execnz .LBB10_86
; %bb.84:                               ;   in Loop: Header=BB10_82 Depth=1
	s_or_saveexec_b64 s[6:7], s[6:7]
                                        ; implicit-def: $sgpr15
	s_xor_b64 exec, exec, s[6:7]
	s_cbranch_execnz .LBB10_87
.LBB10_85:                              ;   in Loop: Header=BB10_82 Depth=1
	s_or_b64 exec, exec, s[6:7]
	v_mov_b32_e32 v8, s15
	s_and_saveexec_b64 s[6:7], s[4:5]
	s_cbranch_execz .LBB10_80
	s_branch .LBB10_88
.LBB10_86:                              ;   in Loop: Header=BB10_82 Depth=1
	v_bfe_u32 v7, v6, 20, 1
	v_add3_u32 v7, v6, v7, s12
	s_mov_b64 s[4:5], exec
	v_lshrrev_b32_e32 v7, 20, v7
	s_or_saveexec_b64 s[6:7], s[6:7]
                                        ; implicit-def: $sgpr15
	s_xor_b64 exec, exec, s[6:7]
	s_cbranch_execz .LBB10_85
.LBB10_87:                              ;   in Loop: Header=BB10_82 Depth=1
	v_add_f32_e64 v7, |v6|, s13
	v_and_b32_e32 v7, 0xff, v7
	v_cmp_ne_u32_e32 vcc, 0, v7
	s_andn2_b64 s[4:5], s[4:5], exec
	s_and_b64 s[16:17], vcc, exec
	s_mov_b32 s15, 0
	s_or_b64 s[4:5], s[4:5], s[16:17]
	s_or_b64 exec, exec, s[6:7]
	v_mov_b32_e32 v8, s15
	s_and_saveexec_b64 s[6:7], s[4:5]
	s_cbranch_execz .LBB10_80
.LBB10_88:                              ;   in Loop: Header=BB10_82 Depth=1
	v_lshrrev_b32_e32 v6, 24, v6
	v_and_or_b32 v8, v6, s14, v7
	s_branch .LBB10_80
.LBB10_89:
	s_or_b64 exec, exec, s[10:11]
                                        ; implicit-def: $vgpr8
                                        ; implicit-def: $vgpr20
                                        ; implicit-def: $vgpr10
                                        ; implicit-def: $vgpr18
                                        ; implicit-def: $vgpr19
                                        ; implicit-def: $vgpr12_vgpr13
.LBB10_90:
	s_andn2_saveexec_b64 s[0:1], s[22:23]
	s_cbranch_execz .LBB10_133
; %bb.91:
	s_ashr_i32 s27, s31, 2
	v_cmp_gt_i32_e32 vcc, s27, v8
	s_and_saveexec_b64 s[0:1], vcc
	s_cbranch_execz .LBB10_133
; %bb.92:
	v_xad_u32 v0, v8, -1, s27
	v_cmp_lt_u32_e32 vcc, 15, v0
	s_mov_b64 s[0:1], 0
	v_lshlrev_b32_e32 v21, 2, v20
	s_and_saveexec_b64 s[2:3], vcc
	s_xor_b64 s[22:23], exec, s[2:3]
	s_cbranch_execnz .LBB10_95
; %bb.93:
	s_andn2_saveexec_b64 s[2:3], s[22:23]
	s_cbranch_execnz .LBB10_98
.LBB10_94:
	s_or_b64 exec, exec, s[2:3]
	s_and_b64 exec, exec, s[0:1]
	s_cbranch_execnz .LBB10_99
	s_branch .LBB10_133
.LBB10_95:
	v_lshrrev_b32_e32 v0, 4, v0
	v_add_u32_e32 v22, 1, v0
	v_and_b32_e32 v23, 0x1ffffffe, v22
	v_or_b32_e32 v9, 16, v8
	s_mov_b32 s0, s18
	s_mov_b32 s1, s18
	;; [unrolled: 1-line block ×4, first 2 shown]
	v_lshlrev_b32_e32 v21, 2, v20
	v_lshlrev_b32_e32 v0, 4, v8
	v_mov_b32_e32 v11, v10
	v_add3_u32 v20, v21, v0, 0
	s_mov_b64 s[24:25], 0
	v_max_f32_e64 v24, s1, s1
	v_max_f32_e64 v25, s0, s0
	;; [unrolled: 1-line block ×4, first 2 shown]
	s_mov_b32 s33, 0x437fffff
	s_brev_b32 s42, 60
	s_mov_b32 s43, 0x487ffff
	s_mov_b32 s26, 0x46000000
	s_movk_i32 s44, 0xff
	s_movk_i32 s45, 0x80
	v_mov_b32_e32 v28, 0x80
	s_mov_b32 s46, 0x43800000
	s_mov_b32 s47, 0x3bffffff
	s_brev_b32 s48, 1
	v_bfrev_b32_e32 v29, 1
	v_mov_b32_e32 v30, 0x800000
	v_mov_b32_e32 v31, 0x8000
	;; [unrolled: 1-line block ×4, first 2 shown]
	v_pk_mov_b32 v[16:17], v[8:9], v[8:9] op_sel:[0,1]
.LBB10_96:                              ; =>This Inner Loop Header: Depth=1
	ds_read_b128 v[4:7], v20
	ds_read_b128 v[0:3], v20 offset:256
	v_add_u32_e32 v32, -2, v32
	v_add_u32_e32 v20, 0x200, v20
	s_waitcnt lgkmcnt(1)
	v_div_scale_f32 v9, s[0:1], v10, v10, v4
	v_rcp_f32_e32 v14, v9
	v_fma_f32 v33, -v9, v14, 1.0
	v_fmac_f32_e32 v14, v33, v14
	v_div_scale_f32 v33, vcc, v4, v10, v4
	v_mul_f32_e32 v34, v33, v14
	v_fma_f32 v35, -v9, v34, v33
	v_fmac_f32_e32 v34, v35, v14
	v_fma_f32 v9, -v9, v34, v33
	v_div_fmas_f32 v9, v9, v14, v34
	v_div_fixup_f32 v4, v9, v10, v4
	s_waitcnt lgkmcnt(0)
	v_div_scale_f32 v9, s[0:1], v11, v11, v0
	v_rcp_f32_e32 v14, v9
	v_max_f32_e32 v4, v4, v25
	v_min_f32_e32 v4, v4, v26
	v_fma_f32 v33, -v9, v14, 1.0
	v_fmac_f32_e32 v14, v33, v14
	v_div_scale_f32 v33, vcc, v0, v11, v0
	v_mul_f32_e32 v34, v33, v14
	v_fma_f32 v35, -v9, v34, v33
	v_fmac_f32_e32 v34, v35, v14
	v_fma_f32 v9, -v9, v34, v33
	v_div_fmas_f32 v9, v9, v14, v34
	v_div_fixup_f32 v0, v9, v11, v0
	v_max_f32_e32 v0, v0, v24
	v_min_f32_e32 v0, v0, v27
	v_and_b32_e32 v35, 0x7fffffff, v0
	v_and_b32_e32 v34, 0x7fffffff, v4
	v_cmp_lt_u32_e32 vcc, s33, v35
	v_cmp_lt_u32_e64 s[0:1], s33, v34
	v_cmp_gt_u32_e64 s[2:3], s42, v35
	v_cmp_gt_u32_e64 s[4:5], s42, v34
	v_bfe_u32 v9, v4, 20, 1
	v_pk_add_f32 v[34:35], v[34:35], s[26:27] op_sel_hi:[1,0]
	s_xor_b64 s[6:7], s[4:5], s[0:1]
	v_add3_u32 v9, v4, v9, s43
	v_cmp_ne_u32_sdwa s[28:29], v34, v15 src0_sel:BYTE_0 src1_sel:DWORD
	s_xor_b64 s[12:13], s[6:7], -1
	v_bfe_u32 v14, v0, 20, 1
	v_lshrrev_b32_e32 v9, 20, v9
	v_cmp_eq_u32_sdwa s[16:17], v34, v15 src0_sel:BYTE_0 src1_sel:DWORD
	s_and_b64 s[28:29], s[4:5], s[28:29]
	s_xor_b64 s[8:9], s[2:3], vcc
	v_add3_u32 v14, v0, v14, s43
	v_cmp_ne_u32_sdwa s[30:31], v35, v15 src0_sel:BYTE_0 src1_sel:DWORD
	s_or_b64 s[12:13], s[28:29], s[12:13]
	v_cndmask_b32_e64 v9, v9, v34, s[6:7]
	v_and_b32_sdwa v4, v4, s45 dst_sel:DWORD dst_unused:UNUSED_PAD src0_sel:BYTE_3 src1_sel:DWORD
	s_and_b64 s[28:29], s[4:5], s[16:17]
	s_xor_b64 s[10:11], s[8:9], -1
	v_lshrrev_b32_e32 v14, 20, v14
	v_cmp_eq_u32_sdwa s[14:15], v35, v15 src0_sel:BYTE_0 src1_sel:DWORD
	s_and_b64 s[30:31], s[2:3], s[30:31]
	s_or_b64 s[4:5], s[12:13], s[28:29]
	v_and_or_b32 v4, v9, s44, v4
	s_or_b64 s[10:11], s[30:31], s[10:11]
	v_cndmask_b32_e64 v14, v14, v35, s[8:9]
	v_and_b32_sdwa v0, v0, s45 dst_sel:DWORD dst_unused:UNUSED_PAD src0_sel:BYTE_3 src1_sel:DWORD
	s_and_b64 s[30:31], s[2:3], s[14:15]
	s_or_b64 s[14:15], s[4:5], s[0:1]
	v_cndmask_b32_e64 v4, v4, v28, s[0:1]
	v_div_scale_f32 v9, s[0:1], v10, v10, v5
	v_and_or_b32 v0, v14, s44, v0
	v_rcp_f32_e32 v14, v9
	s_or_b64 s[2:3], s[10:11], s[30:31]
	s_or_b64 s[16:17], s[2:3], vcc
	v_cndmask_b32_e32 v0, v0, v28, vcc
	v_fma_f32 v33, -v9, v14, 1.0
	v_fmac_f32_e32 v14, v33, v14
	v_div_scale_f32 v33, vcc, v5, v10, v5
	v_mul_f32_e32 v34, v33, v14
	v_fma_f32 v35, -v9, v34, v33
	v_fmac_f32_e32 v34, v35, v14
	v_fma_f32 v9, -v9, v34, v33
	v_div_fmas_f32 v9, v9, v14, v34
	v_div_fixup_f32 v5, v9, v10, v5
	v_div_scale_f32 v9, s[0:1], v11, v11, v1
	v_rcp_f32_e32 v14, v9
	v_max_f32_e32 v5, v5, v25
	v_min_f32_e32 v5, v5, v26
	v_cndmask_b32_e64 v4, v4, 0, s[28:29]
	v_fma_f32 v33, -v9, v14, 1.0
	v_fmac_f32_e32 v14, v33, v14
	v_div_scale_f32 v33, vcc, v1, v11, v1
	v_mul_f32_e32 v34, v33, v14
	v_fma_f32 v35, -v9, v34, v33
	v_fmac_f32_e32 v34, v35, v14
	v_fma_f32 v9, -v9, v34, v33
	v_div_fmas_f32 v9, v9, v14, v34
	v_div_fixup_f32 v1, v9, v11, v1
	v_max_f32_e32 v1, v1, v24
	v_min_f32_e32 v1, v1, v27
	v_and_b32_e32 v35, 0x7fffffff, v1
	v_and_b32_e32 v34, 0x7fffffff, v5
	v_cmp_gt_u32_e64 s[2:3], s46, v34
	v_cmp_gt_u32_e64 s[4:5], s46, v35
	v_cmp_lt_u32_e32 vcc, s33, v35
	v_cmp_lt_u32_e64 s[0:1], s33, v34
	s_and_b64 s[10:11], s[16:17], s[4:5]
	s_and_b64 s[12:13], s[14:15], s[2:3]
	v_cmp_gt_u32_e64 s[2:3], s42, v34
	v_cmp_gt_u32_e64 s[4:5], s42, v35
	v_cmp_lt_u32_e64 s[6:7], s47, v35
	v_cmp_lt_u32_e64 s[8:9], s47, v34
	v_bfe_u32 v14, v1, 20, 1
	v_pk_add_f32 v[34:35], v[34:35], s[26:27] op_sel_hi:[1,0]
	v_bfe_u32 v9, v5, 20, 1
	v_add3_u32 v14, v1, v14, s43
	v_and_b32_e32 v34, 0xff, v34
	s_and_b64 s[8:9], s[12:13], s[8:9]
	s_and_b64 s[6:7], s[10:11], s[6:7]
	v_add3_u32 v9, v5, v9, s43
	v_lshrrev_b32_e32 v14, 20, v14
	s_and_b64 s[36:37], s[12:13], s[2:3]
	v_and_b32_e32 v33, 0xff, v35
	v_cmp_ne_u32_e64 s[12:13], 0, v34
	v_lshrrev_b32_e32 v9, 20, v9
	v_cmp_eq_u32_e64 s[2:3], 0, v34
	s_and_b64 s[12:13], s[36:37], s[12:13]
	v_cndmask_b32_e64 v14, v33, v14, s[6:7]
	v_lshrrev_b32_e32 v1, 24, v1
	s_and_b64 s[34:35], s[10:11], s[4:5]
	v_cmp_eq_u32_e64 s[4:5], 0, v33
	v_cmp_ne_u32_e64 s[10:11], 0, v33
	s_or_b64 s[12:13], s[12:13], s[8:9]
	v_cndmask_b32_e64 v9, v34, v9, s[8:9]
	v_lshrrev_b32_e32 v5, 24, v5
	v_and_or_b32 v1, v1, s45, v14
	s_and_b64 s[36:37], s[36:37], s[2:3]
	s_and_b64 s[10:11], s[34:35], s[10:11]
	v_and_or_b32 v5, v5, s45, v9
	s_and_b64 s[34:35], s[34:35], s[4:5]
	s_or_b64 s[4:5], s[12:13], s[36:37]
	s_and_b64 s[0:1], s[14:15], s[0:1]
	v_lshlrev_b32_e32 v9, 8, v1
	s_or_b64 s[52:53], s[4:5], s[0:1]
	v_lshlrev_b32_e32 v1, 8, v5
	v_and_b32_e32 v5, 0xff00, v9
	v_div_scale_f32 v9, s[4:5], v10, v10, v6
	v_rcp_f32_e32 v14, v9
	s_and_b64 s[2:3], s[16:17], vcc
	s_or_b64 s[10:11], s[10:11], s[6:7]
	s_or_b64 s[6:7], s[10:11], s[34:35]
	v_fma_f32 v33, -v9, v14, 1.0
	v_fmac_f32_e32 v14, v33, v14
	v_div_scale_f32 v33, vcc, v6, v10, v6
	v_mul_f32_e32 v34, v33, v14
	v_fma_f32 v35, -v9, v34, v33
	v_fmac_f32_e32 v34, v35, v14
	v_fma_f32 v9, -v9, v34, v33
	v_div_fmas_f32 v9, v9, v14, v34
	v_div_fixup_f32 v6, v9, v10, v6
	v_div_scale_f32 v9, s[4:5], v11, v11, v2
	v_rcp_f32_e32 v14, v9
	v_max_f32_e32 v6, v6, v25
	v_min_f32_e32 v6, v6, v26
	s_or_b64 s[50:51], s[6:7], s[2:3]
	v_fma_f32 v33, -v9, v14, 1.0
	v_fmac_f32_e32 v14, v33, v14
	v_div_scale_f32 v33, vcc, v2, v11, v2
	v_mul_f32_e32 v34, v33, v14
	v_fma_f32 v35, -v9, v34, v33
	v_fmac_f32_e32 v34, v35, v14
	v_fma_f32 v9, -v9, v34, v33
	v_div_fmas_f32 v9, v9, v14, v34
	v_div_fixup_f32 v2, v9, v11, v2
	v_max_f32_e32 v2, v2, v24
	v_min_f32_e32 v2, v2, v27
	v_and_b32_e32 v35, 0x7fffffff, v2
	v_and_b32_e32 v34, 0x7fffffff, v6
	v_cmp_gt_u32_e64 s[6:7], s46, v35
	v_cmp_gt_u32_e64 s[8:9], s46, v34
	v_cmp_lt_u32_e32 vcc, s33, v34
	v_cmp_lt_u32_e64 s[4:5], s33, v35
	s_and_b64 s[14:15], s[52:53], s[8:9]
	s_and_b64 s[16:17], s[50:51], s[6:7]
	v_cmp_gt_u32_e64 s[6:7], s42, v35
	v_cmp_gt_u32_e64 s[8:9], s42, v34
	v_cmp_lt_u32_e64 s[10:11], s47, v34
	v_cmp_lt_u32_e64 s[12:13], s47, v35
	v_pk_add_f32 v[34:35], v[34:35], s[26:27] op_sel_hi:[1,0]
	v_and_b32_e32 v33, 0xff, v34
	v_and_b32_e32 v34, 0xff, v35
	s_and_b64 s[12:13], s[16:17], s[12:13]
	v_bfe_u32 v9, v2, 20, 1
	s_and_b64 s[40:41], s[16:17], s[6:7]
	v_cmp_ne_u32_e64 s[16:17], 0, v34
	v_bfe_u32 v14, v6, 20, 1
	v_add3_u32 v9, v2, v9, s43
	v_cmp_eq_u32_e64 s[6:7], 0, v34
	s_and_b64 s[16:17], s[40:41], s[16:17]
	s_and_b64 s[10:11], s[14:15], s[10:11]
	v_add3_u32 v14, v6, v14, s43
	v_lshrrev_b32_e32 v9, 20, v9
	s_and_b64 s[38:39], s[14:15], s[8:9]
	v_cmp_eq_u32_e64 s[8:9], 0, v33
	v_cmp_ne_u32_e64 s[14:15], 0, v33
	s_or_b64 s[16:17], s[16:17], s[12:13]
	s_and_b64 s[40:41], s[40:41], s[6:7]
	v_lshrrev_b32_e32 v14, 20, v14
	s_and_b64 s[14:15], s[38:39], s[14:15]
	v_cndmask_b32_e64 v9, v34, v9, s[12:13]
	v_lshrrev_b32_e32 v2, 24, v2
	s_and_b64 s[38:39], s[38:39], s[8:9]
	s_or_b64 s[8:9], s[16:17], s[40:41]
	s_and_b64 s[4:5], s[50:51], s[4:5]
	v_cndmask_b32_e64 v14, v33, v14, s[10:11]
	v_lshrrev_b32_e32 v6, 24, v6
	v_and_or_b32 v2, v2, s45, v9
	s_and_b64 s[6:7], s[52:53], vcc
	s_or_b64 s[52:53], s[8:9], s[4:5]
	v_div_scale_f32 v9, s[8:9], v10, v10, v7
	v_and_or_b32 v6, v6, s45, v14
	v_rcp_f32_e32 v14, v9
	s_or_b64 s[14:15], s[14:15], s[10:11]
	s_or_b64 s[10:11], s[14:15], s[38:39]
	;; [unrolled: 1-line block ×3, first 2 shown]
	v_fma_f32 v33, -v9, v14, 1.0
	v_fmac_f32_e32 v14, v33, v14
	v_div_scale_f32 v33, vcc, v7, v10, v7
	v_mul_f32_e32 v34, v33, v14
	v_fma_f32 v35, -v9, v34, v33
	v_fmac_f32_e32 v34, v35, v14
	v_fma_f32 v9, -v9, v34, v33
	v_div_fmas_f32 v9, v9, v14, v34
	v_div_fixup_f32 v7, v9, v10, v7
	v_div_scale_f32 v9, s[8:9], v11, v11, v3
	v_rcp_f32_e32 v14, v9
	v_max_f32_e32 v7, v7, v25
	v_min_f32_e32 v7, v7, v26
	v_lshlrev_b32_e32 v6, 16, v6
	v_fma_f32 v33, -v9, v14, 1.0
	v_fmac_f32_e32 v14, v33, v14
	v_div_scale_f32 v33, vcc, v3, v11, v3
	v_mul_f32_e32 v34, v33, v14
	v_fma_f32 v35, -v9, v34, v33
	v_fmac_f32_e32 v34, v35, v14
	v_fma_f32 v9, -v9, v34, v33
	v_div_fmas_f32 v9, v9, v14, v34
	v_div_fixup_f32 v3, v9, v11, v3
	v_max_f32_e32 v3, v3, v24
	v_min_f32_e32 v3, v3, v27
	v_and_b32_e32 v35, 0x7fffffff, v3
	v_and_b32_e32 v34, 0x7fffffff, v7
	v_cmp_gt_u32_e64 s[12:13], s46, v35
	v_bfe_u32 v14, v3, 20, 1
	v_cmp_gt_u32_e64 s[10:11], s46, v34
	s_and_b64 s[54:55], s[52:53], s[12:13]
	v_cmp_lt_u32_e64 s[14:15], s47, v35
	v_bfe_u32 v9, v7, 20, 1
	v_add3_u32 v14, v3, v14, s43
	v_cmp_lt_u32_e32 vcc, s33, v34
	v_cmp_lt_u32_e64 s[8:9], s33, v35
	s_and_b64 s[56:57], s[50:51], s[10:11]
	v_cmp_gt_u32_e64 s[10:11], s42, v34
	v_cmp_gt_u32_e64 s[12:13], s42, v35
	v_cmp_lt_u32_e64 s[16:17], s47, v34
	s_and_b64 s[14:15], s[54:55], s[14:15]
	v_add3_u32 v9, v7, v9, s43
	v_lshrrev_b32_e32 v14, 20, v14
	v_pk_add_f32 v[34:35], v[34:35], s[26:27] op_sel_hi:[1,0]
	s_and_b64 s[16:17], s[56:57], s[16:17]
	v_lshrrev_b32_e32 v9, 20, v9
	v_cndmask_b32_e64 v14, v35, v14, s[14:15]
	v_cndmask_b32_e64 v9, v34, v9, s[16:17]
	v_lshlrev_b32_e32 v14, 24, v14
	s_and_b64 s[8:9], s[52:53], s[8:9]
	v_lshlrev_b32_e32 v9, 24, v9
	v_and_or_b32 v14, v3, s48, v14
	v_and_or_b32 v3, v7, s48, v9
	v_cndmask_b32_e64 v7, v14, v29, s[8:9]
	v_mov_b32_e32 v14, v16
	s_and_b64 s[12:13], s[54:55], s[12:13]
	s_and_b64 s[10:11], s[56:57], s[10:11]
	v_cmp_eq_u32_sdwa s[54:55], v35, v15 src0_sel:BYTE_0 src1_sel:DWORD
	v_cmp_eq_u32_sdwa s[56:57], v34, v15 src0_sel:BYTE_0 src1_sel:DWORD
	s_and_b64 vcc, s[50:51], vcc
	v_lshlrev_b64 v[34:35], 2, v[14:15]
	v_cndmask_b32_e32 v3, v3, v29, vcc
	v_add_co_u32_e32 v34, vcc, v18, v34
	v_mov_b32_e32 v14, v17
	v_lshlrev_b32_e32 v2, 16, v2
	v_and_b32_e32 v6, 0xff0000, v6
	v_addc_co_u32_e32 v35, vcc, v19, v35, vcc
	v_lshlrev_b64 v[36:37], 2, v[14:15]
	v_and_b32_e32 v1, 0xff00, v1
	v_and_b32_e32 v2, 0xff0000, v2
	s_and_b64 s[10:11], s[10:11], s[56:57]
	v_add_co_u32_e32 v36, vcc, v18, v36
	v_cndmask_b32_e64 v6, v6, v30, s[6:7]
	s_and_b64 s[12:13], s[12:13], s[54:55]
	v_addc_co_u32_e32 v37, vcc, v19, v37, vcc
	v_cndmask_b32_e64 v3, v3, 0, s[10:11]
	v_cndmask_b32_e64 v2, v2, v30, s[4:5]
	;; [unrolled: 1-line block ×6, first 2 shown]
	v_or_b32_e32 v3, v3, v6
	v_cndmask_b32_e64 v5, v5, v31, s[2:3]
	v_cndmask_b32_e64 v1, v1, 0, s[36:37]
	v_cmp_eq_u32_e32 vcc, 0, v32
	v_or_b32_e32 v2, v7, v2
	v_cndmask_b32_e64 v5, v5, 0, s[34:35]
	v_cndmask_b32_e64 v0, v0, 0, s[30:31]
	v_or3_b32 v1, v3, v1, v4
	v_add_u32_e32 v17, 32, v17
	v_add_u32_e32 v16, 32, v16
	s_or_b64 s[24:25], vcc, s[24:25]
	v_or3_b32 v0, v2, v5, v0
	global_store_dword v[34:35], v1, off
	global_store_dword v[36:37], v0, off
	s_andn2_b64 exec, exec, s[24:25]
	s_cbranch_execnz .LBB10_96
; %bb.97:
	s_or_b64 exec, exec, s[24:25]
	v_cmp_ne_u32_e32 vcc, v22, v23
	v_lshl_or_b32 v8, v23, 4, v8
	s_and_b64 s[0:1], vcc, exec
	s_andn2_saveexec_b64 s[2:3], s[22:23]
	s_cbranch_execz .LBB10_94
.LBB10_98:
	s_or_b64 s[0:1], s[0:1], exec
	s_or_b64 exec, exec, s[2:3]
	s_and_b64 exec, exec, s[0:1]
	s_cbranch_execz .LBB10_133
.LBB10_99:
	v_lshlrev_b32_e32 v0, 4, v8
	v_mov_b32_e32 v9, 0
	v_add3_u32 v6, v21, v0, 0
	v_lshlrev_b64 v[0:1], 2, v[8:9]
	v_add_co_u32_e32 v0, vcc, v12, v0
	v_addc_co_u32_e32 v1, vcc, v13, v1, vcc
	v_mov_b32_e32 v2, s21
	v_add_co_u32_e32 v4, vcc, s20, v0
	v_addc_co_u32_e32 v5, vcc, v2, v1, vcc
	s_mov_b64 s[0:1], 0
	v_max_f32_e64 v7, s18, s18
	v_max_f32_e64 v9, s19, s19
	s_mov_b32 s8, 0x43800000
	s_mov_b32 s9, 0x3bffffff
	;; [unrolled: 1-line block ×4, first 2 shown]
	s_movk_i32 s12, 0x80
	s_mov_b32 s13, 0x4020c0c
	s_branch .LBB10_102
.LBB10_100:                             ;   in Loop: Header=BB10_102 Depth=1
	s_or_b64 exec, exec, s[6:7]
.LBB10_101:                             ;   in Loop: Header=BB10_102 Depth=1
	s_or_b64 exec, exec, s[2:3]
	v_lshlrev_b32_e32 v2, 16, v2
	v_perm_b32 v1, v1, v2, s13
	v_lshlrev_b32_e32 v2, 8, v11
	v_and_b32_e32 v2, 0xff00, v2
	v_and_b32_e32 v0, 0xff, v0
	v_add_u32_e32 v8, 16, v8
	v_or3_b32 v0, v1, v2, v0
	v_cmp_le_i32_e32 vcc, s27, v8
	global_store_dword v[4:5], v0, off
	s_or_b64 s[0:1], vcc, s[0:1]
	v_add_co_u32_e32 v4, vcc, 64, v4
	v_add_u32_e32 v6, 0x100, v6
	v_addc_co_u32_e32 v5, vcc, 0, v5, vcc
	s_andn2_b64 exec, exec, s[0:1]
	s_cbranch_execz .LBB10_133
.LBB10_102:                             ; =>This Inner Loop Header: Depth=1
	ds_read_b128 v[0:3], v6
	v_mov_b32_e32 v11, 0x80
	s_waitcnt lgkmcnt(0)
	v_div_scale_f32 v12, s[2:3], v10, v10, v0
	v_rcp_f32_e32 v13, v12
	v_div_scale_f32 v14, vcc, v0, v10, v0
	v_fma_f32 v15, -v12, v13, 1.0
	v_fmac_f32_e32 v13, v15, v13
	v_mul_f32_e32 v15, v14, v13
	v_fma_f32 v16, -v12, v15, v14
	v_fmac_f32_e32 v15, v16, v13
	v_fma_f32 v12, -v12, v15, v14
	v_div_fmas_f32 v12, v12, v13, v15
	v_div_fixup_f32 v0, v12, v10, v0
	v_max_f32_e32 v0, v0, v7
	v_min_f32_e32 v12, v0, v9
	v_and_b32_e32 v13, 0x7fffffff, v12
	v_cmp_gt_u32_e32 vcc, s8, v13
	v_mov_b32_e32 v0, 0x80
	s_and_saveexec_b64 s[2:3], vcc
	s_cbranch_execz .LBB10_108
; %bb.103:                              ;   in Loop: Header=BB10_102 Depth=1
	v_cmp_lt_u32_e32 vcc, s9, v13
	s_mov_b64 s[4:5], 0
                                        ; implicit-def: $vgpr13
	s_and_saveexec_b64 s[6:7], vcc
	s_xor_b64 s[6:7], exec, s[6:7]
	s_cbranch_execnz .LBB10_124
; %bb.104:                              ;   in Loop: Header=BB10_102 Depth=1
	s_or_saveexec_b64 s[6:7], s[6:7]
                                        ; implicit-def: $sgpr14
	s_xor_b64 exec, exec, s[6:7]
	s_cbranch_execnz .LBB10_125
.LBB10_105:                             ;   in Loop: Header=BB10_102 Depth=1
	s_or_b64 exec, exec, s[6:7]
	v_mov_b32_e32 v0, s14
	s_and_saveexec_b64 s[6:7], s[4:5]
.LBB10_106:                             ;   in Loop: Header=BB10_102 Depth=1
	v_lshrrev_b32_e32 v0, 24, v12
	v_and_or_b32 v0, v0, s12, v13
.LBB10_107:                             ;   in Loop: Header=BB10_102 Depth=1
	s_or_b64 exec, exec, s[6:7]
.LBB10_108:                             ;   in Loop: Header=BB10_102 Depth=1
	s_or_b64 exec, exec, s[2:3]
	v_div_scale_f32 v12, s[2:3], v10, v10, v1
	v_rcp_f32_e32 v13, v12
	v_div_scale_f32 v14, vcc, v1, v10, v1
	v_fma_f32 v15, -v12, v13, 1.0
	v_fmac_f32_e32 v13, v15, v13
	v_mul_f32_e32 v15, v14, v13
	v_fma_f32 v16, -v12, v15, v14
	v_fmac_f32_e32 v15, v16, v13
	v_fma_f32 v12, -v12, v15, v14
	v_div_fmas_f32 v12, v12, v13, v15
	v_div_fixup_f32 v1, v12, v10, v1
	v_max_f32_e32 v1, v1, v7
	v_min_f32_e32 v1, v1, v9
	v_and_b32_e32 v12, 0x7fffffff, v1
	v_cmp_gt_u32_e32 vcc, s8, v12
	s_and_saveexec_b64 s[2:3], vcc
	s_cbranch_execz .LBB10_114
; %bb.109:                              ;   in Loop: Header=BB10_102 Depth=1
	v_cmp_lt_u32_e32 vcc, s9, v12
	s_mov_b64 s[4:5], 0
                                        ; implicit-def: $vgpr12
	s_and_saveexec_b64 s[6:7], vcc
	s_xor_b64 s[6:7], exec, s[6:7]
	s_cbranch_execnz .LBB10_126
; %bb.110:                              ;   in Loop: Header=BB10_102 Depth=1
	s_or_saveexec_b64 s[6:7], s[6:7]
                                        ; implicit-def: $sgpr14
	s_xor_b64 exec, exec, s[6:7]
	s_cbranch_execnz .LBB10_127
.LBB10_111:                             ;   in Loop: Header=BB10_102 Depth=1
	s_or_b64 exec, exec, s[6:7]
	v_mov_b32_e32 v11, s14
	s_and_saveexec_b64 s[6:7], s[4:5]
.LBB10_112:                             ;   in Loop: Header=BB10_102 Depth=1
	v_lshrrev_b32_e32 v1, 24, v1
	v_and_or_b32 v11, v1, s12, v12
.LBB10_113:                             ;   in Loop: Header=BB10_102 Depth=1
	s_or_b64 exec, exec, s[6:7]
.LBB10_114:                             ;   in Loop: Header=BB10_102 Depth=1
	s_or_b64 exec, exec, s[2:3]
	v_div_scale_f32 v1, s[2:3], v10, v10, v2
	v_rcp_f32_e32 v12, v1
	v_div_scale_f32 v13, vcc, v2, v10, v2
	v_fma_f32 v14, -v1, v12, 1.0
	v_fmac_f32_e32 v12, v14, v12
	v_mul_f32_e32 v14, v13, v12
	v_fma_f32 v15, -v1, v14, v13
	v_fmac_f32_e32 v14, v15, v12
	v_fma_f32 v1, -v1, v14, v13
	v_div_fmas_f32 v1, v1, v12, v14
	v_div_fixup_f32 v1, v1, v10, v2
	v_max_f32_e32 v1, v1, v7
	v_min_f32_e32 v12, v1, v9
	v_and_b32_e32 v13, 0x7fffffff, v12
	v_cmp_gt_u32_e32 vcc, s8, v13
	v_mov_b32_e32 v1, 0x80
	v_mov_b32_e32 v2, 0x80
	s_and_saveexec_b64 s[2:3], vcc
	s_cbranch_execz .LBB10_120
; %bb.115:                              ;   in Loop: Header=BB10_102 Depth=1
	v_cmp_lt_u32_e32 vcc, s9, v13
	s_mov_b64 s[4:5], 0
                                        ; implicit-def: $vgpr13
	s_and_saveexec_b64 s[6:7], vcc
	s_xor_b64 s[6:7], exec, s[6:7]
	s_cbranch_execnz .LBB10_128
; %bb.116:                              ;   in Loop: Header=BB10_102 Depth=1
	s_or_saveexec_b64 s[6:7], s[6:7]
                                        ; implicit-def: $sgpr14
	s_xor_b64 exec, exec, s[6:7]
	s_cbranch_execnz .LBB10_129
.LBB10_117:                             ;   in Loop: Header=BB10_102 Depth=1
	s_or_b64 exec, exec, s[6:7]
	v_mov_b32_e32 v2, s14
	s_and_saveexec_b64 s[6:7], s[4:5]
.LBB10_118:                             ;   in Loop: Header=BB10_102 Depth=1
	v_lshrrev_b32_e32 v2, 24, v12
	v_and_or_b32 v2, v2, s12, v13
.LBB10_119:                             ;   in Loop: Header=BB10_102 Depth=1
	s_or_b64 exec, exec, s[6:7]
.LBB10_120:                             ;   in Loop: Header=BB10_102 Depth=1
	s_or_b64 exec, exec, s[2:3]
	v_div_scale_f32 v12, s[2:3], v10, v10, v3
	v_rcp_f32_e32 v13, v12
	v_div_scale_f32 v14, vcc, v3, v10, v3
	v_fma_f32 v15, -v12, v13, 1.0
	v_fmac_f32_e32 v13, v15, v13
	v_mul_f32_e32 v15, v14, v13
	v_fma_f32 v16, -v12, v15, v14
	v_fmac_f32_e32 v15, v16, v13
	v_fma_f32 v12, -v12, v15, v14
	v_div_fmas_f32 v12, v12, v13, v15
	v_div_fixup_f32 v3, v12, v10, v3
	v_max_f32_e32 v3, v3, v7
	v_min_f32_e32 v3, v3, v9
	v_and_b32_e32 v12, 0x7fffffff, v3
	v_cmp_gt_u32_e32 vcc, s8, v12
	s_and_saveexec_b64 s[2:3], vcc
	s_cbranch_execz .LBB10_101
; %bb.121:                              ;   in Loop: Header=BB10_102 Depth=1
	v_cmp_lt_u32_e32 vcc, s9, v12
	s_mov_b64 s[4:5], 0
                                        ; implicit-def: $vgpr12
	s_and_saveexec_b64 s[6:7], vcc
	s_xor_b64 s[6:7], exec, s[6:7]
	s_cbranch_execnz .LBB10_130
; %bb.122:                              ;   in Loop: Header=BB10_102 Depth=1
	s_or_saveexec_b64 s[6:7], s[6:7]
                                        ; implicit-def: $sgpr14
	s_xor_b64 exec, exec, s[6:7]
	s_cbranch_execnz .LBB10_131
.LBB10_123:                             ;   in Loop: Header=BB10_102 Depth=1
	s_or_b64 exec, exec, s[6:7]
	v_mov_b32_e32 v1, s14
	s_and_saveexec_b64 s[6:7], s[4:5]
	s_cbranch_execz .LBB10_100
	s_branch .LBB10_132
.LBB10_124:                             ;   in Loop: Header=BB10_102 Depth=1
	v_bfe_u32 v0, v12, 20, 1
	v_add3_u32 v0, v12, v0, s10
	s_mov_b64 s[4:5], exec
	v_lshrrev_b32_e32 v13, 20, v0
	s_or_saveexec_b64 s[6:7], s[6:7]
                                        ; implicit-def: $sgpr14
	s_xor_b64 exec, exec, s[6:7]
	s_cbranch_execz .LBB10_105
.LBB10_125:                             ;   in Loop: Header=BB10_102 Depth=1
	v_add_f32_e64 v0, |v12|, s11
	v_and_b32_e32 v13, 0xff, v0
	v_cmp_ne_u32_e32 vcc, 0, v13
	s_andn2_b64 s[4:5], s[4:5], exec
	s_and_b64 s[16:17], vcc, exec
	s_mov_b32 s14, 0
	s_or_b64 s[4:5], s[4:5], s[16:17]
	s_or_b64 exec, exec, s[6:7]
	v_mov_b32_e32 v0, s14
	s_and_saveexec_b64 s[6:7], s[4:5]
	s_cbranch_execnz .LBB10_106
	s_branch .LBB10_107
.LBB10_126:                             ;   in Loop: Header=BB10_102 Depth=1
	v_bfe_u32 v11, v1, 20, 1
	v_add3_u32 v11, v1, v11, s10
	s_mov_b64 s[4:5], exec
	v_lshrrev_b32_e32 v12, 20, v11
	s_or_saveexec_b64 s[6:7], s[6:7]
                                        ; implicit-def: $sgpr14
	s_xor_b64 exec, exec, s[6:7]
	s_cbranch_execz .LBB10_111
.LBB10_127:                             ;   in Loop: Header=BB10_102 Depth=1
	v_add_f32_e64 v11, |v1|, s11
	v_and_b32_e32 v12, 0xff, v11
	v_cmp_ne_u32_e32 vcc, 0, v12
	s_andn2_b64 s[4:5], s[4:5], exec
	s_and_b64 s[16:17], vcc, exec
	s_mov_b32 s14, 0
	s_or_b64 s[4:5], s[4:5], s[16:17]
	s_or_b64 exec, exec, s[6:7]
	v_mov_b32_e32 v11, s14
	s_and_saveexec_b64 s[6:7], s[4:5]
	s_cbranch_execnz .LBB10_112
	s_branch .LBB10_113
.LBB10_128:                             ;   in Loop: Header=BB10_102 Depth=1
	v_bfe_u32 v2, v12, 20, 1
	v_add3_u32 v2, v12, v2, s10
	s_mov_b64 s[4:5], exec
	v_lshrrev_b32_e32 v13, 20, v2
	s_or_saveexec_b64 s[6:7], s[6:7]
                                        ; implicit-def: $sgpr14
	s_xor_b64 exec, exec, s[6:7]
	s_cbranch_execz .LBB10_117
.LBB10_129:                             ;   in Loop: Header=BB10_102 Depth=1
	v_add_f32_e64 v2, |v12|, s11
	v_and_b32_e32 v13, 0xff, v2
	v_cmp_ne_u32_e32 vcc, 0, v13
	s_andn2_b64 s[4:5], s[4:5], exec
	s_and_b64 s[16:17], vcc, exec
	s_mov_b32 s14, 0
	s_or_b64 s[4:5], s[4:5], s[16:17]
	s_or_b64 exec, exec, s[6:7]
	v_mov_b32_e32 v2, s14
	s_and_saveexec_b64 s[6:7], s[4:5]
	s_cbranch_execnz .LBB10_118
	s_branch .LBB10_119
.LBB10_130:                             ;   in Loop: Header=BB10_102 Depth=1
	v_bfe_u32 v1, v3, 20, 1
	v_add3_u32 v1, v3, v1, s10
	s_mov_b64 s[4:5], exec
	v_lshrrev_b32_e32 v12, 20, v1
	s_or_saveexec_b64 s[6:7], s[6:7]
                                        ; implicit-def: $sgpr14
	s_xor_b64 exec, exec, s[6:7]
	s_cbranch_execz .LBB10_123
.LBB10_131:                             ;   in Loop: Header=BB10_102 Depth=1
	v_add_f32_e64 v1, |v3|, s11
	v_and_b32_e32 v12, 0xff, v1
	v_cmp_ne_u32_e32 vcc, 0, v12
	s_andn2_b64 s[4:5], s[4:5], exec
	s_and_b64 s[16:17], vcc, exec
	s_mov_b32 s14, 0
	s_or_b64 s[4:5], s[4:5], s[16:17]
	s_or_b64 exec, exec, s[6:7]
	v_mov_b32_e32 v1, s14
	s_and_saveexec_b64 s[6:7], s[4:5]
	s_cbranch_execz .LBB10_100
.LBB10_132:                             ;   in Loop: Header=BB10_102 Depth=1
	v_lshrrev_b32_e32 v1, 24, v3
	v_and_or_b32 v1, v1, s12, v12
	s_branch .LBB10_100
.LBB10_133:
	s_endpgm
.LBB10_134:
	v_bfe_u32 v1, v0, 20, 1
	s_mov_b32 s8, 0x487ffff
	v_add3_u32 v1, v0, v1, s8
	s_mov_b64 s[4:5], exec
	v_lshrrev_b32_e32 v1, 20, v1
	s_or_saveexec_b64 s[6:7], s[6:7]
                                        ; implicit-def: $sgpr8
	s_xor_b64 exec, exec, s[6:7]
	s_cbranch_execz .LBB10_25
.LBB10_135:
	s_mov_b32 s8, 0x46000000
	v_add_f32_e64 v1, |v0|, s8
	v_and_b32_e32 v1, 0xff, v1
	v_cmp_ne_u32_e32 vcc, 0, v1
	s_andn2_b64 s[4:5], s[4:5], exec
	s_and_b64 s[10:11], vcc, exec
	s_mov_b32 s8, 0
	s_or_b64 s[4:5], s[4:5], s[10:11]
	s_or_b64 exec, exec, s[6:7]
	v_mov_b32_e32 v2, s8
	s_and_saveexec_b64 s[6:7], s[4:5]
	s_cbranch_execnz .LBB10_26
	s_branch .LBB10_27
	.section	.rodata,"a",@progbits
	.p2align	6, 0x0
	.amdhsa_kernel _Z33per_token_group_quant_8bit_kernelIfN3c1015Float8_e4m3fnuzELb0ELb1EfEvPKT_PvPT3_iiifffii
		.amdhsa_group_segment_fixed_size 0
		.amdhsa_private_segment_fixed_size 0
		.amdhsa_kernarg_size 56
		.amdhsa_user_sgpr_count 6
		.amdhsa_user_sgpr_private_segment_buffer 1
		.amdhsa_user_sgpr_dispatch_ptr 0
		.amdhsa_user_sgpr_queue_ptr 0
		.amdhsa_user_sgpr_kernarg_segment_ptr 1
		.amdhsa_user_sgpr_dispatch_id 0
		.amdhsa_user_sgpr_flat_scratch_init 0
		.amdhsa_user_sgpr_kernarg_preload_length 0
		.amdhsa_user_sgpr_kernarg_preload_offset 0
		.amdhsa_user_sgpr_private_segment_size 0
		.amdhsa_uses_dynamic_stack 0
		.amdhsa_system_sgpr_private_segment_wavefront_offset 0
		.amdhsa_system_sgpr_workgroup_id_x 1
		.amdhsa_system_sgpr_workgroup_id_y 0
		.amdhsa_system_sgpr_workgroup_id_z 0
		.amdhsa_system_sgpr_workgroup_info 0
		.amdhsa_system_vgpr_workitem_id 0
		.amdhsa_next_free_vgpr 44
		.amdhsa_next_free_sgpr 62
		.amdhsa_accum_offset 44
		.amdhsa_reserve_vcc 1
		.amdhsa_reserve_flat_scratch 0
		.amdhsa_float_round_mode_32 0
		.amdhsa_float_round_mode_16_64 0
		.amdhsa_float_denorm_mode_32 3
		.amdhsa_float_denorm_mode_16_64 3
		.amdhsa_dx10_clamp 1
		.amdhsa_ieee_mode 1
		.amdhsa_fp16_overflow 0
		.amdhsa_tg_split 0
		.amdhsa_exception_fp_ieee_invalid_op 0
		.amdhsa_exception_fp_denorm_src 0
		.amdhsa_exception_fp_ieee_div_zero 0
		.amdhsa_exception_fp_ieee_overflow 0
		.amdhsa_exception_fp_ieee_underflow 0
		.amdhsa_exception_fp_ieee_inexact 0
		.amdhsa_exception_int_div_zero 0
	.end_amdhsa_kernel
	.section	.text._Z33per_token_group_quant_8bit_kernelIfN3c1015Float8_e4m3fnuzELb0ELb1EfEvPKT_PvPT3_iiifffii,"axG",@progbits,_Z33per_token_group_quant_8bit_kernelIfN3c1015Float8_e4m3fnuzELb0ELb1EfEvPKT_PvPT3_iiifffii,comdat
.Lfunc_end10:
	.size	_Z33per_token_group_quant_8bit_kernelIfN3c1015Float8_e4m3fnuzELb0ELb1EfEvPKT_PvPT3_iiifffii, .Lfunc_end10-_Z33per_token_group_quant_8bit_kernelIfN3c1015Float8_e4m3fnuzELb0ELb1EfEvPKT_PvPT3_iiifffii
                                        ; -- End function
	.section	.AMDGPU.csdata,"",@progbits
; Kernel info:
; codeLenInByte = 10008
; NumSgprs: 66
; NumVgprs: 44
; NumAgprs: 0
; TotalNumVgprs: 44
; ScratchSize: 0
; MemoryBound: 0
; FloatMode: 240
; IeeeMode: 1
; LDSByteSize: 0 bytes/workgroup (compile time only)
; SGPRBlocks: 8
; VGPRBlocks: 5
; NumSGPRsForWavesPerEU: 66
; NumVGPRsForWavesPerEU: 44
; AccumOffset: 44
; Occupancy: 8
; WaveLimiterHint : 0
; COMPUTE_PGM_RSRC2:SCRATCH_EN: 0
; COMPUTE_PGM_RSRC2:USER_SGPR: 6
; COMPUTE_PGM_RSRC2:TRAP_HANDLER: 0
; COMPUTE_PGM_RSRC2:TGID_X_EN: 1
; COMPUTE_PGM_RSRC2:TGID_Y_EN: 0
; COMPUTE_PGM_RSRC2:TGID_Z_EN: 0
; COMPUTE_PGM_RSRC2:TIDIG_COMP_CNT: 0
; COMPUTE_PGM_RSRC3_GFX90A:ACCUM_OFFSET: 10
; COMPUTE_PGM_RSRC3_GFX90A:TG_SPLIT: 0
	.section	.text._Z33per_token_group_quant_8bit_kernelIfN3c1015Float8_e4m3fnuzELb0ELb0EfEvPKT_PvPT3_iiifffii,"axG",@progbits,_Z33per_token_group_quant_8bit_kernelIfN3c1015Float8_e4m3fnuzELb0ELb0EfEvPKT_PvPT3_iiifffii,comdat
	.protected	_Z33per_token_group_quant_8bit_kernelIfN3c1015Float8_e4m3fnuzELb0ELb0EfEvPKT_PvPT3_iiifffii ; -- Begin function _Z33per_token_group_quant_8bit_kernelIfN3c1015Float8_e4m3fnuzELb0ELb0EfEvPKT_PvPT3_iiifffii
	.globl	_Z33per_token_group_quant_8bit_kernelIfN3c1015Float8_e4m3fnuzELb0ELb0EfEvPKT_PvPT3_iiifffii
	.p2align	8
	.type	_Z33per_token_group_quant_8bit_kernelIfN3c1015Float8_e4m3fnuzELb0ELb0EfEvPKT_PvPT3_iiifffii,@function
_Z33per_token_group_quant_8bit_kernelIfN3c1015Float8_e4m3fnuzELb0ELb0EfEvPKT_PvPT3_iiifffii: ; @_Z33per_token_group_quant_8bit_kernelIfN3c1015Float8_e4m3fnuzELb0ELb0EfEvPKT_PvPT3_iiifffii
; %bb.0:
	s_load_dword s31, s[4:5], 0x18
	s_load_dwordx4 s[16:19], s[4:5], 0x20
	s_load_dwordx2 s[2:3], s[4:5], 0x0
	v_lshrrev_b32_e32 v4, 4, v0
	v_and_b32_e32 v10, 15, v0
	s_waitcnt lgkmcnt(0)
	s_ashr_i32 s7, s31, 31
	s_mul_i32 s6, s6, s16
	v_add_co_u32_e32 v0, vcc, s6, v4
	v_addc_co_u32_e64 v1, s[0:1], 0, 0, vcc
	v_mul_lo_u32 v2, v1, s31
	v_mul_lo_u32 v3, v0, s7
	v_mad_u64_u32 v[12:13], s[0:1], v0, s31, 0
	v_add3_u32 v13, v13, v3, v2
	v_lshlrev_b64 v[2:3], 2, v[12:13]
	s_and_b32 s6, s31, 3
	v_mov_b32_e32 v6, s3
	v_add_co_u32_e32 v5, vcc, s2, v2
	s_cmp_eq_u32 s6, 0
	v_addc_co_u32_e32 v6, vcc, v6, v3, vcc
	v_mov_b32_e32 v15, 0
	v_and_b32_e32 v14, 15, v5
	s_cselect_b64 s[0:1], -1, 0
	s_cmp_lg_u32 s6, 0
	v_mul_lo_u32 v20, v4, s31
	v_cmp_ne_u64_e32 vcc, 0, v[14:15]
	s_cselect_b64 s[6:7], -1, 0
	v_lshl_add_u32 v9, v20, 2, 0
	s_or_b64 s[6:7], s[6:7], vcc
                                        ; implicit-def: $vgpr8
	s_and_saveexec_b64 s[8:9], s[6:7]
	s_xor_b64 s[6:7], exec, s[8:9]
	s_cbranch_execz .LBB11_12
; %bb.1:
	v_sub_u32_e32 v4, 0, v5
	v_bfe_u32 v4, v4, 2, 2
	v_min_i32_e32 v4, s31, v4
	v_cmp_gt_i32_e32 vcc, v4, v10
	v_mov_b32_e32 v8, s17
	s_and_saveexec_b64 s[8:9], vcc
	s_cbranch_execz .LBB11_3
; %bb.2:
	v_lshlrev_b32_e32 v7, 2, v10
	v_add_co_u32_e32 v14, vcc, v5, v7
	v_addc_co_u32_e32 v15, vcc, 0, v6, vcc
	global_load_dword v5, v[14:15], off
	v_max_f32_e64 v6, s17, s17
	v_add_u32_e32 v7, v9, v7
	s_waitcnt vmcnt(0)
	v_max_f32_e64 v8, |v5|, |v5|
	v_max_f32_e32 v8, v6, v8
	ds_write_b32 v7, v5
.LBB11_3:
	s_or_b64 exec, exec, s[8:9]
	v_sub_u32_e32 v11, s31, v4
	v_ashrrev_i32_e32 v6, 31, v11
	v_lshrrev_b32_e32 v6, 30, v6
	v_add_u32_e32 v6, v11, v6
	v_ashrrev_i32_e32 v5, 31, v4
	v_ashrrev_i32_e32 v14, 2, v6
	v_cmp_gt_i32_e32 vcc, v14, v10
	v_lshlrev_b32_e32 v15, 2, v4
	v_lshlrev_b64 v[4:5], 2, v[4:5]
	s_and_saveexec_b64 s[8:9], vcc
	s_cbranch_execz .LBB11_7
; %bb.4:
	v_lshlrev_b32_e32 v6, 4, v10
	v_lshl_add_u32 v7, v20, 2, v6
	v_add_co_u32_e32 v6, vcc, v2, v6
	v_add3_u32 v16, v7, v15, 0
	v_addc_co_u32_e32 v7, vcc, 0, v3, vcc
	v_add_co_u32_e32 v6, vcc, v6, v4
	v_addc_co_u32_e32 v7, vcc, v7, v5, vcc
	v_mov_b32_e32 v17, s3
	v_add_co_u32_e32 v6, vcc, s2, v6
	v_addc_co_u32_e32 v7, vcc, v7, v17, vcc
	v_add_co_u32_e32 v6, vcc, 8, v6
	v_addc_co_u32_e32 v7, vcc, 0, v7, vcc
	s_mov_b64 s[10:11], 0
	v_mov_b32_e32 v17, v10
.LBB11_5:                               ; =>This Inner Loop Header: Depth=1
	global_load_dwordx4 v[22:25], v[6:7], off offset:-8
	v_add_co_u32_e32 v6, vcc, 0x100, v6
	v_add_u32_e32 v17, 16, v17
	v_addc_co_u32_e32 v7, vcc, 0, v7, vcc
	v_cmp_ge_i32_e32 vcc, v17, v14
	s_or_b64 s[10:11], vcc, s[10:11]
	s_waitcnt vmcnt(0)
	v_max3_f32 v8, v8, |v22|, |v23|
	ds_write_b128 v16, v[22:25]
	v_add_u32_e32 v16, 0x100, v16
	v_max3_f32 v8, v8, |v24|, |v25|
	s_andn2_b64 exec, exec, s[10:11]
	s_cbranch_execnz .LBB11_5
; %bb.6:
	s_or_b64 exec, exec, s[10:11]
.LBB11_7:
	s_or_b64 exec, exec, s[8:9]
	v_lshl_add_u32 v6, v14, 2, v10
	v_cmp_lt_i32_e32 vcc, v6, v11
	s_and_saveexec_b64 s[8:9], vcc
	s_cbranch_execz .LBB11_11
; %bb.8:
	v_lshlrev_b32_e32 v7, 2, v20
	v_lshlrev_b32_e32 v14, 4, v14
	v_add3_u32 v7, v7, v14, v15
	v_lshlrev_b32_e32 v14, 2, v10
	v_add3_u32 v14, v7, v14, 0
	v_add_co_u32_e32 v4, vcc, v2, v4
	v_ashrrev_i32_e32 v7, 31, v6
	v_addc_co_u32_e32 v5, vcc, v3, v5, vcc
	v_lshlrev_b64 v[2:3], 2, v[6:7]
	v_add_co_u32_e32 v2, vcc, v4, v2
	v_addc_co_u32_e32 v3, vcc, v5, v3, vcc
	v_mov_b32_e32 v4, s3
	v_add_co_u32_e32 v2, vcc, s2, v2
	v_addc_co_u32_e32 v3, vcc, v4, v3, vcc
	s_mov_b64 s[10:11], 0
.LBB11_9:                               ; =>This Inner Loop Header: Depth=1
	global_load_dword v4, v[2:3], off
	v_add_co_u32_e32 v2, vcc, 64, v2
	v_add_u32_e32 v6, 16, v6
	v_addc_co_u32_e32 v3, vcc, 0, v3, vcc
	v_max_f32_e32 v5, v8, v8
	v_cmp_ge_i32_e32 vcc, v6, v11
	s_or_b64 s[10:11], vcc, s[10:11]
	s_waitcnt vmcnt(0)
	v_max_f32_e64 v7, |v4|, |v4|
	ds_write_b32 v14, v4
	v_add_u32_e32 v14, 64, v14
	v_max_f32_e32 v8, v5, v7
	s_andn2_b64 exec, exec, s[10:11]
	s_cbranch_execnz .LBB11_9
; %bb.10:
	s_or_b64 exec, exec, s[10:11]
.LBB11_11:
	s_or_b64 exec, exec, s[8:9]
                                        ; implicit-def: $vgpr2_vgpr3
.LBB11_12:
	s_or_saveexec_b64 s[6:7], s[6:7]
	s_load_dwordx2 s[20:21], s[4:5], 0x8
	s_xor_b64 exec, exec, s[6:7]
	s_cbranch_execz .LBB11_18
; %bb.13:
	s_ashr_i32 s10, s31, 2
	v_cmp_gt_i32_e32 vcc, s10, v10
	v_mov_b32_e32 v8, s17
	s_and_saveexec_b64 s[8:9], vcc
	s_cbranch_execz .LBB11_17
; %bb.14:
	v_lshlrev_b32_e32 v5, 4, v10
	v_add_co_u32_e32 v2, vcc, v2, v5
	v_lshlrev_b32_e32 v4, 2, v20
	v_addc_co_u32_e32 v3, vcc, 0, v3, vcc
	v_add3_u32 v4, v4, v5, 0
	v_mov_b32_e32 v5, s3
	v_add_co_u32_e32 v2, vcc, s2, v2
	v_addc_co_u32_e32 v3, vcc, v3, v5, vcc
	v_add_co_u32_e32 v2, vcc, 8, v2
	v_addc_co_u32_e32 v3, vcc, 0, v3, vcc
	s_mov_b64 s[2:3], 0
	v_mov_b32_e32 v8, s17
	v_mov_b32_e32 v5, v10
.LBB11_15:                              ; =>This Inner Loop Header: Depth=1
	global_load_dwordx4 v[14:17], v[2:3], off offset:-8
	v_add_co_u32_e32 v2, vcc, 0x100, v2
	v_add_u32_e32 v5, 16, v5
	v_addc_co_u32_e32 v3, vcc, 0, v3, vcc
	v_cmp_le_i32_e32 vcc, s10, v5
	s_or_b64 s[2:3], vcc, s[2:3]
	s_waitcnt vmcnt(0)
	v_max3_f32 v6, v8, |v14|, |v15|
	ds_write_b128 v4, v[14:17]
	v_add_u32_e32 v4, 0x100, v4
	v_max3_f32 v8, v6, |v16|, |v17|
	s_andn2_b64 exec, exec, s[2:3]
	s_cbranch_execnz .LBB11_15
; %bb.16:
	s_or_b64 exec, exec, s[2:3]
.LBB11_17:
	s_or_b64 exec, exec, s[8:9]
.LBB11_18:
	s_or_b64 exec, exec, s[6:7]
	v_mbcnt_lo_u32_b32 v2, -1, 0
	v_mbcnt_hi_u32_b32 v2, -1, v2
	v_and_b32_e32 v4, 0x70, v2
	v_xor_b32_e32 v3, 8, v2
	v_add_u32_e32 v4, 16, v4
	v_cmp_lt_i32_e32 vcc, v3, v4
	v_cndmask_b32_e32 v3, v2, v3, vcc
	v_lshlrev_b32_e32 v3, 2, v3
	ds_bpermute_b32 v3, v3, v8
	v_xor_b32_e32 v6, 4, v2
	v_max_f32_e32 v5, v8, v8
	v_cmp_lt_i32_e32 vcc, v6, v4
	s_waitcnt lgkmcnt(0)
	v_max_f32_e32 v3, v3, v3
	v_max_f32_e32 v3, v5, v3
	v_cndmask_b32_e32 v5, v2, v6, vcc
	v_lshlrev_b32_e32 v5, 2, v5
	ds_bpermute_b32 v5, v5, v3
	v_xor_b32_e32 v6, 2, v2
	v_cmp_lt_i32_e32 vcc, v6, v4
	s_waitcnt lgkmcnt(0)
	v_max_f32_e32 v5, v5, v5
	v_max_f32_e32 v3, v3, v5
	v_cndmask_b32_e32 v5, v2, v6, vcc
	v_lshlrev_b32_e32 v5, 2, v5
	ds_bpermute_b32 v5, v5, v3
	v_xor_b32_e32 v6, 1, v2
	v_cmp_lt_i32_e32 vcc, v6, v4
	v_cndmask_b32_e32 v2, v2, v6, vcc
	v_lshlrev_b32_e32 v2, 2, v2
	s_waitcnt lgkmcnt(0)
	v_max_f32_e32 v5, v5, v5
	v_max_f32_e32 v3, v3, v5
	ds_bpermute_b32 v2, v2, v3
	s_waitcnt lgkmcnt(0)
	v_max_f32_e32 v2, v2, v2
	v_max_f32_e32 v2, v3, v2
	v_div_scale_f32 v3, s[2:3], s19, s19, v2
	v_rcp_f32_e32 v4, v3
	v_div_scale_f32 v5, vcc, v2, s19, v2
	v_fma_f32 v6, -v3, v4, 1.0
	v_fmac_f32_e32 v4, v6, v4
	v_mul_f32_e32 v6, v5, v4
	v_fma_f32 v7, -v3, v6, v5
	v_fmac_f32_e32 v6, v7, v4
	v_fma_f32 v3, -v3, v6, v5
	v_div_fmas_f32 v3, v3, v4, v6
	v_div_fixup_f32 v8, v3, s19, v2
	v_cmp_eq_u32_e32 vcc, 0, v10
	s_and_saveexec_b64 s[2:3], vcc
	s_cbranch_execz .LBB11_20
; %bb.19:
	s_load_dwordx2 s[4:5], s[4:5], 0x10
	v_lshlrev_b64 v[0:1], 2, v[0:1]
	s_waitcnt lgkmcnt(0)
	v_mov_b32_e32 v2, s5
	v_add_co_u32_e32 v0, vcc, s4, v0
	v_addc_co_u32_e32 v1, vcc, v2, v1, vcc
	global_store_dword v[0:1], v8, off
.LBB11_20:
	s_or_b64 exec, exec, s[2:3]
	v_mov_b32_e32 v0, s21
	v_add_co_u32_e32 v18, vcc, s20, v12
	v_addc_co_u32_e32 v19, vcc, v0, v13, vcc
	v_and_b32_e32 v0, 15, v9
	v_mov_b32_e32 v1, 0
	v_cmp_ne_u64_e32 vcc, 0, v[0:1]
	s_xor_b64 s[0:1], s[0:1], -1
	s_or_b64 s[0:1], s[0:1], vcc
	s_barrier
	s_and_saveexec_b64 s[2:3], s[0:1]
	s_xor_b64 s[22:23], exec, s[2:3]
	s_cbranch_execz .LBB11_90
; %bb.21:
	v_sub_u32_e32 v0, 0, v9
	v_bfe_u32 v0, v0, 2, 2
	v_min_i32_e32 v14, s31, v0
	v_cmp_gt_i32_e32 vcc, v14, v10
	s_and_saveexec_b64 s[0:1], vcc
	s_cbranch_execz .LBB11_29
; %bb.22:
	v_lshl_add_u32 v0, v10, 2, v9
	ds_read_b32 v0, v0
	v_max_f32_e64 v1, s18, s18
	v_max_f32_e64 v2, s19, s19
	s_waitcnt lgkmcnt(0)
	v_div_scale_f32 v3, s[2:3], v8, v8, v0
	v_rcp_f32_e32 v4, v3
	v_div_scale_f32 v5, vcc, v0, v8, v0
	s_mov_b32 s2, 0x43800000
	v_fma_f32 v6, -v3, v4, 1.0
	v_fmac_f32_e32 v4, v6, v4
	v_mul_f32_e32 v6, v5, v4
	v_fma_f32 v7, -v3, v6, v5
	v_fmac_f32_e32 v6, v7, v4
	v_fma_f32 v3, -v3, v6, v5
	v_div_fmas_f32 v3, v3, v4, v6
	v_div_fixup_f32 v0, v3, v8, v0
	v_max_f32_e32 v0, v0, v1
	v_min_f32_e32 v0, v0, v2
	v_and_b32_e32 v1, 0x7fffffff, v0
	v_cmp_gt_u32_e32 vcc, s2, v1
	v_mov_b32_e32 v2, 0x80
	s_and_saveexec_b64 s[2:3], vcc
	s_cbranch_execz .LBB11_28
; %bb.23:
	s_mov_b32 s4, 0x3bffffff
	v_cmp_lt_u32_e32 vcc, s4, v1
	s_mov_b64 s[4:5], 0
                                        ; implicit-def: $vgpr1
	s_and_saveexec_b64 s[6:7], vcc
	s_xor_b64 s[6:7], exec, s[6:7]
	s_cbranch_execnz .LBB11_134
; %bb.24:
	s_or_saveexec_b64 s[6:7], s[6:7]
                                        ; implicit-def: $sgpr8
	s_xor_b64 exec, exec, s[6:7]
	s_cbranch_execnz .LBB11_135
.LBB11_25:
	s_or_b64 exec, exec, s[6:7]
	v_mov_b32_e32 v2, s8
	s_and_saveexec_b64 s[6:7], s[4:5]
.LBB11_26:
	v_lshrrev_b32_e32 v0, 24, v0
	s_movk_i32 s4, 0x80
	v_and_or_b32 v2, v0, s4, v1
.LBB11_27:
	s_or_b64 exec, exec, s[6:7]
.LBB11_28:
	s_or_b64 exec, exec, s[2:3]
	v_add_co_u32_e32 v0, vcc, v18, v10
	v_addc_co_u32_e32 v1, vcc, 0, v19, vcc
	global_store_byte v[0:1], v2, off
.LBB11_29:
	s_or_b64 exec, exec, s[0:1]
	v_sub_u32_e32 v21, s31, v14
	v_ashrrev_i32_e32 v0, 31, v21
	v_lshrrev_b32_e32 v0, 30, v0
	v_ashrrev_i32_e32 v9, 31, v14
	v_add_co_u32_e32 v22, vcc, v18, v14
	v_add_u32_e32 v0, v21, v0
	v_addc_co_u32_e32 v23, vcc, v19, v9, vcc
	v_ashrrev_i32_e32 v24, 2, v0
	v_cmp_gt_i32_e32 vcc, v24, v10
	s_and_saveexec_b64 s[24:25], vcc
	s_cbranch_execz .LBB11_71
; %bb.30:
	v_xad_u32 v0, v10, -1, v24
	v_cmp_lt_u32_e32 vcc, 15, v0
	s_mov_b64 s[0:1], 0
                                        ; implicit-def: $vgpr4
                                        ; implicit-def: $vgpr25
                                        ; implicit-def: $vgpr26
	s_and_saveexec_b64 s[2:3], vcc
	s_xor_b64 s[26:27], exec, s[2:3]
	s_cbranch_execnz .LBB11_33
; %bb.31:
	s_andn2_saveexec_b64 s[2:3], s[26:27]
	s_cbranch_execnz .LBB11_36
.LBB11_32:
	s_or_b64 exec, exec, s[2:3]
	s_and_b64 exec, exec, s[0:1]
	s_cbranch_execnz .LBB11_37
	s_branch .LBB11_71
.LBB11_33:
	v_lshrrev_b32_e32 v0, 4, v0
	v_add_u32_e32 v27, 1, v0
	v_lshlrev_b32_e32 v25, 2, v20
	v_and_b32_e32 v28, 0x1ffffffe, v27
	v_or_b32_e32 v11, 16, v10
	s_mov_b32 s0, s18
	s_mov_b32 s1, s18
	;; [unrolled: 1-line block ×4, first 2 shown]
	v_lshl_add_u32 v0, v10, 4, v25
	v_lshlrev_b32_e32 v26, 2, v14
	v_mov_b32_e32 v15, v8
	v_add3_u32 v29, v0, v26, 0
	s_mov_b64 s[28:29], 0
	v_max_f32_e64 v30, s1, s1
	v_max_f32_e64 v31, s0, s0
	;; [unrolled: 1-line block ×4, first 2 shown]
	s_mov_b32 s33, 0x437fffff
	s_brev_b32 s46, 60
	s_mov_b32 s47, 0x487ffff
	s_mov_b32 s30, 0x46000000
	s_movk_i32 s48, 0xff
	s_movk_i32 s49, 0x80
	v_mov_b32_e32 v34, 0x80
	s_mov_b32 s50, 0x43800000
	s_mov_b32 s51, 0x3bffffff
	s_brev_b32 s52, 1
	v_bfrev_b32_e32 v35, 1
	v_mov_b32_e32 v36, 0x800000
	v_mov_b32_e32 v37, 0x8000
	;; [unrolled: 1-line block ×4, first 2 shown]
	v_pk_mov_b32 v[18:19], v[10:11], v[10:11] op_sel:[0,1]
.LBB11_34:                              ; =>This Inner Loop Header: Depth=1
	ds_read_b128 v[4:7], v29
	ds_read_b128 v[0:3], v29 offset:256
	v_add_u32_e32 v38, -2, v38
	v_add_u32_e32 v29, 0x200, v29
	s_waitcnt lgkmcnt(1)
	v_div_scale_f32 v11, s[0:1], v8, v8, v4
	v_rcp_f32_e32 v16, v11
	v_fma_f32 v39, -v11, v16, 1.0
	v_fmac_f32_e32 v16, v39, v16
	v_div_scale_f32 v39, vcc, v4, v8, v4
	v_mul_f32_e32 v40, v39, v16
	v_fma_f32 v41, -v11, v40, v39
	v_fmac_f32_e32 v40, v41, v16
	v_fma_f32 v11, -v11, v40, v39
	v_div_fmas_f32 v11, v11, v16, v40
	v_div_fixup_f32 v4, v11, v8, v4
	s_waitcnt lgkmcnt(0)
	v_div_scale_f32 v11, s[0:1], v15, v15, v0
	v_rcp_f32_e32 v16, v11
	v_max_f32_e32 v4, v4, v31
	v_min_f32_e32 v4, v4, v32
	v_fma_f32 v39, -v11, v16, 1.0
	v_fmac_f32_e32 v16, v39, v16
	v_div_scale_f32 v39, vcc, v0, v15, v0
	v_mul_f32_e32 v40, v39, v16
	v_fma_f32 v41, -v11, v40, v39
	v_fmac_f32_e32 v40, v41, v16
	v_fma_f32 v11, -v11, v40, v39
	v_div_fmas_f32 v11, v11, v16, v40
	v_div_fixup_f32 v0, v11, v15, v0
	v_max_f32_e32 v0, v0, v30
	v_min_f32_e32 v0, v0, v33
	v_and_b32_e32 v41, 0x7fffffff, v0
	v_and_b32_e32 v40, 0x7fffffff, v4
	v_cmp_lt_u32_e32 vcc, s33, v41
	v_cmp_lt_u32_e64 s[0:1], s33, v40
	v_cmp_gt_u32_e64 s[2:3], s46, v41
	v_cmp_gt_u32_e64 s[4:5], s46, v40
	v_bfe_u32 v11, v4, 20, 1
	v_pk_add_f32 v[40:41], v[40:41], s[30:31] op_sel_hi:[1,0]
	s_xor_b64 s[6:7], s[4:5], s[0:1]
	v_add3_u32 v11, v4, v11, s47
	v_cmp_ne_u32_sdwa s[34:35], v40, v17 src0_sel:BYTE_0 src1_sel:DWORD
	s_xor_b64 s[12:13], s[6:7], -1
	v_bfe_u32 v16, v0, 20, 1
	v_lshrrev_b32_e32 v11, 20, v11
	v_cmp_eq_u32_sdwa s[16:17], v40, v17 src0_sel:BYTE_0 src1_sel:DWORD
	s_and_b64 s[34:35], s[4:5], s[34:35]
	s_xor_b64 s[8:9], s[2:3], vcc
	v_add3_u32 v16, v0, v16, s47
	v_cmp_ne_u32_sdwa s[36:37], v41, v17 src0_sel:BYTE_0 src1_sel:DWORD
	s_or_b64 s[12:13], s[34:35], s[12:13]
	v_cndmask_b32_e64 v11, v11, v40, s[6:7]
	v_and_b32_sdwa v4, v4, s49 dst_sel:DWORD dst_unused:UNUSED_PAD src0_sel:BYTE_3 src1_sel:DWORD
	s_and_b64 s[34:35], s[4:5], s[16:17]
	s_xor_b64 s[10:11], s[8:9], -1
	v_lshrrev_b32_e32 v16, 20, v16
	v_cmp_eq_u32_sdwa s[14:15], v41, v17 src0_sel:BYTE_0 src1_sel:DWORD
	s_and_b64 s[36:37], s[2:3], s[36:37]
	s_or_b64 s[4:5], s[12:13], s[34:35]
	v_and_or_b32 v4, v11, s48, v4
	s_or_b64 s[10:11], s[36:37], s[10:11]
	v_cndmask_b32_e64 v16, v16, v41, s[8:9]
	v_and_b32_sdwa v0, v0, s49 dst_sel:DWORD dst_unused:UNUSED_PAD src0_sel:BYTE_3 src1_sel:DWORD
	s_and_b64 s[36:37], s[2:3], s[14:15]
	s_or_b64 s[14:15], s[4:5], s[0:1]
	v_cndmask_b32_e64 v4, v4, v34, s[0:1]
	v_div_scale_f32 v11, s[0:1], v8, v8, v5
	v_and_or_b32 v0, v16, s48, v0
	v_rcp_f32_e32 v16, v11
	s_or_b64 s[2:3], s[10:11], s[36:37]
	s_or_b64 s[16:17], s[2:3], vcc
	v_cndmask_b32_e32 v0, v0, v34, vcc
	v_fma_f32 v39, -v11, v16, 1.0
	v_fmac_f32_e32 v16, v39, v16
	v_div_scale_f32 v39, vcc, v5, v8, v5
	v_mul_f32_e32 v40, v39, v16
	v_fma_f32 v41, -v11, v40, v39
	v_fmac_f32_e32 v40, v41, v16
	v_fma_f32 v11, -v11, v40, v39
	v_div_fmas_f32 v11, v11, v16, v40
	v_div_fixup_f32 v5, v11, v8, v5
	v_div_scale_f32 v11, s[0:1], v15, v15, v1
	v_rcp_f32_e32 v16, v11
	v_max_f32_e32 v5, v5, v31
	v_min_f32_e32 v5, v5, v32
	v_cndmask_b32_e64 v4, v4, 0, s[34:35]
	v_fma_f32 v39, -v11, v16, 1.0
	v_fmac_f32_e32 v16, v39, v16
	v_div_scale_f32 v39, vcc, v1, v15, v1
	v_mul_f32_e32 v40, v39, v16
	v_fma_f32 v41, -v11, v40, v39
	v_fmac_f32_e32 v40, v41, v16
	v_fma_f32 v11, -v11, v40, v39
	v_div_fmas_f32 v11, v11, v16, v40
	v_div_fixup_f32 v1, v11, v15, v1
	v_max_f32_e32 v1, v1, v30
	v_min_f32_e32 v1, v1, v33
	v_and_b32_e32 v41, 0x7fffffff, v1
	v_and_b32_e32 v40, 0x7fffffff, v5
	v_cmp_gt_u32_e64 s[2:3], s50, v40
	v_cmp_gt_u32_e64 s[4:5], s50, v41
	v_cmp_lt_u32_e32 vcc, s33, v41
	v_cmp_lt_u32_e64 s[0:1], s33, v40
	s_and_b64 s[10:11], s[16:17], s[4:5]
	s_and_b64 s[12:13], s[14:15], s[2:3]
	v_cmp_gt_u32_e64 s[2:3], s46, v40
	v_cmp_gt_u32_e64 s[4:5], s46, v41
	v_cmp_lt_u32_e64 s[6:7], s51, v41
	v_cmp_lt_u32_e64 s[8:9], s51, v40
	v_bfe_u32 v16, v1, 20, 1
	v_pk_add_f32 v[40:41], v[40:41], s[30:31] op_sel_hi:[1,0]
	v_bfe_u32 v11, v5, 20, 1
	v_add3_u32 v16, v1, v16, s47
	v_and_b32_e32 v40, 0xff, v40
	s_and_b64 s[8:9], s[12:13], s[8:9]
	s_and_b64 s[6:7], s[10:11], s[6:7]
	v_add3_u32 v11, v5, v11, s47
	v_lshrrev_b32_e32 v16, 20, v16
	s_and_b64 s[40:41], s[12:13], s[2:3]
	v_and_b32_e32 v39, 0xff, v41
	v_cmp_ne_u32_e64 s[12:13], 0, v40
	v_lshrrev_b32_e32 v11, 20, v11
	v_cmp_eq_u32_e64 s[2:3], 0, v40
	s_and_b64 s[12:13], s[40:41], s[12:13]
	v_cndmask_b32_e64 v16, v39, v16, s[6:7]
	v_lshrrev_b32_e32 v1, 24, v1
	s_and_b64 s[38:39], s[10:11], s[4:5]
	v_cmp_eq_u32_e64 s[4:5], 0, v39
	v_cmp_ne_u32_e64 s[10:11], 0, v39
	s_or_b64 s[12:13], s[12:13], s[8:9]
	v_cndmask_b32_e64 v11, v40, v11, s[8:9]
	v_lshrrev_b32_e32 v5, 24, v5
	v_and_or_b32 v1, v1, s49, v16
	s_and_b64 s[40:41], s[40:41], s[2:3]
	s_and_b64 s[10:11], s[38:39], s[10:11]
	v_and_or_b32 v5, v5, s49, v11
	s_and_b64 s[38:39], s[38:39], s[4:5]
	s_or_b64 s[4:5], s[12:13], s[40:41]
	s_and_b64 s[0:1], s[14:15], s[0:1]
	v_lshlrev_b32_e32 v11, 8, v1
	s_or_b64 s[56:57], s[4:5], s[0:1]
	v_lshlrev_b32_e32 v1, 8, v5
	v_and_b32_e32 v5, 0xff00, v11
	v_div_scale_f32 v11, s[4:5], v8, v8, v6
	v_rcp_f32_e32 v16, v11
	s_and_b64 s[2:3], s[16:17], vcc
	s_or_b64 s[10:11], s[10:11], s[6:7]
	s_or_b64 s[6:7], s[10:11], s[38:39]
	v_fma_f32 v39, -v11, v16, 1.0
	v_fmac_f32_e32 v16, v39, v16
	v_div_scale_f32 v39, vcc, v6, v8, v6
	v_mul_f32_e32 v40, v39, v16
	v_fma_f32 v41, -v11, v40, v39
	v_fmac_f32_e32 v40, v41, v16
	v_fma_f32 v11, -v11, v40, v39
	v_div_fmas_f32 v11, v11, v16, v40
	v_div_fixup_f32 v6, v11, v8, v6
	v_div_scale_f32 v11, s[4:5], v15, v15, v2
	v_rcp_f32_e32 v16, v11
	v_max_f32_e32 v6, v6, v31
	v_min_f32_e32 v6, v6, v32
	s_or_b64 s[54:55], s[6:7], s[2:3]
	v_fma_f32 v39, -v11, v16, 1.0
	v_fmac_f32_e32 v16, v39, v16
	v_div_scale_f32 v39, vcc, v2, v15, v2
	v_mul_f32_e32 v40, v39, v16
	v_fma_f32 v41, -v11, v40, v39
	v_fmac_f32_e32 v40, v41, v16
	v_fma_f32 v11, -v11, v40, v39
	v_div_fmas_f32 v11, v11, v16, v40
	v_div_fixup_f32 v2, v11, v15, v2
	v_max_f32_e32 v2, v2, v30
	v_min_f32_e32 v2, v2, v33
	v_and_b32_e32 v41, 0x7fffffff, v2
	v_and_b32_e32 v40, 0x7fffffff, v6
	v_cmp_gt_u32_e64 s[6:7], s50, v41
	v_cmp_gt_u32_e64 s[8:9], s50, v40
	v_cmp_lt_u32_e32 vcc, s33, v40
	v_cmp_lt_u32_e64 s[4:5], s33, v41
	s_and_b64 s[14:15], s[56:57], s[8:9]
	s_and_b64 s[16:17], s[54:55], s[6:7]
	v_cmp_gt_u32_e64 s[6:7], s46, v41
	v_cmp_gt_u32_e64 s[8:9], s46, v40
	v_cmp_lt_u32_e64 s[10:11], s51, v40
	v_cmp_lt_u32_e64 s[12:13], s51, v41
	v_pk_add_f32 v[40:41], v[40:41], s[30:31] op_sel_hi:[1,0]
	v_and_b32_e32 v39, 0xff, v40
	v_and_b32_e32 v40, 0xff, v41
	s_and_b64 s[12:13], s[16:17], s[12:13]
	v_bfe_u32 v11, v2, 20, 1
	s_and_b64 s[44:45], s[16:17], s[6:7]
	v_cmp_ne_u32_e64 s[16:17], 0, v40
	v_bfe_u32 v16, v6, 20, 1
	v_add3_u32 v11, v2, v11, s47
	v_cmp_eq_u32_e64 s[6:7], 0, v40
	s_and_b64 s[16:17], s[44:45], s[16:17]
	s_and_b64 s[10:11], s[14:15], s[10:11]
	v_add3_u32 v16, v6, v16, s47
	v_lshrrev_b32_e32 v11, 20, v11
	s_and_b64 s[42:43], s[14:15], s[8:9]
	v_cmp_eq_u32_e64 s[8:9], 0, v39
	v_cmp_ne_u32_e64 s[14:15], 0, v39
	s_or_b64 s[16:17], s[16:17], s[12:13]
	s_and_b64 s[44:45], s[44:45], s[6:7]
	v_lshrrev_b32_e32 v16, 20, v16
	s_and_b64 s[14:15], s[42:43], s[14:15]
	v_cndmask_b32_e64 v11, v40, v11, s[12:13]
	v_lshrrev_b32_e32 v2, 24, v2
	s_and_b64 s[42:43], s[42:43], s[8:9]
	s_or_b64 s[8:9], s[16:17], s[44:45]
	s_and_b64 s[4:5], s[54:55], s[4:5]
	v_cndmask_b32_e64 v16, v39, v16, s[10:11]
	v_lshrrev_b32_e32 v6, 24, v6
	v_and_or_b32 v2, v2, s49, v11
	s_and_b64 s[6:7], s[56:57], vcc
	s_or_b64 s[56:57], s[8:9], s[4:5]
	v_div_scale_f32 v11, s[8:9], v8, v8, v7
	v_and_or_b32 v6, v6, s49, v16
	v_rcp_f32_e32 v16, v11
	s_or_b64 s[14:15], s[14:15], s[10:11]
	s_or_b64 s[10:11], s[14:15], s[42:43]
	;; [unrolled: 1-line block ×3, first 2 shown]
	v_fma_f32 v39, -v11, v16, 1.0
	v_fmac_f32_e32 v16, v39, v16
	v_div_scale_f32 v39, vcc, v7, v8, v7
	v_mul_f32_e32 v40, v39, v16
	v_fma_f32 v41, -v11, v40, v39
	v_fmac_f32_e32 v40, v41, v16
	v_fma_f32 v11, -v11, v40, v39
	v_div_fmas_f32 v11, v11, v16, v40
	v_div_fixup_f32 v7, v11, v8, v7
	v_div_scale_f32 v11, s[8:9], v15, v15, v3
	v_rcp_f32_e32 v16, v11
	v_max_f32_e32 v7, v7, v31
	v_min_f32_e32 v7, v7, v32
	v_lshlrev_b32_e32 v6, 16, v6
	v_fma_f32 v39, -v11, v16, 1.0
	v_fmac_f32_e32 v16, v39, v16
	v_div_scale_f32 v39, vcc, v3, v15, v3
	v_mul_f32_e32 v40, v39, v16
	v_fma_f32 v41, -v11, v40, v39
	v_fmac_f32_e32 v40, v41, v16
	v_fma_f32 v11, -v11, v40, v39
	v_div_fmas_f32 v11, v11, v16, v40
	v_div_fixup_f32 v3, v11, v15, v3
	v_max_f32_e32 v3, v3, v30
	v_min_f32_e32 v3, v3, v33
	v_and_b32_e32 v41, 0x7fffffff, v3
	v_and_b32_e32 v40, 0x7fffffff, v7
	v_cmp_gt_u32_e64 s[12:13], s50, v41
	v_bfe_u32 v16, v3, 20, 1
	v_cmp_gt_u32_e64 s[10:11], s50, v40
	s_and_b64 s[58:59], s[56:57], s[12:13]
	v_cmp_lt_u32_e64 s[14:15], s51, v41
	v_bfe_u32 v11, v7, 20, 1
	v_add3_u32 v16, v3, v16, s47
	v_cmp_lt_u32_e32 vcc, s33, v40
	v_cmp_lt_u32_e64 s[8:9], s33, v41
	s_and_b64 s[60:61], s[54:55], s[10:11]
	v_cmp_gt_u32_e64 s[10:11], s46, v40
	v_cmp_gt_u32_e64 s[12:13], s46, v41
	v_cmp_lt_u32_e64 s[16:17], s51, v40
	s_and_b64 s[14:15], s[58:59], s[14:15]
	v_add3_u32 v11, v7, v11, s47
	v_lshrrev_b32_e32 v16, 20, v16
	v_pk_add_f32 v[40:41], v[40:41], s[30:31] op_sel_hi:[1,0]
	s_and_b64 s[16:17], s[60:61], s[16:17]
	v_lshrrev_b32_e32 v11, 20, v11
	v_cndmask_b32_e64 v16, v41, v16, s[14:15]
	v_cndmask_b32_e64 v11, v40, v11, s[16:17]
	v_lshlrev_b32_e32 v16, 24, v16
	s_and_b64 s[8:9], s[56:57], s[8:9]
	v_lshlrev_b32_e32 v11, 24, v11
	v_and_or_b32 v16, v3, s52, v16
	v_and_or_b32 v3, v7, s52, v11
	v_cndmask_b32_e64 v7, v16, v35, s[8:9]
	v_mov_b32_e32 v16, v18
	s_and_b64 s[12:13], s[58:59], s[12:13]
	s_and_b64 s[10:11], s[60:61], s[10:11]
	v_cmp_eq_u32_sdwa s[58:59], v41, v17 src0_sel:BYTE_0 src1_sel:DWORD
	v_cmp_eq_u32_sdwa s[60:61], v40, v17 src0_sel:BYTE_0 src1_sel:DWORD
	s_and_b64 vcc, s[54:55], vcc
	v_lshlrev_b64 v[40:41], 2, v[16:17]
	v_cndmask_b32_e32 v3, v3, v35, vcc
	v_add_co_u32_e32 v40, vcc, v22, v40
	v_mov_b32_e32 v16, v19
	v_lshlrev_b32_e32 v2, 16, v2
	v_and_b32_e32 v6, 0xff0000, v6
	v_addc_co_u32_e32 v41, vcc, v23, v41, vcc
	v_lshlrev_b64 v[42:43], 2, v[16:17]
	v_and_b32_e32 v1, 0xff00, v1
	v_and_b32_e32 v2, 0xff0000, v2
	s_and_b64 s[10:11], s[10:11], s[60:61]
	v_add_co_u32_e32 v42, vcc, v22, v42
	v_cndmask_b32_e64 v6, v6, v36, s[6:7]
	s_and_b64 s[12:13], s[12:13], s[58:59]
	v_addc_co_u32_e32 v43, vcc, v23, v43, vcc
	v_cndmask_b32_e64 v3, v3, 0, s[10:11]
	v_cndmask_b32_e64 v2, v2, v36, s[4:5]
	;; [unrolled: 1-line block ×6, first 2 shown]
	v_or_b32_e32 v3, v3, v6
	v_cndmask_b32_e64 v5, v5, v37, s[2:3]
	v_cndmask_b32_e64 v1, v1, 0, s[40:41]
	v_cmp_eq_u32_e32 vcc, 0, v38
	v_or_b32_e32 v2, v7, v2
	v_cndmask_b32_e64 v5, v5, 0, s[38:39]
	v_cndmask_b32_e64 v0, v0, 0, s[36:37]
	v_or3_b32 v1, v3, v1, v4
	v_add_u32_e32 v19, 32, v19
	v_add_u32_e32 v18, 32, v18
	s_or_b64 s[28:29], vcc, s[28:29]
	v_or3_b32 v0, v2, v5, v0
	global_store_dword v[40:41], v1, off
	global_store_dword v[42:43], v0, off
	s_andn2_b64 exec, exec, s[28:29]
	s_cbranch_execnz .LBB11_34
; %bb.35:
	s_or_b64 exec, exec, s[28:29]
	v_cmp_ne_u32_e32 vcc, v27, v28
	v_lshl_or_b32 v4, v28, 4, v10
	s_and_b64 s[0:1], vcc, exec
	s_andn2_saveexec_b64 s[2:3], s[26:27]
	s_cbranch_execz .LBB11_32
.LBB11_36:
	v_lshlrev_b32_e32 v25, 2, v20
	v_lshlrev_b32_e32 v26, 2, v14
	s_or_b64 s[0:1], s[0:1], exec
	v_mov_b32_e32 v4, v10
	s_or_b64 exec, exec, s[2:3]
	s_and_b64 exec, exec, s[0:1]
	s_cbranch_execz .LBB11_71
.LBB11_37:
	v_lshl_add_u32 v0, v4, 4, v25
	v_add_co_u32_e32 v2, vcc, v14, v12
	v_mov_b32_e32 v5, 0
	v_add3_u32 v11, v0, v26, 0
	v_addc_co_u32_e32 v3, vcc, v9, v13, vcc
	v_lshlrev_b64 v[0:1], 2, v[4:5]
	v_add_co_u32_e32 v0, vcc, v2, v0
	v_addc_co_u32_e32 v1, vcc, v3, v1, vcc
	v_mov_b32_e32 v2, s21
	v_add_co_u32_e32 v6, vcc, s20, v0
	v_addc_co_u32_e32 v7, vcc, v2, v1, vcc
	s_mov_b64 s[0:1], 0
	v_max_f32_e64 v5, s18, s18
	v_max_f32_e64 v15, s19, s19
	s_mov_b32 s8, 0x43800000
	s_mov_b32 s9, 0x3bffffff
	;; [unrolled: 1-line block ×4, first 2 shown]
	s_movk_i32 s12, 0x80
	s_mov_b32 s13, 0x4020c0c
	s_branch .LBB11_40
.LBB11_38:                              ;   in Loop: Header=BB11_40 Depth=1
	s_or_b64 exec, exec, s[6:7]
.LBB11_39:                              ;   in Loop: Header=BB11_40 Depth=1
	s_or_b64 exec, exec, s[2:3]
	v_lshlrev_b32_e32 v2, 16, v2
	v_perm_b32 v1, v1, v2, s13
	v_lshlrev_b32_e32 v2, 8, v16
	v_and_b32_e32 v2, 0xff00, v2
	v_and_b32_e32 v0, 0xff, v0
	v_add_u32_e32 v4, 16, v4
	v_or3_b32 v0, v1, v2, v0
	v_cmp_ge_i32_e32 vcc, v4, v24
	global_store_dword v[6:7], v0, off
	s_or_b64 s[0:1], vcc, s[0:1]
	v_add_co_u32_e32 v6, vcc, 64, v6
	v_add_u32_e32 v11, 0x100, v11
	v_addc_co_u32_e32 v7, vcc, 0, v7, vcc
	s_andn2_b64 exec, exec, s[0:1]
	s_cbranch_execz .LBB11_71
.LBB11_40:                              ; =>This Inner Loop Header: Depth=1
	ds_read_b128 v[0:3], v11
	v_mov_b32_e32 v16, 0x80
	s_waitcnt lgkmcnt(0)
	v_div_scale_f32 v17, s[2:3], v8, v8, v0
	v_rcp_f32_e32 v18, v17
	v_div_scale_f32 v19, vcc, v0, v8, v0
	v_fma_f32 v25, -v17, v18, 1.0
	v_fmac_f32_e32 v18, v25, v18
	v_mul_f32_e32 v25, v19, v18
	v_fma_f32 v26, -v17, v25, v19
	v_fmac_f32_e32 v25, v26, v18
	v_fma_f32 v17, -v17, v25, v19
	v_div_fmas_f32 v17, v17, v18, v25
	v_div_fixup_f32 v0, v17, v8, v0
	v_max_f32_e32 v0, v0, v5
	v_min_f32_e32 v17, v0, v15
	v_and_b32_e32 v18, 0x7fffffff, v17
	v_cmp_gt_u32_e32 vcc, s8, v18
	v_mov_b32_e32 v0, 0x80
	s_and_saveexec_b64 s[2:3], vcc
	s_cbranch_execz .LBB11_46
; %bb.41:                               ;   in Loop: Header=BB11_40 Depth=1
	v_cmp_lt_u32_e32 vcc, s9, v18
	s_mov_b64 s[4:5], 0
                                        ; implicit-def: $vgpr18
	s_and_saveexec_b64 s[6:7], vcc
	s_xor_b64 s[6:7], exec, s[6:7]
	s_cbranch_execnz .LBB11_62
; %bb.42:                               ;   in Loop: Header=BB11_40 Depth=1
	s_or_saveexec_b64 s[6:7], s[6:7]
                                        ; implicit-def: $sgpr14
	s_xor_b64 exec, exec, s[6:7]
	s_cbranch_execnz .LBB11_63
.LBB11_43:                              ;   in Loop: Header=BB11_40 Depth=1
	s_or_b64 exec, exec, s[6:7]
	v_mov_b32_e32 v0, s14
	s_and_saveexec_b64 s[6:7], s[4:5]
.LBB11_44:                              ;   in Loop: Header=BB11_40 Depth=1
	v_lshrrev_b32_e32 v0, 24, v17
	v_and_or_b32 v0, v0, s12, v18
.LBB11_45:                              ;   in Loop: Header=BB11_40 Depth=1
	s_or_b64 exec, exec, s[6:7]
.LBB11_46:                              ;   in Loop: Header=BB11_40 Depth=1
	s_or_b64 exec, exec, s[2:3]
	v_div_scale_f32 v17, s[2:3], v8, v8, v1
	v_rcp_f32_e32 v18, v17
	v_div_scale_f32 v19, vcc, v1, v8, v1
	v_fma_f32 v25, -v17, v18, 1.0
	v_fmac_f32_e32 v18, v25, v18
	v_mul_f32_e32 v25, v19, v18
	v_fma_f32 v26, -v17, v25, v19
	v_fmac_f32_e32 v25, v26, v18
	v_fma_f32 v17, -v17, v25, v19
	v_div_fmas_f32 v17, v17, v18, v25
	v_div_fixup_f32 v1, v17, v8, v1
	v_max_f32_e32 v1, v1, v5
	v_min_f32_e32 v1, v1, v15
	v_and_b32_e32 v17, 0x7fffffff, v1
	v_cmp_gt_u32_e32 vcc, s8, v17
	s_and_saveexec_b64 s[2:3], vcc
	s_cbranch_execz .LBB11_52
; %bb.47:                               ;   in Loop: Header=BB11_40 Depth=1
	v_cmp_lt_u32_e32 vcc, s9, v17
	s_mov_b64 s[4:5], 0
                                        ; implicit-def: $vgpr17
	s_and_saveexec_b64 s[6:7], vcc
	s_xor_b64 s[6:7], exec, s[6:7]
	s_cbranch_execnz .LBB11_64
; %bb.48:                               ;   in Loop: Header=BB11_40 Depth=1
	s_or_saveexec_b64 s[6:7], s[6:7]
                                        ; implicit-def: $sgpr14
	s_xor_b64 exec, exec, s[6:7]
	s_cbranch_execnz .LBB11_65
.LBB11_49:                              ;   in Loop: Header=BB11_40 Depth=1
	s_or_b64 exec, exec, s[6:7]
	v_mov_b32_e32 v16, s14
	s_and_saveexec_b64 s[6:7], s[4:5]
.LBB11_50:                              ;   in Loop: Header=BB11_40 Depth=1
	v_lshrrev_b32_e32 v1, 24, v1
	v_and_or_b32 v16, v1, s12, v17
.LBB11_51:                              ;   in Loop: Header=BB11_40 Depth=1
	s_or_b64 exec, exec, s[6:7]
.LBB11_52:                              ;   in Loop: Header=BB11_40 Depth=1
	s_or_b64 exec, exec, s[2:3]
	v_div_scale_f32 v1, s[2:3], v8, v8, v2
	v_rcp_f32_e32 v17, v1
	v_div_scale_f32 v18, vcc, v2, v8, v2
	v_fma_f32 v19, -v1, v17, 1.0
	v_fmac_f32_e32 v17, v19, v17
	v_mul_f32_e32 v19, v18, v17
	v_fma_f32 v25, -v1, v19, v18
	v_fmac_f32_e32 v19, v25, v17
	v_fma_f32 v1, -v1, v19, v18
	v_div_fmas_f32 v1, v1, v17, v19
	v_div_fixup_f32 v1, v1, v8, v2
	v_max_f32_e32 v1, v1, v5
	v_min_f32_e32 v17, v1, v15
	v_and_b32_e32 v18, 0x7fffffff, v17
	v_cmp_gt_u32_e32 vcc, s8, v18
	v_mov_b32_e32 v1, 0x80
	v_mov_b32_e32 v2, 0x80
	s_and_saveexec_b64 s[2:3], vcc
	s_cbranch_execz .LBB11_58
; %bb.53:                               ;   in Loop: Header=BB11_40 Depth=1
	v_cmp_lt_u32_e32 vcc, s9, v18
	s_mov_b64 s[4:5], 0
                                        ; implicit-def: $vgpr18
	s_and_saveexec_b64 s[6:7], vcc
	s_xor_b64 s[6:7], exec, s[6:7]
	s_cbranch_execnz .LBB11_66
; %bb.54:                               ;   in Loop: Header=BB11_40 Depth=1
	s_or_saveexec_b64 s[6:7], s[6:7]
                                        ; implicit-def: $sgpr14
	s_xor_b64 exec, exec, s[6:7]
	s_cbranch_execnz .LBB11_67
.LBB11_55:                              ;   in Loop: Header=BB11_40 Depth=1
	s_or_b64 exec, exec, s[6:7]
	v_mov_b32_e32 v2, s14
	s_and_saveexec_b64 s[6:7], s[4:5]
.LBB11_56:                              ;   in Loop: Header=BB11_40 Depth=1
	v_lshrrev_b32_e32 v2, 24, v17
	v_and_or_b32 v2, v2, s12, v18
.LBB11_57:                              ;   in Loop: Header=BB11_40 Depth=1
	s_or_b64 exec, exec, s[6:7]
.LBB11_58:                              ;   in Loop: Header=BB11_40 Depth=1
	s_or_b64 exec, exec, s[2:3]
	v_div_scale_f32 v17, s[2:3], v8, v8, v3
	v_rcp_f32_e32 v18, v17
	v_div_scale_f32 v19, vcc, v3, v8, v3
	v_fma_f32 v25, -v17, v18, 1.0
	v_fmac_f32_e32 v18, v25, v18
	v_mul_f32_e32 v25, v19, v18
	v_fma_f32 v26, -v17, v25, v19
	v_fmac_f32_e32 v25, v26, v18
	v_fma_f32 v17, -v17, v25, v19
	v_div_fmas_f32 v17, v17, v18, v25
	v_div_fixup_f32 v3, v17, v8, v3
	v_max_f32_e32 v3, v3, v5
	v_min_f32_e32 v3, v3, v15
	v_and_b32_e32 v17, 0x7fffffff, v3
	v_cmp_gt_u32_e32 vcc, s8, v17
	s_and_saveexec_b64 s[2:3], vcc
	s_cbranch_execz .LBB11_39
; %bb.59:                               ;   in Loop: Header=BB11_40 Depth=1
	v_cmp_lt_u32_e32 vcc, s9, v17
	s_mov_b64 s[4:5], 0
                                        ; implicit-def: $vgpr17
	s_and_saveexec_b64 s[6:7], vcc
	s_xor_b64 s[6:7], exec, s[6:7]
	s_cbranch_execnz .LBB11_68
; %bb.60:                               ;   in Loop: Header=BB11_40 Depth=1
	s_or_saveexec_b64 s[6:7], s[6:7]
                                        ; implicit-def: $sgpr14
	s_xor_b64 exec, exec, s[6:7]
	s_cbranch_execnz .LBB11_69
.LBB11_61:                              ;   in Loop: Header=BB11_40 Depth=1
	s_or_b64 exec, exec, s[6:7]
	v_mov_b32_e32 v1, s14
	s_and_saveexec_b64 s[6:7], s[4:5]
	s_cbranch_execz .LBB11_38
	s_branch .LBB11_70
.LBB11_62:                              ;   in Loop: Header=BB11_40 Depth=1
	v_bfe_u32 v0, v17, 20, 1
	v_add3_u32 v0, v17, v0, s10
	s_mov_b64 s[4:5], exec
	v_lshrrev_b32_e32 v18, 20, v0
	s_or_saveexec_b64 s[6:7], s[6:7]
                                        ; implicit-def: $sgpr14
	s_xor_b64 exec, exec, s[6:7]
	s_cbranch_execz .LBB11_43
.LBB11_63:                              ;   in Loop: Header=BB11_40 Depth=1
	v_add_f32_e64 v0, |v17|, s11
	v_and_b32_e32 v18, 0xff, v0
	v_cmp_ne_u32_e32 vcc, 0, v18
	s_andn2_b64 s[4:5], s[4:5], exec
	s_and_b64 s[16:17], vcc, exec
	s_mov_b32 s14, 0
	s_or_b64 s[4:5], s[4:5], s[16:17]
	s_or_b64 exec, exec, s[6:7]
	v_mov_b32_e32 v0, s14
	s_and_saveexec_b64 s[6:7], s[4:5]
	s_cbranch_execnz .LBB11_44
	s_branch .LBB11_45
.LBB11_64:                              ;   in Loop: Header=BB11_40 Depth=1
	v_bfe_u32 v16, v1, 20, 1
	v_add3_u32 v16, v1, v16, s10
	s_mov_b64 s[4:5], exec
	v_lshrrev_b32_e32 v17, 20, v16
	s_or_saveexec_b64 s[6:7], s[6:7]
                                        ; implicit-def: $sgpr14
	s_xor_b64 exec, exec, s[6:7]
	s_cbranch_execz .LBB11_49
.LBB11_65:                              ;   in Loop: Header=BB11_40 Depth=1
	v_add_f32_e64 v16, |v1|, s11
	v_and_b32_e32 v17, 0xff, v16
	v_cmp_ne_u32_e32 vcc, 0, v17
	s_andn2_b64 s[4:5], s[4:5], exec
	s_and_b64 s[16:17], vcc, exec
	s_mov_b32 s14, 0
	s_or_b64 s[4:5], s[4:5], s[16:17]
	s_or_b64 exec, exec, s[6:7]
	v_mov_b32_e32 v16, s14
	s_and_saveexec_b64 s[6:7], s[4:5]
	s_cbranch_execnz .LBB11_50
	s_branch .LBB11_51
.LBB11_66:                              ;   in Loop: Header=BB11_40 Depth=1
	v_bfe_u32 v2, v17, 20, 1
	v_add3_u32 v2, v17, v2, s10
	s_mov_b64 s[4:5], exec
	v_lshrrev_b32_e32 v18, 20, v2
	s_or_saveexec_b64 s[6:7], s[6:7]
                                        ; implicit-def: $sgpr14
	s_xor_b64 exec, exec, s[6:7]
	s_cbranch_execz .LBB11_55
.LBB11_67:                              ;   in Loop: Header=BB11_40 Depth=1
	v_add_f32_e64 v2, |v17|, s11
	v_and_b32_e32 v18, 0xff, v2
	v_cmp_ne_u32_e32 vcc, 0, v18
	s_andn2_b64 s[4:5], s[4:5], exec
	s_and_b64 s[16:17], vcc, exec
	s_mov_b32 s14, 0
	s_or_b64 s[4:5], s[4:5], s[16:17]
	s_or_b64 exec, exec, s[6:7]
	v_mov_b32_e32 v2, s14
	s_and_saveexec_b64 s[6:7], s[4:5]
	s_cbranch_execnz .LBB11_56
	s_branch .LBB11_57
.LBB11_68:                              ;   in Loop: Header=BB11_40 Depth=1
	v_bfe_u32 v1, v3, 20, 1
	v_add3_u32 v1, v3, v1, s10
	s_mov_b64 s[4:5], exec
	v_lshrrev_b32_e32 v17, 20, v1
	s_or_saveexec_b64 s[6:7], s[6:7]
                                        ; implicit-def: $sgpr14
	s_xor_b64 exec, exec, s[6:7]
	s_cbranch_execz .LBB11_61
.LBB11_69:                              ;   in Loop: Header=BB11_40 Depth=1
	v_add_f32_e64 v1, |v3|, s11
	v_and_b32_e32 v17, 0xff, v1
	v_cmp_ne_u32_e32 vcc, 0, v17
	s_andn2_b64 s[4:5], s[4:5], exec
	s_and_b64 s[16:17], vcc, exec
	s_mov_b32 s14, 0
	s_or_b64 s[4:5], s[4:5], s[16:17]
	s_or_b64 exec, exec, s[6:7]
	v_mov_b32_e32 v1, s14
	s_and_saveexec_b64 s[6:7], s[4:5]
	s_cbranch_execz .LBB11_38
.LBB11_70:                              ;   in Loop: Header=BB11_40 Depth=1
	v_lshrrev_b32_e32 v1, 24, v3
	v_and_or_b32 v1, v1, s12, v17
	s_branch .LBB11_38
.LBB11_71:
	s_or_b64 exec, exec, s[24:25]
	v_lshlrev_b32_e32 v2, 2, v24
	v_add_u32_e32 v0, v2, v10
	v_cmp_lt_i32_e32 vcc, v0, v21
	s_and_saveexec_b64 s[10:11], vcc
	s_cbranch_execz .LBB11_89
; %bb.72:
	v_add_u32_e32 v1, 16, v0
	v_max_i32_e32 v3, v1, v21
	v_xad_u32 v3, v10, -1, v3
	v_sub_u32_e32 v3, v3, v2
	v_cmp_lt_u32_e32 vcc, 15, v3
	s_mov_b64 s[0:1], 0
	v_lshlrev_b32_e32 v2, 2, v14
                                        ; implicit-def: $vgpr6
	s_and_saveexec_b64 s[2:3], vcc
	s_xor_b64 s[12:13], exec, s[2:3]
	s_cbranch_execnz .LBB11_75
; %bb.73:
	s_andn2_saveexec_b64 s[2:3], s[12:13]
	s_cbranch_execnz .LBB11_78
.LBB11_74:
	s_or_b64 exec, exec, s[2:3]
	s_and_b64 exec, exec, s[0:1]
	s_cbranch_execnz .LBB11_79
	s_branch .LBB11_89
.LBB11_75:
	v_lshrrev_b32_e32 v2, 4, v3
	v_add_u32_e32 v7, 1, v2
	v_lshlrev_b32_e32 v6, 2, v20
	v_lshlrev_b32_e32 v4, 4, v24
	;; [unrolled: 1-line block ×3, first 2 shown]
	v_and_b32_e32 v11, 0x1ffffffe, v7
	s_mov_b32 s0, s18
	s_mov_b32 s1, s18
	s_mov_b32 s2, s19
	s_mov_b32 s3, s19
	v_add3_u32 v4, v6, v4, v2
	v_lshlrev_b32_e32 v5, 2, v10
	v_mov_b32_e32 v3, v8
	v_add3_u32 v10, v4, v5, 0
	s_mov_b64 s[14:15], 0
	v_max_f32_e64 v15, s1, s1
	v_max_f32_e64 v16, s0, s0
	;; [unrolled: 1-line block ×4, first 2 shown]
	s_mov_b32 s17, 0x43800000
	s_brev_b32 s24, 60
	s_mov_b32 s25, 0x487ffff
	s_mov_b32 s16, 0x46000000
	s_movk_i32 s26, 0x80
	v_mov_b32_e32 v19, 0xffffff80
	v_mov_b32_e32 v20, 0
	v_mov_b32_e32 v24, v11
	v_pk_mov_b32 v[4:5], v[0:1], v[0:1] op_sel:[0,1]
.LBB11_76:                              ; =>This Inner Loop Header: Depth=1
	ds_read2_b32 v[28:29], v10 offset1:16
	v_ashrrev_i32_e32 v25, 31, v4
	v_add_co_u32_e32 v30, vcc, v22, v4
	v_mov_b32_e32 v26, v5
	v_addc_co_u32_e32 v31, vcc, v23, v25, vcc
	v_ashrrev_i32_e32 v1, 31, v5
	v_add_co_u32_e32 v26, vcc, v22, v26
	v_addc_co_u32_e32 v27, vcc, v23, v1, vcc
	s_waitcnt lgkmcnt(0)
	v_div_scale_f32 v1, s[2:3], v8, v8, v28
	v_div_scale_f32 v32, s[2:3], v3, v3, v29
	v_rcp_f32_e32 v34, v1
	v_rcp_f32_e32 v35, v32
	v_div_scale_f32 v25, vcc, v28, v8, v28
	v_fma_f32 v36, -v1, v34, 1.0
	v_fma_f32 v37, -v32, v35, 1.0
	v_fmac_f32_e32 v34, v36, v34
	v_div_scale_f32 v33, s[2:3], v29, v3, v29
	v_fmac_f32_e32 v35, v37, v35
	v_mul_f32_e32 v36, v25, v34
	v_mul_f32_e32 v37, v33, v35
	v_fma_f32 v38, -v1, v36, v25
	v_fma_f32 v39, -v32, v37, v33
	v_fmac_f32_e32 v36, v38, v34
	v_fmac_f32_e32 v37, v39, v35
	v_fma_f32 v1, -v1, v36, v25
	v_fma_f32 v25, -v32, v37, v33
	v_div_fmas_f32 v1, v1, v34, v36
	s_mov_b64 vcc, s[2:3]
	v_div_fixup_f32 v1, v1, v8, v28
	v_div_fmas_f32 v25, v25, v35, v37
	v_div_fixup_f32 v25, v25, v3, v29
	v_max_f32_e32 v1, v1, v16
	v_max_f32_e32 v25, v25, v15
	v_min_f32_e32 v1, v1, v17
	v_min_f32_e32 v25, v25, v18
	v_and_b32_e32 v28, 0x7fffffff, v1
	v_bfe_u32 v32, v1, 20, 1
	v_lshrrev_b32_e32 v33, 24, v1
	v_and_b32_e32 v29, 0x7fffffff, v25
	v_cmp_gt_u32_e32 vcc, s17, v28
	v_cmp_gt_u32_e64 s[2:3], s24, v28
	v_bfe_u32 v34, v25, 20, 1
	v_add3_u32 v1, v1, v32, s25
	v_lshrrev_b32_e32 v32, 24, v25
	v_cmp_gt_u32_e64 s[4:5], s17, v29
	v_cmp_gt_u32_e64 s[6:7], s24, v29
	v_add3_u32 v25, v25, v34, s25
	v_lshrrev_b32_e32 v1, 20, v1
	v_pk_add_f32 v[28:29], v[28:29], s[16:17] op_sel_hi:[1,0]
	s_xor_b64 s[8:9], s[2:3], vcc
	v_lshrrev_b32_e32 v25, 20, v25
	v_cndmask_b32_e64 v1, v28, v1, s[8:9]
	s_xor_b64 s[8:9], s[6:7], s[4:5]
	v_cmp_eq_u32_sdwa s[34:35], v28, v20 src0_sel:BYTE_0 src1_sel:DWORD
	v_cndmask_b32_e64 v25, v29, v25, s[8:9]
	v_and_or_b32 v1, v33, s26, v1
	v_add_u32_e32 v24, -2, v24
	v_cmp_eq_u32_sdwa s[28:29], v29, v20 src0_sel:BYTE_0 src1_sel:DWORD
	v_and_or_b32 v25, v32, s26, v25
	v_cndmask_b32_e32 v1, v19, v1, vcc
	s_and_b64 s[2:3], s[2:3], s[34:35]
	v_cmp_eq_u32_e64 s[0:1], 0, v24
	v_cndmask_b32_e64 v25, v19, v25, s[4:5]
	v_cndmask_b32_e64 v1, v1, 0, s[2:3]
	s_and_b64 s[2:3], s[6:7], s[28:29]
	v_add_u32_e32 v5, 32, v5
	v_add_u32_e32 v4, 32, v4
	;; [unrolled: 1-line block ×3, first 2 shown]
	v_cndmask_b32_e64 v25, v25, 0, s[2:3]
	s_or_b64 s[14:15], s[0:1], s[14:15]
	global_store_byte v[30:31], v1, off
	global_store_byte v[26:27], v25, off
	s_andn2_b64 exec, exec, s[14:15]
	s_cbranch_execnz .LBB11_76
; %bb.77:
	s_or_b64 exec, exec, s[14:15]
	v_cmp_ne_u32_e32 vcc, v7, v11
	v_lshl_add_u32 v0, v11, 4, v0
	s_and_b64 s[0:1], vcc, exec
                                        ; implicit-def: $vgpr20
	s_andn2_saveexec_b64 s[2:3], s[12:13]
	s_cbranch_execz .LBB11_74
.LBB11_78:
	v_lshlrev_b32_e32 v6, 2, v20
	s_or_b64 s[0:1], s[0:1], exec
	s_or_b64 exec, exec, s[2:3]
	s_and_b64 exec, exec, s[0:1]
	s_cbranch_execz .LBB11_89
.LBB11_79:
	v_lshl_add_u32 v1, v0, 2, v6
	v_add3_u32 v1, v1, v2, 0
	v_add_co_u32_e32 v2, vcc, v14, v12
	v_addc_co_u32_e32 v3, vcc, v9, v13, vcc
	v_ashrrev_i32_e32 v4, 31, v0
	v_add_co_u32_e32 v2, vcc, v2, v0
	v_addc_co_u32_e32 v3, vcc, v3, v4, vcc
	v_mov_b32_e32 v4, s21
	v_add_co_u32_e32 v2, vcc, s20, v2
	v_addc_co_u32_e32 v3, vcc, v4, v3, vcc
	s_mov_b64 s[0:1], 0
	v_max_f32_e64 v4, s18, s18
	v_max_f32_e64 v5, s19, s19
	s_mov_b32 s8, 0x43800000
	s_mov_b32 s9, 0x3bffffff
	;; [unrolled: 1-line block ×4, first 2 shown]
	s_movk_i32 s14, 0x80
	s_branch .LBB11_82
.LBB11_80:                              ;   in Loop: Header=BB11_82 Depth=1
	s_or_b64 exec, exec, s[6:7]
.LBB11_81:                              ;   in Loop: Header=BB11_82 Depth=1
	s_or_b64 exec, exec, s[2:3]
	v_add_u32_e32 v0, 16, v0
	v_cmp_ge_i32_e32 vcc, v0, v21
	global_store_byte v[2:3], v9, off
	s_or_b64 s[0:1], vcc, s[0:1]
	v_add_co_u32_e32 v2, vcc, 16, v2
	v_add_u32_e32 v1, 64, v1
	v_addc_co_u32_e32 v3, vcc, 0, v3, vcc
	s_andn2_b64 exec, exec, s[0:1]
	s_cbranch_execz .LBB11_89
.LBB11_82:                              ; =>This Inner Loop Header: Depth=1
	ds_read_b32 v6, v1
	s_waitcnt lgkmcnt(0)
	v_div_scale_f32 v7, s[2:3], v8, v8, v6
	v_rcp_f32_e32 v9, v7
	v_div_scale_f32 v10, vcc, v6, v8, v6
	v_fma_f32 v11, -v7, v9, 1.0
	v_fmac_f32_e32 v9, v11, v9
	v_mul_f32_e32 v11, v10, v9
	v_fma_f32 v12, -v7, v11, v10
	v_fmac_f32_e32 v11, v12, v9
	v_fma_f32 v7, -v7, v11, v10
	v_div_fmas_f32 v7, v7, v9, v11
	v_div_fixup_f32 v6, v7, v8, v6
	v_max_f32_e32 v6, v6, v4
	v_min_f32_e32 v6, v6, v5
	v_and_b32_e32 v7, 0x7fffffff, v6
	v_cmp_gt_u32_e32 vcc, s8, v7
	v_mov_b32_e32 v9, 0x80
	s_and_saveexec_b64 s[2:3], vcc
	s_cbranch_execz .LBB11_81
; %bb.83:                               ;   in Loop: Header=BB11_82 Depth=1
	v_cmp_lt_u32_e32 vcc, s9, v7
	s_mov_b64 s[4:5], 0
                                        ; implicit-def: $vgpr7
	s_and_saveexec_b64 s[6:7], vcc
	s_xor_b64 s[6:7], exec, s[6:7]
	s_cbranch_execnz .LBB11_86
; %bb.84:                               ;   in Loop: Header=BB11_82 Depth=1
	s_or_saveexec_b64 s[6:7], s[6:7]
                                        ; implicit-def: $sgpr15
	s_xor_b64 exec, exec, s[6:7]
	s_cbranch_execnz .LBB11_87
.LBB11_85:                              ;   in Loop: Header=BB11_82 Depth=1
	s_or_b64 exec, exec, s[6:7]
	v_mov_b32_e32 v9, s15
	s_and_saveexec_b64 s[6:7], s[4:5]
	s_cbranch_execz .LBB11_80
	s_branch .LBB11_88
.LBB11_86:                              ;   in Loop: Header=BB11_82 Depth=1
	v_bfe_u32 v7, v6, 20, 1
	v_add3_u32 v7, v6, v7, s12
	s_mov_b64 s[4:5], exec
	v_lshrrev_b32_e32 v7, 20, v7
	s_or_saveexec_b64 s[6:7], s[6:7]
                                        ; implicit-def: $sgpr15
	s_xor_b64 exec, exec, s[6:7]
	s_cbranch_execz .LBB11_85
.LBB11_87:                              ;   in Loop: Header=BB11_82 Depth=1
	v_add_f32_e64 v7, |v6|, s13
	v_and_b32_e32 v7, 0xff, v7
	v_cmp_ne_u32_e32 vcc, 0, v7
	s_andn2_b64 s[4:5], s[4:5], exec
	s_and_b64 s[16:17], vcc, exec
	s_mov_b32 s15, 0
	s_or_b64 s[4:5], s[4:5], s[16:17]
	s_or_b64 exec, exec, s[6:7]
	v_mov_b32_e32 v9, s15
	s_and_saveexec_b64 s[6:7], s[4:5]
	s_cbranch_execz .LBB11_80
.LBB11_88:                              ;   in Loop: Header=BB11_82 Depth=1
	v_lshrrev_b32_e32 v6, 24, v6
	v_and_or_b32 v9, v6, s14, v7
	s_branch .LBB11_80
.LBB11_89:
	s_or_b64 exec, exec, s[10:11]
                                        ; implicit-def: $vgpr10
                                        ; implicit-def: $vgpr20
                                        ; implicit-def: $vgpr8
                                        ; implicit-def: $vgpr18
                                        ; implicit-def: $vgpr19
                                        ; implicit-def: $vgpr12_vgpr13
.LBB11_90:
	s_andn2_saveexec_b64 s[0:1], s[22:23]
	s_cbranch_execz .LBB11_133
; %bb.91:
	s_ashr_i32 s27, s31, 2
	v_cmp_gt_i32_e32 vcc, s27, v10
	s_and_saveexec_b64 s[0:1], vcc
	s_cbranch_execz .LBB11_133
; %bb.92:
	v_xad_u32 v0, v10, -1, s27
	v_cmp_lt_u32_e32 vcc, 15, v0
	s_mov_b64 s[0:1], 0
	v_lshlrev_b32_e32 v21, 2, v20
	s_and_saveexec_b64 s[2:3], vcc
	s_xor_b64 s[22:23], exec, s[2:3]
	s_cbranch_execnz .LBB11_95
; %bb.93:
	s_andn2_saveexec_b64 s[2:3], s[22:23]
	s_cbranch_execnz .LBB11_98
.LBB11_94:
	s_or_b64 exec, exec, s[2:3]
	s_and_b64 exec, exec, s[0:1]
	s_cbranch_execnz .LBB11_99
	s_branch .LBB11_133
.LBB11_95:
	v_lshrrev_b32_e32 v0, 4, v0
	v_add_u32_e32 v22, 1, v0
	v_and_b32_e32 v23, 0x1ffffffe, v22
	v_or_b32_e32 v11, 16, v10
	s_mov_b32 s0, s18
	s_mov_b32 s1, s18
	;; [unrolled: 1-line block ×4, first 2 shown]
	v_lshlrev_b32_e32 v21, 2, v20
	v_lshlrev_b32_e32 v0, 4, v10
	v_mov_b32_e32 v9, v8
	v_add3_u32 v20, v21, v0, 0
	s_mov_b64 s[24:25], 0
	v_max_f32_e64 v24, s1, s1
	v_max_f32_e64 v25, s0, s0
	;; [unrolled: 1-line block ×4, first 2 shown]
	s_mov_b32 s33, 0x437fffff
	s_brev_b32 s42, 60
	s_mov_b32 s43, 0x487ffff
	s_mov_b32 s26, 0x46000000
	s_movk_i32 s44, 0xff
	s_movk_i32 s45, 0x80
	v_mov_b32_e32 v28, 0x80
	s_mov_b32 s46, 0x43800000
	s_mov_b32 s47, 0x3bffffff
	s_brev_b32 s48, 1
	v_bfrev_b32_e32 v29, 1
	v_mov_b32_e32 v30, 0x800000
	v_mov_b32_e32 v31, 0x8000
	;; [unrolled: 1-line block ×4, first 2 shown]
	v_pk_mov_b32 v[16:17], v[10:11], v[10:11] op_sel:[0,1]
.LBB11_96:                              ; =>This Inner Loop Header: Depth=1
	ds_read_b128 v[4:7], v20
	ds_read_b128 v[0:3], v20 offset:256
	v_add_u32_e32 v32, -2, v32
	v_add_u32_e32 v20, 0x200, v20
	s_waitcnt lgkmcnt(1)
	v_div_scale_f32 v11, s[0:1], v8, v8, v4
	v_rcp_f32_e32 v14, v11
	v_fma_f32 v33, -v11, v14, 1.0
	v_fmac_f32_e32 v14, v33, v14
	v_div_scale_f32 v33, vcc, v4, v8, v4
	v_mul_f32_e32 v34, v33, v14
	v_fma_f32 v35, -v11, v34, v33
	v_fmac_f32_e32 v34, v35, v14
	v_fma_f32 v11, -v11, v34, v33
	v_div_fmas_f32 v11, v11, v14, v34
	v_div_fixup_f32 v4, v11, v8, v4
	s_waitcnt lgkmcnt(0)
	v_div_scale_f32 v11, s[0:1], v9, v9, v0
	v_rcp_f32_e32 v14, v11
	v_max_f32_e32 v4, v4, v25
	v_min_f32_e32 v4, v4, v26
	v_fma_f32 v33, -v11, v14, 1.0
	v_fmac_f32_e32 v14, v33, v14
	v_div_scale_f32 v33, vcc, v0, v9, v0
	v_mul_f32_e32 v34, v33, v14
	v_fma_f32 v35, -v11, v34, v33
	v_fmac_f32_e32 v34, v35, v14
	v_fma_f32 v11, -v11, v34, v33
	v_div_fmas_f32 v11, v11, v14, v34
	v_div_fixup_f32 v0, v11, v9, v0
	v_max_f32_e32 v0, v0, v24
	v_min_f32_e32 v0, v0, v27
	v_and_b32_e32 v35, 0x7fffffff, v0
	v_and_b32_e32 v34, 0x7fffffff, v4
	v_cmp_lt_u32_e32 vcc, s33, v35
	v_cmp_lt_u32_e64 s[0:1], s33, v34
	v_cmp_gt_u32_e64 s[2:3], s42, v35
	v_cmp_gt_u32_e64 s[4:5], s42, v34
	v_bfe_u32 v11, v4, 20, 1
	v_pk_add_f32 v[34:35], v[34:35], s[26:27] op_sel_hi:[1,0]
	s_xor_b64 s[6:7], s[4:5], s[0:1]
	v_add3_u32 v11, v4, v11, s43
	v_cmp_ne_u32_sdwa s[28:29], v34, v15 src0_sel:BYTE_0 src1_sel:DWORD
	s_xor_b64 s[12:13], s[6:7], -1
	v_bfe_u32 v14, v0, 20, 1
	v_lshrrev_b32_e32 v11, 20, v11
	v_cmp_eq_u32_sdwa s[16:17], v34, v15 src0_sel:BYTE_0 src1_sel:DWORD
	s_and_b64 s[28:29], s[4:5], s[28:29]
	s_xor_b64 s[8:9], s[2:3], vcc
	v_add3_u32 v14, v0, v14, s43
	v_cmp_ne_u32_sdwa s[30:31], v35, v15 src0_sel:BYTE_0 src1_sel:DWORD
	s_or_b64 s[12:13], s[28:29], s[12:13]
	v_cndmask_b32_e64 v11, v11, v34, s[6:7]
	v_and_b32_sdwa v4, v4, s45 dst_sel:DWORD dst_unused:UNUSED_PAD src0_sel:BYTE_3 src1_sel:DWORD
	s_and_b64 s[28:29], s[4:5], s[16:17]
	s_xor_b64 s[10:11], s[8:9], -1
	v_lshrrev_b32_e32 v14, 20, v14
	v_cmp_eq_u32_sdwa s[14:15], v35, v15 src0_sel:BYTE_0 src1_sel:DWORD
	s_and_b64 s[30:31], s[2:3], s[30:31]
	s_or_b64 s[4:5], s[12:13], s[28:29]
	v_and_or_b32 v4, v11, s44, v4
	s_or_b64 s[10:11], s[30:31], s[10:11]
	v_cndmask_b32_e64 v14, v14, v35, s[8:9]
	v_and_b32_sdwa v0, v0, s45 dst_sel:DWORD dst_unused:UNUSED_PAD src0_sel:BYTE_3 src1_sel:DWORD
	s_and_b64 s[30:31], s[2:3], s[14:15]
	s_or_b64 s[14:15], s[4:5], s[0:1]
	v_cndmask_b32_e64 v4, v4, v28, s[0:1]
	v_div_scale_f32 v11, s[0:1], v8, v8, v5
	v_and_or_b32 v0, v14, s44, v0
	v_rcp_f32_e32 v14, v11
	s_or_b64 s[2:3], s[10:11], s[30:31]
	s_or_b64 s[16:17], s[2:3], vcc
	v_cndmask_b32_e32 v0, v0, v28, vcc
	v_fma_f32 v33, -v11, v14, 1.0
	v_fmac_f32_e32 v14, v33, v14
	v_div_scale_f32 v33, vcc, v5, v8, v5
	v_mul_f32_e32 v34, v33, v14
	v_fma_f32 v35, -v11, v34, v33
	v_fmac_f32_e32 v34, v35, v14
	v_fma_f32 v11, -v11, v34, v33
	v_div_fmas_f32 v11, v11, v14, v34
	v_div_fixup_f32 v5, v11, v8, v5
	v_div_scale_f32 v11, s[0:1], v9, v9, v1
	v_rcp_f32_e32 v14, v11
	v_max_f32_e32 v5, v5, v25
	v_min_f32_e32 v5, v5, v26
	v_cndmask_b32_e64 v4, v4, 0, s[28:29]
	v_fma_f32 v33, -v11, v14, 1.0
	v_fmac_f32_e32 v14, v33, v14
	v_div_scale_f32 v33, vcc, v1, v9, v1
	v_mul_f32_e32 v34, v33, v14
	v_fma_f32 v35, -v11, v34, v33
	v_fmac_f32_e32 v34, v35, v14
	v_fma_f32 v11, -v11, v34, v33
	v_div_fmas_f32 v11, v11, v14, v34
	v_div_fixup_f32 v1, v11, v9, v1
	v_max_f32_e32 v1, v1, v24
	v_min_f32_e32 v1, v1, v27
	v_and_b32_e32 v35, 0x7fffffff, v1
	v_and_b32_e32 v34, 0x7fffffff, v5
	v_cmp_gt_u32_e64 s[2:3], s46, v34
	v_cmp_gt_u32_e64 s[4:5], s46, v35
	v_cmp_lt_u32_e32 vcc, s33, v35
	v_cmp_lt_u32_e64 s[0:1], s33, v34
	s_and_b64 s[10:11], s[16:17], s[4:5]
	s_and_b64 s[12:13], s[14:15], s[2:3]
	v_cmp_gt_u32_e64 s[2:3], s42, v34
	v_cmp_gt_u32_e64 s[4:5], s42, v35
	v_cmp_lt_u32_e64 s[6:7], s47, v35
	v_cmp_lt_u32_e64 s[8:9], s47, v34
	v_bfe_u32 v14, v1, 20, 1
	v_pk_add_f32 v[34:35], v[34:35], s[26:27] op_sel_hi:[1,0]
	v_bfe_u32 v11, v5, 20, 1
	v_add3_u32 v14, v1, v14, s43
	v_and_b32_e32 v34, 0xff, v34
	s_and_b64 s[8:9], s[12:13], s[8:9]
	s_and_b64 s[6:7], s[10:11], s[6:7]
	v_add3_u32 v11, v5, v11, s43
	v_lshrrev_b32_e32 v14, 20, v14
	s_and_b64 s[36:37], s[12:13], s[2:3]
	v_and_b32_e32 v33, 0xff, v35
	v_cmp_ne_u32_e64 s[12:13], 0, v34
	v_lshrrev_b32_e32 v11, 20, v11
	v_cmp_eq_u32_e64 s[2:3], 0, v34
	s_and_b64 s[12:13], s[36:37], s[12:13]
	v_cndmask_b32_e64 v14, v33, v14, s[6:7]
	v_lshrrev_b32_e32 v1, 24, v1
	s_and_b64 s[34:35], s[10:11], s[4:5]
	v_cmp_eq_u32_e64 s[4:5], 0, v33
	v_cmp_ne_u32_e64 s[10:11], 0, v33
	s_or_b64 s[12:13], s[12:13], s[8:9]
	v_cndmask_b32_e64 v11, v34, v11, s[8:9]
	v_lshrrev_b32_e32 v5, 24, v5
	v_and_or_b32 v1, v1, s45, v14
	s_and_b64 s[36:37], s[36:37], s[2:3]
	s_and_b64 s[10:11], s[34:35], s[10:11]
	v_and_or_b32 v5, v5, s45, v11
	s_and_b64 s[34:35], s[34:35], s[4:5]
	s_or_b64 s[4:5], s[12:13], s[36:37]
	s_and_b64 s[0:1], s[14:15], s[0:1]
	v_lshlrev_b32_e32 v11, 8, v1
	s_or_b64 s[52:53], s[4:5], s[0:1]
	v_lshlrev_b32_e32 v1, 8, v5
	v_and_b32_e32 v5, 0xff00, v11
	v_div_scale_f32 v11, s[4:5], v8, v8, v6
	v_rcp_f32_e32 v14, v11
	s_and_b64 s[2:3], s[16:17], vcc
	s_or_b64 s[10:11], s[10:11], s[6:7]
	s_or_b64 s[6:7], s[10:11], s[34:35]
	v_fma_f32 v33, -v11, v14, 1.0
	v_fmac_f32_e32 v14, v33, v14
	v_div_scale_f32 v33, vcc, v6, v8, v6
	v_mul_f32_e32 v34, v33, v14
	v_fma_f32 v35, -v11, v34, v33
	v_fmac_f32_e32 v34, v35, v14
	v_fma_f32 v11, -v11, v34, v33
	v_div_fmas_f32 v11, v11, v14, v34
	v_div_fixup_f32 v6, v11, v8, v6
	v_div_scale_f32 v11, s[4:5], v9, v9, v2
	v_rcp_f32_e32 v14, v11
	v_max_f32_e32 v6, v6, v25
	v_min_f32_e32 v6, v6, v26
	s_or_b64 s[50:51], s[6:7], s[2:3]
	v_fma_f32 v33, -v11, v14, 1.0
	v_fmac_f32_e32 v14, v33, v14
	v_div_scale_f32 v33, vcc, v2, v9, v2
	v_mul_f32_e32 v34, v33, v14
	v_fma_f32 v35, -v11, v34, v33
	v_fmac_f32_e32 v34, v35, v14
	v_fma_f32 v11, -v11, v34, v33
	v_div_fmas_f32 v11, v11, v14, v34
	v_div_fixup_f32 v2, v11, v9, v2
	v_max_f32_e32 v2, v2, v24
	v_min_f32_e32 v2, v2, v27
	v_and_b32_e32 v35, 0x7fffffff, v2
	v_and_b32_e32 v34, 0x7fffffff, v6
	v_cmp_gt_u32_e64 s[6:7], s46, v35
	v_cmp_gt_u32_e64 s[8:9], s46, v34
	v_cmp_lt_u32_e32 vcc, s33, v34
	v_cmp_lt_u32_e64 s[4:5], s33, v35
	s_and_b64 s[14:15], s[52:53], s[8:9]
	s_and_b64 s[16:17], s[50:51], s[6:7]
	v_cmp_gt_u32_e64 s[6:7], s42, v35
	v_cmp_gt_u32_e64 s[8:9], s42, v34
	v_cmp_lt_u32_e64 s[10:11], s47, v34
	v_cmp_lt_u32_e64 s[12:13], s47, v35
	v_pk_add_f32 v[34:35], v[34:35], s[26:27] op_sel_hi:[1,0]
	v_and_b32_e32 v33, 0xff, v34
	v_and_b32_e32 v34, 0xff, v35
	s_and_b64 s[12:13], s[16:17], s[12:13]
	v_bfe_u32 v11, v2, 20, 1
	s_and_b64 s[40:41], s[16:17], s[6:7]
	v_cmp_ne_u32_e64 s[16:17], 0, v34
	v_bfe_u32 v14, v6, 20, 1
	v_add3_u32 v11, v2, v11, s43
	v_cmp_eq_u32_e64 s[6:7], 0, v34
	s_and_b64 s[16:17], s[40:41], s[16:17]
	s_and_b64 s[10:11], s[14:15], s[10:11]
	v_add3_u32 v14, v6, v14, s43
	v_lshrrev_b32_e32 v11, 20, v11
	s_and_b64 s[38:39], s[14:15], s[8:9]
	v_cmp_eq_u32_e64 s[8:9], 0, v33
	v_cmp_ne_u32_e64 s[14:15], 0, v33
	s_or_b64 s[16:17], s[16:17], s[12:13]
	s_and_b64 s[40:41], s[40:41], s[6:7]
	v_lshrrev_b32_e32 v14, 20, v14
	s_and_b64 s[14:15], s[38:39], s[14:15]
	v_cndmask_b32_e64 v11, v34, v11, s[12:13]
	v_lshrrev_b32_e32 v2, 24, v2
	s_and_b64 s[38:39], s[38:39], s[8:9]
	s_or_b64 s[8:9], s[16:17], s[40:41]
	s_and_b64 s[4:5], s[50:51], s[4:5]
	v_cndmask_b32_e64 v14, v33, v14, s[10:11]
	v_lshrrev_b32_e32 v6, 24, v6
	v_and_or_b32 v2, v2, s45, v11
	s_and_b64 s[6:7], s[52:53], vcc
	s_or_b64 s[52:53], s[8:9], s[4:5]
	v_div_scale_f32 v11, s[8:9], v8, v8, v7
	v_and_or_b32 v6, v6, s45, v14
	v_rcp_f32_e32 v14, v11
	s_or_b64 s[14:15], s[14:15], s[10:11]
	s_or_b64 s[10:11], s[14:15], s[38:39]
	;; [unrolled: 1-line block ×3, first 2 shown]
	v_fma_f32 v33, -v11, v14, 1.0
	v_fmac_f32_e32 v14, v33, v14
	v_div_scale_f32 v33, vcc, v7, v8, v7
	v_mul_f32_e32 v34, v33, v14
	v_fma_f32 v35, -v11, v34, v33
	v_fmac_f32_e32 v34, v35, v14
	v_fma_f32 v11, -v11, v34, v33
	v_div_fmas_f32 v11, v11, v14, v34
	v_div_fixup_f32 v7, v11, v8, v7
	v_div_scale_f32 v11, s[8:9], v9, v9, v3
	v_rcp_f32_e32 v14, v11
	v_max_f32_e32 v7, v7, v25
	v_min_f32_e32 v7, v7, v26
	v_lshlrev_b32_e32 v6, 16, v6
	v_fma_f32 v33, -v11, v14, 1.0
	v_fmac_f32_e32 v14, v33, v14
	v_div_scale_f32 v33, vcc, v3, v9, v3
	v_mul_f32_e32 v34, v33, v14
	v_fma_f32 v35, -v11, v34, v33
	v_fmac_f32_e32 v34, v35, v14
	v_fma_f32 v11, -v11, v34, v33
	v_div_fmas_f32 v11, v11, v14, v34
	v_div_fixup_f32 v3, v11, v9, v3
	v_max_f32_e32 v3, v3, v24
	v_min_f32_e32 v3, v3, v27
	v_and_b32_e32 v35, 0x7fffffff, v3
	v_and_b32_e32 v34, 0x7fffffff, v7
	v_cmp_gt_u32_e64 s[12:13], s46, v35
	v_bfe_u32 v14, v3, 20, 1
	v_cmp_gt_u32_e64 s[10:11], s46, v34
	s_and_b64 s[54:55], s[52:53], s[12:13]
	v_cmp_lt_u32_e64 s[14:15], s47, v35
	v_bfe_u32 v11, v7, 20, 1
	v_add3_u32 v14, v3, v14, s43
	v_cmp_lt_u32_e32 vcc, s33, v34
	v_cmp_lt_u32_e64 s[8:9], s33, v35
	s_and_b64 s[56:57], s[50:51], s[10:11]
	v_cmp_gt_u32_e64 s[10:11], s42, v34
	v_cmp_gt_u32_e64 s[12:13], s42, v35
	v_cmp_lt_u32_e64 s[16:17], s47, v34
	s_and_b64 s[14:15], s[54:55], s[14:15]
	v_add3_u32 v11, v7, v11, s43
	v_lshrrev_b32_e32 v14, 20, v14
	v_pk_add_f32 v[34:35], v[34:35], s[26:27] op_sel_hi:[1,0]
	s_and_b64 s[16:17], s[56:57], s[16:17]
	v_lshrrev_b32_e32 v11, 20, v11
	v_cndmask_b32_e64 v14, v35, v14, s[14:15]
	v_cndmask_b32_e64 v11, v34, v11, s[16:17]
	v_lshlrev_b32_e32 v14, 24, v14
	s_and_b64 s[8:9], s[52:53], s[8:9]
	v_lshlrev_b32_e32 v11, 24, v11
	v_and_or_b32 v14, v3, s48, v14
	v_and_or_b32 v3, v7, s48, v11
	v_cndmask_b32_e64 v7, v14, v29, s[8:9]
	v_mov_b32_e32 v14, v16
	s_and_b64 s[12:13], s[54:55], s[12:13]
	s_and_b64 s[10:11], s[56:57], s[10:11]
	v_cmp_eq_u32_sdwa s[54:55], v35, v15 src0_sel:BYTE_0 src1_sel:DWORD
	v_cmp_eq_u32_sdwa s[56:57], v34, v15 src0_sel:BYTE_0 src1_sel:DWORD
	s_and_b64 vcc, s[50:51], vcc
	v_lshlrev_b64 v[34:35], 2, v[14:15]
	v_cndmask_b32_e32 v3, v3, v29, vcc
	v_add_co_u32_e32 v34, vcc, v18, v34
	v_mov_b32_e32 v14, v17
	v_lshlrev_b32_e32 v2, 16, v2
	v_and_b32_e32 v6, 0xff0000, v6
	v_addc_co_u32_e32 v35, vcc, v19, v35, vcc
	v_lshlrev_b64 v[36:37], 2, v[14:15]
	v_and_b32_e32 v1, 0xff00, v1
	v_and_b32_e32 v2, 0xff0000, v2
	s_and_b64 s[10:11], s[10:11], s[56:57]
	v_add_co_u32_e32 v36, vcc, v18, v36
	v_cndmask_b32_e64 v6, v6, v30, s[6:7]
	s_and_b64 s[12:13], s[12:13], s[54:55]
	v_addc_co_u32_e32 v37, vcc, v19, v37, vcc
	v_cndmask_b32_e64 v3, v3, 0, s[10:11]
	v_cndmask_b32_e64 v2, v2, v30, s[4:5]
	;; [unrolled: 1-line block ×6, first 2 shown]
	v_or_b32_e32 v3, v3, v6
	v_cndmask_b32_e64 v5, v5, v31, s[2:3]
	v_cndmask_b32_e64 v1, v1, 0, s[36:37]
	v_cmp_eq_u32_e32 vcc, 0, v32
	v_or_b32_e32 v2, v7, v2
	v_cndmask_b32_e64 v5, v5, 0, s[34:35]
	v_cndmask_b32_e64 v0, v0, 0, s[30:31]
	v_or3_b32 v1, v3, v1, v4
	v_add_u32_e32 v17, 32, v17
	v_add_u32_e32 v16, 32, v16
	s_or_b64 s[24:25], vcc, s[24:25]
	v_or3_b32 v0, v2, v5, v0
	global_store_dword v[34:35], v1, off
	global_store_dword v[36:37], v0, off
	s_andn2_b64 exec, exec, s[24:25]
	s_cbranch_execnz .LBB11_96
; %bb.97:
	s_or_b64 exec, exec, s[24:25]
	v_cmp_ne_u32_e32 vcc, v22, v23
	v_lshl_or_b32 v10, v23, 4, v10
	s_and_b64 s[0:1], vcc, exec
	s_andn2_saveexec_b64 s[2:3], s[22:23]
	s_cbranch_execz .LBB11_94
.LBB11_98:
	s_or_b64 s[0:1], s[0:1], exec
	s_or_b64 exec, exec, s[2:3]
	s_and_b64 exec, exec, s[0:1]
	s_cbranch_execz .LBB11_133
.LBB11_99:
	v_lshlrev_b32_e32 v0, 4, v10
	v_mov_b32_e32 v11, 0
	v_add3_u32 v6, v21, v0, 0
	v_lshlrev_b64 v[0:1], 2, v[10:11]
	v_add_co_u32_e32 v0, vcc, v12, v0
	v_addc_co_u32_e32 v1, vcc, v13, v1, vcc
	v_mov_b32_e32 v2, s21
	v_add_co_u32_e32 v4, vcc, s20, v0
	v_addc_co_u32_e32 v5, vcc, v2, v1, vcc
	s_mov_b64 s[0:1], 0
	v_max_f32_e64 v7, s18, s18
	v_max_f32_e64 v9, s19, s19
	s_mov_b32 s8, 0x43800000
	s_mov_b32 s9, 0x3bffffff
	;; [unrolled: 1-line block ×4, first 2 shown]
	s_movk_i32 s12, 0x80
	s_mov_b32 s13, 0x4020c0c
	s_branch .LBB11_102
.LBB11_100:                             ;   in Loop: Header=BB11_102 Depth=1
	s_or_b64 exec, exec, s[6:7]
.LBB11_101:                             ;   in Loop: Header=BB11_102 Depth=1
	s_or_b64 exec, exec, s[2:3]
	v_lshlrev_b32_e32 v2, 16, v2
	v_perm_b32 v1, v1, v2, s13
	v_lshlrev_b32_e32 v2, 8, v11
	v_and_b32_e32 v2, 0xff00, v2
	v_and_b32_e32 v0, 0xff, v0
	v_add_u32_e32 v10, 16, v10
	v_or3_b32 v0, v1, v2, v0
	v_cmp_le_i32_e32 vcc, s27, v10
	global_store_dword v[4:5], v0, off
	s_or_b64 s[0:1], vcc, s[0:1]
	v_add_co_u32_e32 v4, vcc, 64, v4
	v_add_u32_e32 v6, 0x100, v6
	v_addc_co_u32_e32 v5, vcc, 0, v5, vcc
	s_andn2_b64 exec, exec, s[0:1]
	s_cbranch_execz .LBB11_133
.LBB11_102:                             ; =>This Inner Loop Header: Depth=1
	ds_read_b128 v[0:3], v6
	v_mov_b32_e32 v11, 0x80
	s_waitcnt lgkmcnt(0)
	v_div_scale_f32 v12, s[2:3], v8, v8, v0
	v_rcp_f32_e32 v13, v12
	v_div_scale_f32 v14, vcc, v0, v8, v0
	v_fma_f32 v15, -v12, v13, 1.0
	v_fmac_f32_e32 v13, v15, v13
	v_mul_f32_e32 v15, v14, v13
	v_fma_f32 v16, -v12, v15, v14
	v_fmac_f32_e32 v15, v16, v13
	v_fma_f32 v12, -v12, v15, v14
	v_div_fmas_f32 v12, v12, v13, v15
	v_div_fixup_f32 v0, v12, v8, v0
	v_max_f32_e32 v0, v0, v7
	v_min_f32_e32 v12, v0, v9
	v_and_b32_e32 v13, 0x7fffffff, v12
	v_cmp_gt_u32_e32 vcc, s8, v13
	v_mov_b32_e32 v0, 0x80
	s_and_saveexec_b64 s[2:3], vcc
	s_cbranch_execz .LBB11_108
; %bb.103:                              ;   in Loop: Header=BB11_102 Depth=1
	v_cmp_lt_u32_e32 vcc, s9, v13
	s_mov_b64 s[4:5], 0
                                        ; implicit-def: $vgpr13
	s_and_saveexec_b64 s[6:7], vcc
	s_xor_b64 s[6:7], exec, s[6:7]
	s_cbranch_execnz .LBB11_124
; %bb.104:                              ;   in Loop: Header=BB11_102 Depth=1
	s_or_saveexec_b64 s[6:7], s[6:7]
                                        ; implicit-def: $sgpr14
	s_xor_b64 exec, exec, s[6:7]
	s_cbranch_execnz .LBB11_125
.LBB11_105:                             ;   in Loop: Header=BB11_102 Depth=1
	s_or_b64 exec, exec, s[6:7]
	v_mov_b32_e32 v0, s14
	s_and_saveexec_b64 s[6:7], s[4:5]
.LBB11_106:                             ;   in Loop: Header=BB11_102 Depth=1
	v_lshrrev_b32_e32 v0, 24, v12
	v_and_or_b32 v0, v0, s12, v13
.LBB11_107:                             ;   in Loop: Header=BB11_102 Depth=1
	s_or_b64 exec, exec, s[6:7]
.LBB11_108:                             ;   in Loop: Header=BB11_102 Depth=1
	s_or_b64 exec, exec, s[2:3]
	v_div_scale_f32 v12, s[2:3], v8, v8, v1
	v_rcp_f32_e32 v13, v12
	v_div_scale_f32 v14, vcc, v1, v8, v1
	v_fma_f32 v15, -v12, v13, 1.0
	v_fmac_f32_e32 v13, v15, v13
	v_mul_f32_e32 v15, v14, v13
	v_fma_f32 v16, -v12, v15, v14
	v_fmac_f32_e32 v15, v16, v13
	v_fma_f32 v12, -v12, v15, v14
	v_div_fmas_f32 v12, v12, v13, v15
	v_div_fixup_f32 v1, v12, v8, v1
	v_max_f32_e32 v1, v1, v7
	v_min_f32_e32 v1, v1, v9
	v_and_b32_e32 v12, 0x7fffffff, v1
	v_cmp_gt_u32_e32 vcc, s8, v12
	s_and_saveexec_b64 s[2:3], vcc
	s_cbranch_execz .LBB11_114
; %bb.109:                              ;   in Loop: Header=BB11_102 Depth=1
	v_cmp_lt_u32_e32 vcc, s9, v12
	s_mov_b64 s[4:5], 0
                                        ; implicit-def: $vgpr12
	s_and_saveexec_b64 s[6:7], vcc
	s_xor_b64 s[6:7], exec, s[6:7]
	s_cbranch_execnz .LBB11_126
; %bb.110:                              ;   in Loop: Header=BB11_102 Depth=1
	s_or_saveexec_b64 s[6:7], s[6:7]
                                        ; implicit-def: $sgpr14
	s_xor_b64 exec, exec, s[6:7]
	s_cbranch_execnz .LBB11_127
.LBB11_111:                             ;   in Loop: Header=BB11_102 Depth=1
	s_or_b64 exec, exec, s[6:7]
	v_mov_b32_e32 v11, s14
	s_and_saveexec_b64 s[6:7], s[4:5]
.LBB11_112:                             ;   in Loop: Header=BB11_102 Depth=1
	v_lshrrev_b32_e32 v1, 24, v1
	v_and_or_b32 v11, v1, s12, v12
.LBB11_113:                             ;   in Loop: Header=BB11_102 Depth=1
	s_or_b64 exec, exec, s[6:7]
.LBB11_114:                             ;   in Loop: Header=BB11_102 Depth=1
	s_or_b64 exec, exec, s[2:3]
	v_div_scale_f32 v1, s[2:3], v8, v8, v2
	v_rcp_f32_e32 v12, v1
	v_div_scale_f32 v13, vcc, v2, v8, v2
	v_fma_f32 v14, -v1, v12, 1.0
	v_fmac_f32_e32 v12, v14, v12
	v_mul_f32_e32 v14, v13, v12
	v_fma_f32 v15, -v1, v14, v13
	v_fmac_f32_e32 v14, v15, v12
	v_fma_f32 v1, -v1, v14, v13
	v_div_fmas_f32 v1, v1, v12, v14
	v_div_fixup_f32 v1, v1, v8, v2
	v_max_f32_e32 v1, v1, v7
	v_min_f32_e32 v12, v1, v9
	v_and_b32_e32 v13, 0x7fffffff, v12
	v_cmp_gt_u32_e32 vcc, s8, v13
	v_mov_b32_e32 v1, 0x80
	v_mov_b32_e32 v2, 0x80
	s_and_saveexec_b64 s[2:3], vcc
	s_cbranch_execz .LBB11_120
; %bb.115:                              ;   in Loop: Header=BB11_102 Depth=1
	v_cmp_lt_u32_e32 vcc, s9, v13
	s_mov_b64 s[4:5], 0
                                        ; implicit-def: $vgpr13
	s_and_saveexec_b64 s[6:7], vcc
	s_xor_b64 s[6:7], exec, s[6:7]
	s_cbranch_execnz .LBB11_128
; %bb.116:                              ;   in Loop: Header=BB11_102 Depth=1
	s_or_saveexec_b64 s[6:7], s[6:7]
                                        ; implicit-def: $sgpr14
	s_xor_b64 exec, exec, s[6:7]
	s_cbranch_execnz .LBB11_129
.LBB11_117:                             ;   in Loop: Header=BB11_102 Depth=1
	s_or_b64 exec, exec, s[6:7]
	v_mov_b32_e32 v2, s14
	s_and_saveexec_b64 s[6:7], s[4:5]
.LBB11_118:                             ;   in Loop: Header=BB11_102 Depth=1
	v_lshrrev_b32_e32 v2, 24, v12
	v_and_or_b32 v2, v2, s12, v13
.LBB11_119:                             ;   in Loop: Header=BB11_102 Depth=1
	s_or_b64 exec, exec, s[6:7]
.LBB11_120:                             ;   in Loop: Header=BB11_102 Depth=1
	s_or_b64 exec, exec, s[2:3]
	v_div_scale_f32 v12, s[2:3], v8, v8, v3
	v_rcp_f32_e32 v13, v12
	v_div_scale_f32 v14, vcc, v3, v8, v3
	v_fma_f32 v15, -v12, v13, 1.0
	v_fmac_f32_e32 v13, v15, v13
	v_mul_f32_e32 v15, v14, v13
	v_fma_f32 v16, -v12, v15, v14
	v_fmac_f32_e32 v15, v16, v13
	v_fma_f32 v12, -v12, v15, v14
	v_div_fmas_f32 v12, v12, v13, v15
	v_div_fixup_f32 v3, v12, v8, v3
	v_max_f32_e32 v3, v3, v7
	v_min_f32_e32 v3, v3, v9
	v_and_b32_e32 v12, 0x7fffffff, v3
	v_cmp_gt_u32_e32 vcc, s8, v12
	s_and_saveexec_b64 s[2:3], vcc
	s_cbranch_execz .LBB11_101
; %bb.121:                              ;   in Loop: Header=BB11_102 Depth=1
	v_cmp_lt_u32_e32 vcc, s9, v12
	s_mov_b64 s[4:5], 0
                                        ; implicit-def: $vgpr12
	s_and_saveexec_b64 s[6:7], vcc
	s_xor_b64 s[6:7], exec, s[6:7]
	s_cbranch_execnz .LBB11_130
; %bb.122:                              ;   in Loop: Header=BB11_102 Depth=1
	s_or_saveexec_b64 s[6:7], s[6:7]
                                        ; implicit-def: $sgpr14
	s_xor_b64 exec, exec, s[6:7]
	s_cbranch_execnz .LBB11_131
.LBB11_123:                             ;   in Loop: Header=BB11_102 Depth=1
	s_or_b64 exec, exec, s[6:7]
	v_mov_b32_e32 v1, s14
	s_and_saveexec_b64 s[6:7], s[4:5]
	s_cbranch_execz .LBB11_100
	s_branch .LBB11_132
.LBB11_124:                             ;   in Loop: Header=BB11_102 Depth=1
	v_bfe_u32 v0, v12, 20, 1
	v_add3_u32 v0, v12, v0, s10
	s_mov_b64 s[4:5], exec
	v_lshrrev_b32_e32 v13, 20, v0
	s_or_saveexec_b64 s[6:7], s[6:7]
                                        ; implicit-def: $sgpr14
	s_xor_b64 exec, exec, s[6:7]
	s_cbranch_execz .LBB11_105
.LBB11_125:                             ;   in Loop: Header=BB11_102 Depth=1
	v_add_f32_e64 v0, |v12|, s11
	v_and_b32_e32 v13, 0xff, v0
	v_cmp_ne_u32_e32 vcc, 0, v13
	s_andn2_b64 s[4:5], s[4:5], exec
	s_and_b64 s[16:17], vcc, exec
	s_mov_b32 s14, 0
	s_or_b64 s[4:5], s[4:5], s[16:17]
	s_or_b64 exec, exec, s[6:7]
	v_mov_b32_e32 v0, s14
	s_and_saveexec_b64 s[6:7], s[4:5]
	s_cbranch_execnz .LBB11_106
	s_branch .LBB11_107
.LBB11_126:                             ;   in Loop: Header=BB11_102 Depth=1
	v_bfe_u32 v11, v1, 20, 1
	v_add3_u32 v11, v1, v11, s10
	s_mov_b64 s[4:5], exec
	v_lshrrev_b32_e32 v12, 20, v11
	s_or_saveexec_b64 s[6:7], s[6:7]
                                        ; implicit-def: $sgpr14
	s_xor_b64 exec, exec, s[6:7]
	s_cbranch_execz .LBB11_111
.LBB11_127:                             ;   in Loop: Header=BB11_102 Depth=1
	v_add_f32_e64 v11, |v1|, s11
	v_and_b32_e32 v12, 0xff, v11
	v_cmp_ne_u32_e32 vcc, 0, v12
	s_andn2_b64 s[4:5], s[4:5], exec
	s_and_b64 s[16:17], vcc, exec
	s_mov_b32 s14, 0
	s_or_b64 s[4:5], s[4:5], s[16:17]
	s_or_b64 exec, exec, s[6:7]
	v_mov_b32_e32 v11, s14
	s_and_saveexec_b64 s[6:7], s[4:5]
	s_cbranch_execnz .LBB11_112
	s_branch .LBB11_113
.LBB11_128:                             ;   in Loop: Header=BB11_102 Depth=1
	v_bfe_u32 v2, v12, 20, 1
	v_add3_u32 v2, v12, v2, s10
	s_mov_b64 s[4:5], exec
	v_lshrrev_b32_e32 v13, 20, v2
	s_or_saveexec_b64 s[6:7], s[6:7]
                                        ; implicit-def: $sgpr14
	s_xor_b64 exec, exec, s[6:7]
	s_cbranch_execz .LBB11_117
.LBB11_129:                             ;   in Loop: Header=BB11_102 Depth=1
	v_add_f32_e64 v2, |v12|, s11
	v_and_b32_e32 v13, 0xff, v2
	v_cmp_ne_u32_e32 vcc, 0, v13
	s_andn2_b64 s[4:5], s[4:5], exec
	s_and_b64 s[16:17], vcc, exec
	s_mov_b32 s14, 0
	s_or_b64 s[4:5], s[4:5], s[16:17]
	s_or_b64 exec, exec, s[6:7]
	v_mov_b32_e32 v2, s14
	s_and_saveexec_b64 s[6:7], s[4:5]
	s_cbranch_execnz .LBB11_118
	s_branch .LBB11_119
.LBB11_130:                             ;   in Loop: Header=BB11_102 Depth=1
	v_bfe_u32 v1, v3, 20, 1
	v_add3_u32 v1, v3, v1, s10
	s_mov_b64 s[4:5], exec
	v_lshrrev_b32_e32 v12, 20, v1
	s_or_saveexec_b64 s[6:7], s[6:7]
                                        ; implicit-def: $sgpr14
	s_xor_b64 exec, exec, s[6:7]
	s_cbranch_execz .LBB11_123
.LBB11_131:                             ;   in Loop: Header=BB11_102 Depth=1
	v_add_f32_e64 v1, |v3|, s11
	v_and_b32_e32 v12, 0xff, v1
	v_cmp_ne_u32_e32 vcc, 0, v12
	s_andn2_b64 s[4:5], s[4:5], exec
	s_and_b64 s[16:17], vcc, exec
	s_mov_b32 s14, 0
	s_or_b64 s[4:5], s[4:5], s[16:17]
	s_or_b64 exec, exec, s[6:7]
	v_mov_b32_e32 v1, s14
	s_and_saveexec_b64 s[6:7], s[4:5]
	s_cbranch_execz .LBB11_100
.LBB11_132:                             ;   in Loop: Header=BB11_102 Depth=1
	v_lshrrev_b32_e32 v1, 24, v3
	v_and_or_b32 v1, v1, s12, v12
	s_branch .LBB11_100
.LBB11_133:
	s_endpgm
.LBB11_134:
	v_bfe_u32 v1, v0, 20, 1
	s_mov_b32 s8, 0x487ffff
	v_add3_u32 v1, v0, v1, s8
	s_mov_b64 s[4:5], exec
	v_lshrrev_b32_e32 v1, 20, v1
	s_or_saveexec_b64 s[6:7], s[6:7]
                                        ; implicit-def: $sgpr8
	s_xor_b64 exec, exec, s[6:7]
	s_cbranch_execz .LBB11_25
.LBB11_135:
	s_mov_b32 s8, 0x46000000
	v_add_f32_e64 v1, |v0|, s8
	v_and_b32_e32 v1, 0xff, v1
	v_cmp_ne_u32_e32 vcc, 0, v1
	s_andn2_b64 s[4:5], s[4:5], exec
	s_and_b64 s[10:11], vcc, exec
	s_mov_b32 s8, 0
	s_or_b64 s[4:5], s[4:5], s[10:11]
	s_or_b64 exec, exec, s[6:7]
	v_mov_b32_e32 v2, s8
	s_and_saveexec_b64 s[6:7], s[4:5]
	s_cbranch_execnz .LBB11_26
	s_branch .LBB11_27
	.section	.rodata,"a",@progbits
	.p2align	6, 0x0
	.amdhsa_kernel _Z33per_token_group_quant_8bit_kernelIfN3c1015Float8_e4m3fnuzELb0ELb0EfEvPKT_PvPT3_iiifffii
		.amdhsa_group_segment_fixed_size 0
		.amdhsa_private_segment_fixed_size 0
		.amdhsa_kernarg_size 56
		.amdhsa_user_sgpr_count 6
		.amdhsa_user_sgpr_private_segment_buffer 1
		.amdhsa_user_sgpr_dispatch_ptr 0
		.amdhsa_user_sgpr_queue_ptr 0
		.amdhsa_user_sgpr_kernarg_segment_ptr 1
		.amdhsa_user_sgpr_dispatch_id 0
		.amdhsa_user_sgpr_flat_scratch_init 0
		.amdhsa_user_sgpr_kernarg_preload_length 0
		.amdhsa_user_sgpr_kernarg_preload_offset 0
		.amdhsa_user_sgpr_private_segment_size 0
		.amdhsa_uses_dynamic_stack 0
		.amdhsa_system_sgpr_private_segment_wavefront_offset 0
		.amdhsa_system_sgpr_workgroup_id_x 1
		.amdhsa_system_sgpr_workgroup_id_y 0
		.amdhsa_system_sgpr_workgroup_id_z 0
		.amdhsa_system_sgpr_workgroup_info 0
		.amdhsa_system_vgpr_workitem_id 0
		.amdhsa_next_free_vgpr 44
		.amdhsa_next_free_sgpr 62
		.amdhsa_accum_offset 44
		.amdhsa_reserve_vcc 1
		.amdhsa_reserve_flat_scratch 0
		.amdhsa_float_round_mode_32 0
		.amdhsa_float_round_mode_16_64 0
		.amdhsa_float_denorm_mode_32 3
		.amdhsa_float_denorm_mode_16_64 3
		.amdhsa_dx10_clamp 1
		.amdhsa_ieee_mode 1
		.amdhsa_fp16_overflow 0
		.amdhsa_tg_split 0
		.amdhsa_exception_fp_ieee_invalid_op 0
		.amdhsa_exception_fp_denorm_src 0
		.amdhsa_exception_fp_ieee_div_zero 0
		.amdhsa_exception_fp_ieee_overflow 0
		.amdhsa_exception_fp_ieee_underflow 0
		.amdhsa_exception_fp_ieee_inexact 0
		.amdhsa_exception_int_div_zero 0
	.end_amdhsa_kernel
	.section	.text._Z33per_token_group_quant_8bit_kernelIfN3c1015Float8_e4m3fnuzELb0ELb0EfEvPKT_PvPT3_iiifffii,"axG",@progbits,_Z33per_token_group_quant_8bit_kernelIfN3c1015Float8_e4m3fnuzELb0ELb0EfEvPKT_PvPT3_iiifffii,comdat
.Lfunc_end11:
	.size	_Z33per_token_group_quant_8bit_kernelIfN3c1015Float8_e4m3fnuzELb0ELb0EfEvPKT_PvPT3_iiifffii, .Lfunc_end11-_Z33per_token_group_quant_8bit_kernelIfN3c1015Float8_e4m3fnuzELb0ELb0EfEvPKT_PvPT3_iiifffii
                                        ; -- End function
	.section	.AMDGPU.csdata,"",@progbits
; Kernel info:
; codeLenInByte = 9892
; NumSgprs: 66
; NumVgprs: 44
; NumAgprs: 0
; TotalNumVgprs: 44
; ScratchSize: 0
; MemoryBound: 0
; FloatMode: 240
; IeeeMode: 1
; LDSByteSize: 0 bytes/workgroup (compile time only)
; SGPRBlocks: 8
; VGPRBlocks: 5
; NumSGPRsForWavesPerEU: 66
; NumVGPRsForWavesPerEU: 44
; AccumOffset: 44
; Occupancy: 8
; WaveLimiterHint : 0
; COMPUTE_PGM_RSRC2:SCRATCH_EN: 0
; COMPUTE_PGM_RSRC2:USER_SGPR: 6
; COMPUTE_PGM_RSRC2:TRAP_HANDLER: 0
; COMPUTE_PGM_RSRC2:TGID_X_EN: 1
; COMPUTE_PGM_RSRC2:TGID_Y_EN: 0
; COMPUTE_PGM_RSRC2:TGID_Z_EN: 0
; COMPUTE_PGM_RSRC2:TIDIG_COMP_CNT: 0
; COMPUTE_PGM_RSRC3_GFX90A:ACCUM_OFFSET: 10
; COMPUTE_PGM_RSRC3_GFX90A:TG_SPLIT: 0
	.section	.text._Z33per_token_group_quant_8bit_kernelIN3c104HalfEaLb1ELb1EfEvPKT_PvPT3_iiifffii,"axG",@progbits,_Z33per_token_group_quant_8bit_kernelIN3c104HalfEaLb1ELb1EfEvPKT_PvPT3_iiifffii,comdat
	.protected	_Z33per_token_group_quant_8bit_kernelIN3c104HalfEaLb1ELb1EfEvPKT_PvPT3_iiifffii ; -- Begin function _Z33per_token_group_quant_8bit_kernelIN3c104HalfEaLb1ELb1EfEvPKT_PvPT3_iiifffii
	.globl	_Z33per_token_group_quant_8bit_kernelIN3c104HalfEaLb1ELb1EfEvPKT_PvPT3_iiifffii
	.p2align	8
	.type	_Z33per_token_group_quant_8bit_kernelIN3c104HalfEaLb1ELb1EfEvPKT_PvPT3_iiifffii,@function
_Z33per_token_group_quant_8bit_kernelIN3c104HalfEaLb1ELb1EfEvPKT_PvPT3_iiifffii: ; @_Z33per_token_group_quant_8bit_kernelIN3c104HalfEaLb1ELb1EfEvPKT_PvPT3_iiifffii
; %bb.0:
	s_load_dword s20, s[4:5], 0x18
	s_load_dwordx2 s[0:1], s[4:5], 0x0
	s_load_dwordx4 s[8:11], s[4:5], 0x20
	s_load_dwordx2 s[2:3], s[4:5], 0x30
	v_lshrrev_b32_e32 v4, 4, v0
	s_waitcnt lgkmcnt(0)
	s_ashr_i32 s12, s20, 31
	v_and_b32_e32 v8, 15, v0
	s_mul_i32 s6, s6, s8
	v_add_co_u32_e32 v11, vcc, s6, v4
	v_addc_co_u32_e64 v12, s[6:7], 0, 0, vcc
	v_mul_lo_u32 v0, v12, s20
	v_mul_lo_u32 v1, v11, s12
	v_mad_u64_u32 v[2:3], s[6:7], v11, s20, 0
	v_add3_u32 v3, v3, v1, v0
	v_lshlrev_b64 v[0:1], 1, v[2:3]
	s_and_b32 s8, s20, 7
	v_mov_b32_e32 v6, s1
	v_add_co_u32_e32 v5, vcc, s0, v0
	s_cmp_eq_u32 s8, 0
	v_addc_co_u32_e32 v6, vcc, v6, v1, vcc
	v_mov_b32_e32 v15, 0
	v_and_b32_e32 v14, 15, v5
	s_cselect_b64 s[6:7], -1, 0
	s_cmp_lg_u32 s8, 0
	v_mul_lo_u32 v9, v4, s20
	v_cmp_ne_u64_e32 vcc, 0, v[14:15]
	s_cselect_b64 s[12:13], -1, 0
	v_lshl_add_u32 v10, v9, 1, 0
	s_or_b64 s[12:13], s[12:13], vcc
                                        ; implicit-def: $vgpr13
	s_and_saveexec_b64 s[14:15], s[12:13]
	s_xor_b64 s[12:13], exec, s[14:15]
	s_cbranch_execz .LBB12_12
; %bb.1:
	v_sub_u32_e32 v4, 0, v5
	v_bfe_u32 v4, v4, 1, 3
	v_min_i32_e32 v4, s20, v4
	v_cmp_gt_i32_e32 vcc, v4, v8
	v_mov_b32_e32 v13, s9
	s_and_saveexec_b64 s[14:15], vcc
	s_cbranch_execz .LBB12_3
; %bb.2:
	v_lshlrev_b32_e32 v7, 1, v8
	v_add_co_u32_e32 v14, vcc, v5, v7
	v_addc_co_u32_e32 v15, vcc, 0, v6, vcc
	global_load_ushort v5, v[14:15], off
	v_max_f32_e64 v13, s9, s9
	v_add_u32_e32 v7, v10, v7
	s_waitcnt vmcnt(0)
	v_cvt_f32_f16_e64 v6, |v5|
	ds_write_b16 v7, v5
	v_max_f32_e32 v13, v13, v6
.LBB12_3:
	s_or_b64 exec, exec, s[14:15]
	v_sub_u32_e32 v14, s20, v4
	v_ashrrev_i32_e32 v6, 31, v14
	v_lshrrev_b32_e32 v6, 29, v6
	v_add_u32_e32 v6, v14, v6
	v_ashrrev_i32_e32 v5, 31, v4
	v_ashrrev_i32_e32 v15, 3, v6
	v_cmp_gt_i32_e32 vcc, v15, v8
	v_lshlrev_b32_e32 v16, 1, v4
	v_lshlrev_b64 v[4:5], 1, v[4:5]
	s_and_saveexec_b64 s[14:15], vcc
	s_cbranch_execz .LBB12_7
; %bb.4:
	v_lshlrev_b32_e32 v6, 4, v8
	v_lshl_add_u32 v7, v9, 1, v6
	v_add_co_u32_e32 v6, vcc, v0, v6
	v_add3_u32 v17, v7, v16, 0
	v_addc_co_u32_e32 v7, vcc, 0, v1, vcc
	v_add_co_u32_e32 v6, vcc, v6, v4
	v_addc_co_u32_e32 v7, vcc, v7, v5, vcc
	v_mov_b32_e32 v18, s1
	v_add_co_u32_e32 v6, vcc, s0, v6
	v_addc_co_u32_e32 v7, vcc, v7, v18, vcc
	v_add_co_u32_e32 v6, vcc, 8, v6
	v_addc_co_u32_e32 v7, vcc, 0, v7, vcc
	s_mov_b64 s[16:17], 0
	v_mov_b32_e32 v18, v8
.LBB12_5:                               ; =>This Inner Loop Header: Depth=1
	global_load_dwordx4 v[20:23], v[6:7], off offset:-8
	v_add_co_u32_e32 v6, vcc, 0x100, v6
	v_add_u32_e32 v18, 16, v18
	v_addc_co_u32_e32 v7, vcc, 0, v7, vcc
	v_cmp_ge_i32_e32 vcc, v18, v15
	s_or_b64 s[16:17], vcc, s[16:17]
	s_waitcnt vmcnt(0)
	v_cvt_f32_f16_e64 v19, |v20|
	v_cvt_f32_f16_sdwa v24, |v20| dst_sel:DWORD dst_unused:UNUSED_PAD src0_sel:WORD_1
	v_cvt_f32_f16_e64 v25, |v21|
	v_cvt_f32_f16_sdwa v26, |v21| dst_sel:DWORD dst_unused:UNUSED_PAD src0_sel:WORD_1
	;; [unrolled: 2-line block ×4, first 2 shown]
	v_max3_f32 v13, v13, v19, v24
	v_max3_f32 v13, v13, v25, v26
	;; [unrolled: 1-line block ×3, first 2 shown]
	ds_write_b128 v17, v[20:23]
	v_add_u32_e32 v17, 0x100, v17
	v_max3_f32 v13, v13, v29, v30
	s_andn2_b64 exec, exec, s[16:17]
	s_cbranch_execnz .LBB12_5
; %bb.6:
	s_or_b64 exec, exec, s[16:17]
.LBB12_7:
	s_or_b64 exec, exec, s[14:15]
	v_lshl_add_u32 v6, v15, 3, v8
	v_cmp_lt_i32_e32 vcc, v6, v14
	s_and_saveexec_b64 s[14:15], vcc
	s_cbranch_execz .LBB12_11
; %bb.8:
	v_lshlrev_b32_e32 v7, 1, v9
	v_lshlrev_b32_e32 v15, 4, v15
	v_add3_u32 v7, v7, v15, v16
	v_lshlrev_b32_e32 v15, 1, v8
	v_add3_u32 v15, v7, v15, 0
	v_add_co_u32_e32 v4, vcc, v0, v4
	v_ashrrev_i32_e32 v7, 31, v6
	v_addc_co_u32_e32 v5, vcc, v1, v5, vcc
	v_lshlrev_b64 v[0:1], 1, v[6:7]
	v_add_co_u32_e32 v0, vcc, v4, v0
	v_addc_co_u32_e32 v1, vcc, v5, v1, vcc
	v_mov_b32_e32 v4, s1
	v_add_co_u32_e32 v0, vcc, s0, v0
	v_addc_co_u32_e32 v1, vcc, v4, v1, vcc
	s_mov_b64 s[16:17], 0
.LBB12_9:                               ; =>This Inner Loop Header: Depth=1
	global_load_ushort v4, v[0:1], off
	v_add_co_u32_e32 v0, vcc, 32, v0
	v_add_u32_e32 v6, 16, v6
	v_addc_co_u32_e32 v1, vcc, 0, v1, vcc
	v_max_f32_e32 v5, v13, v13
	v_cmp_ge_i32_e32 vcc, v6, v14
	s_or_b64 s[16:17], vcc, s[16:17]
	s_waitcnt vmcnt(0)
	v_cvt_f32_f16_e64 v7, |v4|
	ds_write_b16 v15, v4
	v_add_u32_e32 v15, 32, v15
	v_max_f32_e32 v13, v5, v7
	s_andn2_b64 exec, exec, s[16:17]
	s_cbranch_execnz .LBB12_9
; %bb.10:
	s_or_b64 exec, exec, s[16:17]
.LBB12_11:
	s_or_b64 exec, exec, s[14:15]
                                        ; implicit-def: $vgpr0_vgpr1
.LBB12_12:
	s_andn2_saveexec_b64 s[12:13], s[12:13]
	s_cbranch_execz .LBB12_18
; %bb.13:
	s_ashr_i32 s8, s20, 3
	v_cmp_gt_i32_e32 vcc, s8, v8
	v_mov_b32_e32 v13, s9
	s_and_saveexec_b64 s[14:15], vcc
	s_cbranch_execz .LBB12_17
; %bb.14:
	v_lshlrev_b32_e32 v5, 4, v8
	v_add_co_u32_e32 v0, vcc, v0, v5
	v_lshlrev_b32_e32 v4, 1, v9
	v_addc_co_u32_e32 v1, vcc, 0, v1, vcc
	v_add3_u32 v4, v4, v5, 0
	v_mov_b32_e32 v5, s1
	v_add_co_u32_e32 v0, vcc, s0, v0
	v_addc_co_u32_e32 v1, vcc, v1, v5, vcc
	v_add_co_u32_e32 v0, vcc, 8, v0
	v_addc_co_u32_e32 v1, vcc, 0, v1, vcc
	s_mov_b64 s[0:1], 0
	v_mov_b32_e32 v13, s9
	v_mov_b32_e32 v5, v8
.LBB12_15:                              ; =>This Inner Loop Header: Depth=1
	global_load_dwordx4 v[14:17], v[0:1], off offset:-8
	v_add_co_u32_e32 v0, vcc, 0x100, v0
	v_add_u32_e32 v5, 16, v5
	v_addc_co_u32_e32 v1, vcc, 0, v1, vcc
	v_cmp_le_i32_e32 vcc, s8, v5
	s_or_b64 s[0:1], vcc, s[0:1]
	s_waitcnt vmcnt(0)
	v_cvt_f32_f16_e64 v6, |v14|
	v_cvt_f32_f16_sdwa v7, |v14| dst_sel:DWORD dst_unused:UNUSED_PAD src0_sel:WORD_1
	v_cvt_f32_f16_e64 v18, |v15|
	v_cvt_f32_f16_sdwa v19, |v15| dst_sel:DWORD dst_unused:UNUSED_PAD src0_sel:WORD_1
	v_cvt_f32_f16_e64 v20, |v16|
	v_cvt_f32_f16_sdwa v21, |v16| dst_sel:DWORD dst_unused:UNUSED_PAD src0_sel:WORD_1
	v_cvt_f32_f16_e64 v22, |v17|
	v_cvt_f32_f16_sdwa v23, |v17| dst_sel:DWORD dst_unused:UNUSED_PAD src0_sel:WORD_1
	v_max3_f32 v6, v13, v6, v7
	v_max3_f32 v6, v6, v18, v19
	;; [unrolled: 1-line block ×3, first 2 shown]
	ds_write_b128 v4, v[14:17]
	v_add_u32_e32 v4, 0x100, v4
	v_max3_f32 v13, v6, v22, v23
	s_andn2_b64 exec, exec, s[0:1]
	s_cbranch_execnz .LBB12_15
; %bb.16:
	s_or_b64 exec, exec, s[0:1]
.LBB12_17:
	s_or_b64 exec, exec, s[14:15]
.LBB12_18:
	s_or_b64 exec, exec, s[12:13]
	v_mbcnt_lo_u32_b32 v0, -1, 0
	v_mbcnt_hi_u32_b32 v0, -1, v0
	v_and_b32_e32 v4, 0x70, v0
	v_xor_b32_e32 v1, 8, v0
	v_add_u32_e32 v4, 16, v4
	v_cmp_lt_i32_e32 vcc, v1, v4
	v_cndmask_b32_e32 v1, v0, v1, vcc
	v_lshlrev_b32_e32 v1, 2, v1
	ds_bpermute_b32 v1, v1, v13
	v_xor_b32_e32 v6, 4, v0
	v_max_f32_e32 v5, v13, v13
	v_cmp_lt_i32_e32 vcc, v6, v4
	s_load_dwordx2 s[8:9], s[4:5], 0x8
	s_waitcnt lgkmcnt(0)
	v_max_f32_e32 v1, v1, v1
	v_max_f32_e32 v1, v5, v1
	v_cndmask_b32_e32 v5, v0, v6, vcc
	v_lshlrev_b32_e32 v5, 2, v5
	ds_bpermute_b32 v5, v5, v1
	v_xor_b32_e32 v6, 2, v0
	v_cmp_lt_i32_e32 vcc, v6, v4
	s_waitcnt lgkmcnt(0)
	v_max_f32_e32 v5, v5, v5
	v_max_f32_e32 v1, v1, v5
	v_cndmask_b32_e32 v5, v0, v6, vcc
	v_lshlrev_b32_e32 v5, 2, v5
	ds_bpermute_b32 v5, v5, v1
	v_xor_b32_e32 v6, 1, v0
	v_cmp_lt_i32_e32 vcc, v6, v4
	v_cndmask_b32_e32 v0, v0, v6, vcc
	v_lshlrev_b32_e32 v0, 2, v0
	s_waitcnt lgkmcnt(0)
	v_max_f32_e32 v5, v5, v5
	v_max_f32_e32 v1, v1, v5
	ds_bpermute_b32 v0, v0, v1
	s_waitcnt lgkmcnt(0)
	v_max_f32_e32 v0, v0, v0
	v_max_f32_e32 v0, v1, v0
	v_div_scale_f32 v1, s[0:1], s11, s11, v0
	v_rcp_f32_e32 v4, v1
	v_div_scale_f32 v5, vcc, v0, s11, v0
	s_mov_b32 s0, 0x2edbe6ff
	v_fma_f32 v6, -v1, v4, 1.0
	v_fmac_f32_e32 v4, v6, v4
	v_mul_f32_e32 v6, v5, v4
	v_fma_f32 v7, -v1, v6, v5
	v_fmac_f32_e32 v6, v7, v4
	v_fma_f32 v1, -v1, v6, v5
	v_div_fmas_f32 v1, v1, v4, v6
	v_div_fixup_f32 v0, v1, s11, v0
	v_max_f32_e64 v0, |v0|, s0
	s_mov_b32 s0, 0x800000
	v_mov_b32_e32 v1, 0x4f800000
	v_cmp_gt_f32_e32 vcc, s0, v0
	v_cndmask_b32_e32 v1, 1.0, v1, vcc
	v_mul_f32_e32 v0, v0, v1
	v_log_f32_e32 v0, v0
	v_mov_b32_e32 v1, 0x42000000
	v_cndmask_b32_e32 v1, 0, v1, vcc
	s_mov_b32 s0, 0xc2fc0000
	v_sub_f32_e32 v0, v0, v1
	v_ceil_f32_e32 v0, v0
	v_mov_b32_e32 v1, 0x42800000
	v_cmp_gt_f32_e32 vcc, s0, v0
	v_cndmask_b32_e32 v1, 0, v1, vcc
	v_add_f32_e32 v0, v0, v1
	v_exp_f32_e32 v0, v0
	v_mov_b32_e32 v1, 0x1f800000
	v_cndmask_b32_e32 v1, 1.0, v1, vcc
	v_cmp_eq_u32_e32 vcc, 0, v8
	v_mul_f32_e32 v0, v0, v1
	s_and_saveexec_b64 s[12:13], vcc
	s_cbranch_execz .LBB12_24
; %bb.19:
	s_load_dwordx2 s[4:5], s[4:5], 0x10
	s_ashr_i32 s0, s2, 31
	v_or_b32_e32 v5, s0, v12
	v_mov_b32_e32 v4, 0
	v_cmp_ne_u64_e32 vcc, 0, v[4:5]
                                        ; implicit-def: $vgpr4_vgpr5
	s_and_saveexec_b64 s[14:15], vcc
	s_xor_b64 s[14:15], exec, s[14:15]
	s_cbranch_execz .LBB12_21
; %bb.20:
	s_add_u32 s18, s2, s0
	s_mov_b32 s16, s0
	s_mov_b32 s17, s0
	s_addc_u32 s19, s0, s0
	s_xor_b64 s[18:19], s[18:19], s[16:17]
	v_cvt_f32_u32_e32 v1, s18
	v_cvt_f32_u32_e32 v4, s19
	s_sub_u32 s0, 0, s18
	s_subb_u32 s1, 0, s19
	v_madmk_f32 v1, v4, 0x4f800000, v1
	v_rcp_f32_e32 v1, v1
	v_mul_f32_e32 v1, 0x5f7ffffc, v1
	v_mul_f32_e32 v4, 0x2f800000, v1
	v_trunc_f32_e32 v4, v4
	v_madmk_f32 v1, v4, 0xcf800000, v1
	v_cvt_u32_f32_e32 v4, v4
	v_cvt_u32_f32_e32 v1, v1
	v_mul_lo_u32 v5, s0, v4
	v_mul_hi_u32 v7, s0, v1
	v_mul_lo_u32 v6, s1, v1
	v_add_u32_e32 v5, v7, v5
	v_mul_lo_u32 v13, s0, v1
	v_add_u32_e32 v5, v5, v6
	v_mul_lo_u32 v7, v1, v5
	v_mul_hi_u32 v14, v1, v13
	v_mul_hi_u32 v6, v1, v5
	v_add_co_u32_e32 v7, vcc, v14, v7
	v_addc_co_u32_e32 v6, vcc, 0, v6, vcc
	v_mul_hi_u32 v15, v4, v13
	v_mul_lo_u32 v13, v4, v13
	v_add_co_u32_e32 v7, vcc, v7, v13
	v_mul_hi_u32 v14, v4, v5
	v_addc_co_u32_e32 v6, vcc, v6, v15, vcc
	v_addc_co_u32_e32 v7, vcc, 0, v14, vcc
	v_mul_lo_u32 v5, v4, v5
	v_add_co_u32_e32 v5, vcc, v6, v5
	v_addc_co_u32_e32 v6, vcc, 0, v7, vcc
	v_add_co_u32_e32 v1, vcc, v1, v5
	v_addc_co_u32_e32 v4, vcc, v4, v6, vcc
	v_mul_lo_u32 v5, s0, v4
	v_mul_hi_u32 v6, s0, v1
	v_add_u32_e32 v5, v6, v5
	v_mul_lo_u32 v6, s1, v1
	v_add_u32_e32 v5, v5, v6
	v_mul_lo_u32 v7, s0, v1
	v_mul_hi_u32 v13, v4, v7
	v_mul_lo_u32 v14, v4, v7
	v_mul_lo_u32 v16, v1, v5
	v_mul_hi_u32 v7, v1, v7
	v_mul_hi_u32 v15, v1, v5
	v_add_co_u32_e32 v7, vcc, v7, v16
	v_addc_co_u32_e32 v15, vcc, 0, v15, vcc
	v_add_co_u32_e32 v7, vcc, v7, v14
	v_mul_hi_u32 v6, v4, v5
	v_addc_co_u32_e32 v7, vcc, v15, v13, vcc
	v_addc_co_u32_e32 v6, vcc, 0, v6, vcc
	v_mul_lo_u32 v5, v4, v5
	v_add_co_u32_e32 v5, vcc, v7, v5
	v_addc_co_u32_e32 v6, vcc, 0, v6, vcc
	v_add_co_u32_e32 v1, vcc, v1, v5
	v_addc_co_u32_e32 v6, vcc, v4, v6, vcc
	v_mad_u64_u32 v[4:5], s[0:1], v11, v6, 0
	v_mul_hi_u32 v7, v11, v1
	v_add_co_u32_e32 v13, vcc, v7, v4
	v_addc_co_u32_e32 v14, vcc, 0, v5, vcc
	v_mad_u64_u32 v[4:5], s[0:1], v12, v6, 0
	v_mad_u64_u32 v[6:7], s[0:1], v12, v1, 0
	v_add_co_u32_e32 v1, vcc, v13, v6
	v_addc_co_u32_e32 v1, vcc, v14, v7, vcc
	v_addc_co_u32_e32 v5, vcc, 0, v5, vcc
	v_add_co_u32_e32 v1, vcc, v1, v4
	v_addc_co_u32_e32 v4, vcc, 0, v5, vcc
	v_mul_lo_u32 v6, s19, v1
	v_mul_lo_u32 v7, s18, v4
	v_mad_u64_u32 v[4:5], s[0:1], s18, v1, 0
	v_add3_u32 v5, v5, v7, v6
	v_sub_u32_e32 v6, v12, v5
	v_mov_b32_e32 v7, s19
	v_sub_co_u32_e32 v4, vcc, v11, v4
	v_subb_co_u32_e64 v6, s[0:1], v6, v7, vcc
	v_subrev_co_u32_e64 v7, s[0:1], s18, v4
	v_subbrev_co_u32_e64 v6, s[0:1], 0, v6, s[0:1]
	v_cmp_le_u32_e64 s[0:1], s19, v6
	v_subb_co_u32_e32 v5, vcc, v12, v5, vcc
	v_cndmask_b32_e64 v13, 0, -1, s[0:1]
	v_cmp_le_u32_e64 s[0:1], s18, v7
	v_cmp_le_u32_e32 vcc, s19, v5
	v_cndmask_b32_e64 v7, 0, -1, s[0:1]
	v_cmp_eq_u32_e64 s[0:1], s19, v6
	v_cndmask_b32_e64 v12, 0, -1, vcc
	v_cmp_le_u32_e32 vcc, s18, v4
	v_cndmask_b32_e64 v6, v13, v7, s[0:1]
	v_cndmask_b32_e64 v4, 0, -1, vcc
	v_cmp_eq_u32_e32 vcc, s19, v5
	v_add_co_u32_e64 v7, s[0:1], 2, v1
	v_add_co_u32_e64 v13, s[0:1], 1, v1
	v_cndmask_b32_e32 v4, v12, v4, vcc
	v_cmp_ne_u32_e32 vcc, 0, v6
	v_cndmask_b32_e32 v5, v13, v7, vcc
	v_cmp_ne_u32_e32 vcc, 0, v4
	v_cndmask_b32_e32 v1, v1, v5, vcc
	v_xor_b32_e32 v1, s16, v1
	v_subrev_co_u32_e32 v4, vcc, s16, v1
.LBB12_21:
	s_andn2_saveexec_b64 s[0:1], s[14:15]
	s_cbranch_execz .LBB12_23
; %bb.22:
	v_cvt_f32_u32_e32 v1, s2
	s_sub_i32 s14, 0, s2
	v_rcp_iflag_f32_e32 v1, v1
	v_mul_f32_e32 v1, 0x4f7ffffe, v1
	v_cvt_u32_f32_e32 v1, v1
	v_mul_lo_u32 v4, s14, v1
	v_mul_hi_u32 v4, v1, v4
	v_add_u32_e32 v1, v1, v4
	v_mul_hi_u32 v1, v11, v1
	v_mul_lo_u32 v4, v1, s2
	v_sub_u32_e32 v4, v11, v4
	v_add_u32_e32 v5, 1, v1
	v_subrev_u32_e32 v6, s2, v4
	v_cmp_le_u32_e32 vcc, s2, v4
	v_cndmask_b32_e32 v4, v4, v6, vcc
	v_cndmask_b32_e32 v1, v1, v5, vcc
	v_add_u32_e32 v5, 1, v1
	v_cmp_le_u32_e32 vcc, s2, v4
	v_cndmask_b32_e32 v4, v1, v5, vcc
.LBB12_23:
	s_or_b64 exec, exec, s[0:1]
	v_mul_lo_u32 v1, v4, s2
	v_sub_u32_e32 v1, v11, v1
	v_mad_u64_u32 v[4:5], s[0:1], v1, s3, v[4:5]
	v_ashrrev_i32_e32 v5, 31, v4
	v_lshlrev_b64 v[4:5], 2, v[4:5]
	s_waitcnt lgkmcnt(0)
	v_mov_b32_e32 v1, s5
	v_add_co_u32_e32 v4, vcc, s4, v4
	v_addc_co_u32_e32 v5, vcc, v1, v5, vcc
	global_store_dword v[4:5], v0, off
.LBB12_24:
	s_or_b64 exec, exec, s[12:13]
	v_and_b32_e32 v4, 15, v10
	v_mov_b32_e32 v5, 0
	v_cmp_ne_u64_e32 vcc, 0, v[4:5]
	s_xor_b64 s[0:1], s[6:7], -1
	s_or_b64 s[0:1], s[0:1], vcc
	s_barrier
	s_and_saveexec_b64 s[2:3], s[0:1]
	s_xor_b64 s[12:13], exec, s[2:3]
	s_cbranch_execz .LBB12_41
; %bb.25:
	v_sub_u32_e32 v5, 0, v10
	v_mov_b32_e32 v4, s9
	v_add_co_u32_e32 v1, vcc, s8, v2
	v_bfe_u32 v5, v5, 1, 3
	v_addc_co_u32_e32 v4, vcc, v4, v3, vcc
	v_min_i32_e32 v11, s20, v5
	v_cmp_gt_i32_e32 vcc, v11, v8
	s_and_saveexec_b64 s[0:1], vcc
	s_cbranch_execz .LBB12_27
; %bb.26:
	v_lshl_add_u32 v5, v8, 1, v10
	ds_read_u16 v5, v5
	v_max_f32_e64 v6, s10, s10
	v_max_f32_e64 v12, s11, s11
	s_waitcnt lgkmcnt(0)
	v_cvt_f32_f16_e32 v5, v5
	v_div_scale_f32 v7, s[2:3], v0, v0, v5
	v_rcp_f32_e32 v10, v7
	v_div_scale_f32 v13, vcc, v5, v0, v5
	v_fma_f32 v14, -v7, v10, 1.0
	v_fmac_f32_e32 v10, v14, v10
	v_mul_f32_e32 v14, v13, v10
	v_fma_f32 v15, -v7, v14, v13
	v_fmac_f32_e32 v14, v15, v10
	v_fma_f32 v7, -v7, v14, v13
	v_div_fmas_f32 v7, v7, v10, v14
	v_div_fixup_f32 v5, v7, v0, v5
	v_max_f32_e32 v5, v5, v6
	v_min_f32_e32 v5, v5, v12
	v_cvt_i32_f32_e32 v5, v5
	v_add_co_u32_e32 v6, vcc, v1, v8
	v_addc_co_u32_e32 v7, vcc, 0, v4, vcc
	global_store_byte v[6:7], v5, off
.LBB12_27:
	s_or_b64 exec, exec, s[0:1]
	v_sub_u32_e32 v18, s20, v11
	v_ashrrev_i32_e32 v6, 31, v18
	v_lshrrev_b32_e32 v6, 29, v6
	v_add_u32_e32 v6, v18, v6
	v_ashrrev_i32_e32 v10, 3, v6
	v_ashrrev_i32_e32 v5, 31, v11
	v_cmp_gt_i32_e32 vcc, v10, v8
	v_lshlrev_b32_e32 v19, 1, v11
	s_and_saveexec_b64 s[0:1], vcc
	s_cbranch_execz .LBB12_30
; %bb.28:
	v_lshlrev_b32_e32 v6, 4, v8
	v_lshl_add_u32 v6, v9, 1, v6
	v_lshlrev_b32_e32 v7, 1, v11
	v_add_co_u32_e32 v2, vcc, v11, v2
	v_add3_u32 v6, v6, v7, 0
	v_addc_co_u32_e32 v3, vcc, v5, v3, vcc
	v_lshlrev_b32_e32 v7, 3, v8
	v_add_co_u32_e32 v2, vcc, v2, v7
	v_addc_co_u32_e32 v3, vcc, 0, v3, vcc
	v_mov_b32_e32 v7, s9
	v_add_co_u32_e32 v2, vcc, s8, v2
	v_addc_co_u32_e32 v3, vcc, v7, v3, vcc
	s_mov_b64 s[2:3], 0
	v_max_f32_e64 v7, s10, s10
	v_max_f32_e64 v12, s11, s11
	v_mov_b32_e32 v13, 8
	v_mov_b32_e32 v14, v8
.LBB12_29:                              ; =>This Inner Loop Header: Depth=1
	ds_read_b128 v[20:23], v6
	v_add_u32_e32 v14, 16, v14
	v_add_u32_e32 v6, 0x100, v6
	s_waitcnt lgkmcnt(0)
	v_cvt_f32_f16_e32 v15, v20
	v_div_scale_f32 v16, s[4:5], v0, v0, v15
	v_rcp_f32_e32 v17, v16
	v_fma_f32 v24, -v16, v17, 1.0
	v_fmac_f32_e32 v17, v24, v17
	v_div_scale_f32 v24, vcc, v15, v0, v15
	v_mul_f32_e32 v25, v24, v17
	v_fma_f32 v26, -v16, v25, v24
	v_fmac_f32_e32 v25, v26, v17
	v_fma_f32 v16, -v16, v25, v24
	v_div_fmas_f32 v16, v16, v17, v25
	v_div_fixup_f32 v15, v16, v0, v15
	v_cvt_f32_f16_sdwa v16, v20 dst_sel:DWORD dst_unused:UNUSED_PAD src0_sel:WORD_1
	v_max_f32_e32 v15, v15, v7
	v_min_f32_e32 v15, v15, v12
	v_cvt_i32_f32_e32 v15, v15
	v_div_scale_f32 v17, s[4:5], v0, v0, v16
	v_rcp_f32_e32 v20, v17
	v_fma_f32 v24, -v17, v20, 1.0
	v_fmac_f32_e32 v20, v24, v20
	v_div_scale_f32 v24, vcc, v16, v0, v16
	v_mul_f32_e32 v25, v24, v20
	v_fma_f32 v26, -v17, v25, v24
	v_fmac_f32_e32 v25, v26, v20
	v_fma_f32 v17, -v17, v25, v24
	v_div_fmas_f32 v17, v17, v20, v25
	v_div_fixup_f32 v16, v17, v0, v16
	v_cvt_f32_f16_e32 v17, v21
	v_max_f32_e32 v16, v16, v7
	v_min_f32_e32 v16, v16, v12
	v_cvt_i32_f32_e32 v16, v16
	v_div_scale_f32 v20, s[4:5], v0, v0, v17
	v_rcp_f32_e32 v24, v20
	v_lshlrev_b32_sdwa v16, v13, v16 dst_sel:DWORD dst_unused:UNUSED_PAD src0_sel:DWORD src1_sel:BYTE_0
	v_fma_f32 v25, -v20, v24, 1.0
	v_fmac_f32_e32 v24, v25, v24
	v_div_scale_f32 v25, vcc, v17, v0, v17
	v_mul_f32_e32 v26, v25, v24
	v_fma_f32 v27, -v20, v26, v25
	v_fmac_f32_e32 v26, v27, v24
	v_fma_f32 v20, -v20, v26, v25
	v_div_fmas_f32 v20, v20, v24, v26
	v_div_fixup_f32 v17, v20, v0, v17
	v_max_f32_e32 v17, v17, v7
	v_min_f32_e32 v17, v17, v12
	v_cvt_i32_f32_e32 v20, v17
	v_cvt_f32_f16_sdwa v17, v21 dst_sel:DWORD dst_unused:UNUSED_PAD src0_sel:WORD_1
	v_and_b32_e32 v20, 0xff, v20
	v_div_scale_f32 v21, s[4:5], v0, v0, v17
	v_rcp_f32_e32 v24, v21
	v_lshlrev_b32_e32 v20, 16, v20
	v_fma_f32 v25, -v21, v24, 1.0
	v_fmac_f32_e32 v24, v25, v24
	v_div_scale_f32 v25, vcc, v17, v0, v17
	v_mul_f32_e32 v26, v25, v24
	v_fma_f32 v27, -v21, v26, v25
	v_fmac_f32_e32 v26, v27, v24
	v_fma_f32 v21, -v21, v26, v25
	v_div_fmas_f32 v21, v21, v24, v26
	v_div_fixup_f32 v17, v21, v0, v17
	v_max_f32_e32 v17, v17, v7
	v_min_f32_e32 v17, v17, v12
	v_cvt_i32_f32_sdwa v21, v17 dst_sel:BYTE_3 dst_unused:UNUSED_PAD src0_sel:DWORD
	v_cvt_f32_f16_e32 v17, v22
	v_cvt_f32_f16_sdwa v22, v22 dst_sel:DWORD dst_unused:UNUSED_PAD src0_sel:WORD_1
	v_or3_b32 v16, v21, v20, v16
	v_div_scale_f32 v24, s[4:5], v0, v0, v17
	v_rcp_f32_e32 v25, v24
	v_or_b32_sdwa v16, v16, v15 dst_sel:DWORD dst_unused:UNUSED_PAD src0_sel:DWORD src1_sel:BYTE_0
	v_fma_f32 v26, -v24, v25, 1.0
	v_fmac_f32_e32 v25, v26, v25
	v_div_scale_f32 v26, vcc, v17, v0, v17
	v_mul_f32_e32 v27, v26, v25
	v_fma_f32 v28, -v24, v27, v26
	v_fmac_f32_e32 v27, v28, v25
	v_fma_f32 v24, -v24, v27, v26
	v_div_fmas_f32 v24, v24, v25, v27
	v_div_fixup_f32 v17, v24, v0, v17
	v_div_scale_f32 v24, s[4:5], v0, v0, v22
	v_rcp_f32_e32 v25, v24
	v_max_f32_e32 v17, v17, v7
	v_min_f32_e32 v17, v17, v12
	v_cvt_i32_f32_e32 v17, v17
	v_fma_f32 v26, -v24, v25, 1.0
	v_fmac_f32_e32 v25, v26, v25
	v_div_scale_f32 v26, vcc, v22, v0, v22
	v_mul_f32_e32 v27, v26, v25
	v_fma_f32 v28, -v24, v27, v26
	v_fmac_f32_e32 v27, v28, v25
	v_fma_f32 v24, -v24, v27, v26
	v_div_fmas_f32 v24, v24, v25, v27
	v_div_fixup_f32 v22, v24, v0, v22
	v_cvt_f32_f16_e32 v24, v23
	v_cvt_f32_f16_sdwa v23, v23 dst_sel:DWORD dst_unused:UNUSED_PAD src0_sel:WORD_1
	v_max_f32_e32 v22, v22, v7
	v_min_f32_e32 v22, v22, v12
	v_div_scale_f32 v25, s[4:5], v0, v0, v24
	v_rcp_f32_e32 v26, v25
	v_cvt_i32_f32_e32 v22, v22
	v_and_b32_e32 v17, 0xff, v17
	v_fma_f32 v27, -v25, v26, 1.0
	v_fmac_f32_e32 v26, v27, v26
	v_div_scale_f32 v27, vcc, v24, v0, v24
	v_mul_f32_e32 v28, v27, v26
	v_fma_f32 v29, -v25, v28, v27
	v_fmac_f32_e32 v28, v29, v26
	v_fma_f32 v25, -v25, v28, v27
	v_div_fmas_f32 v25, v25, v26, v28
	v_div_fixup_f32 v24, v25, v0, v24
	v_div_scale_f32 v25, s[4:5], v0, v0, v23
	v_rcp_f32_e32 v26, v25
	v_max_f32_e32 v24, v24, v7
	v_min_f32_e32 v24, v24, v12
	v_cvt_i32_f32_e32 v24, v24
	v_fma_f32 v27, -v25, v26, 1.0
	v_fmac_f32_e32 v26, v27, v26
	v_div_scale_f32 v27, vcc, v23, v0, v23
	v_mul_f32_e32 v28, v27, v26
	v_fma_f32 v29, -v25, v28, v27
	v_fmac_f32_e32 v28, v29, v26
	v_fma_f32 v25, -v25, v28, v27
	v_div_fmas_f32 v25, v25, v26, v28
	v_div_fixup_f32 v23, v25, v0, v23
	v_max_f32_e32 v23, v23, v7
	v_min_f32_e32 v23, v23, v12
	v_cvt_i32_f32_sdwa v23, v23 dst_sel:BYTE_3 dst_unused:UNUSED_PAD src0_sel:DWORD
	v_and_b32_e32 v24, 0xff, v24
	v_lshlrev_b32_e32 v24, 16, v24
	v_lshlrev_b32_sdwa v22, v13, v22 dst_sel:DWORD dst_unused:UNUSED_PAD src0_sel:DWORD src1_sel:BYTE_0
	v_or_b32_e32 v23, v23, v24
	v_or3_b32 v17, v23, v22, v17
	global_store_dwordx2 v[2:3], v[16:17], off
	v_add_co_u32_e32 v2, vcc, 0x80, v2
	v_addc_co_u32_e32 v3, vcc, 0, v3, vcc
	v_cmp_ge_i32_e32 vcc, v14, v10
	s_or_b64 s[2:3], vcc, s[2:3]
	s_andn2_b64 exec, exec, s[2:3]
	s_cbranch_execnz .LBB12_29
.LBB12_30:
	s_or_b64 exec, exec, s[0:1]
	v_lshlrev_b32_e32 v6, 3, v10
	v_add_u32_e32 v2, v6, v8
	v_cmp_lt_i32_e32 vcc, v2, v18
	s_and_saveexec_b64 s[14:15], vcc
	s_cbranch_execz .LBB12_40
; %bb.31:
	v_add_u32_e32 v3, 16, v2
	v_add_co_u32_e32 v20, vcc, v1, v11
	v_max_i32_e32 v1, v3, v18
	v_xad_u32 v1, v8, -1, v1
	v_addc_co_u32_e32 v21, vcc, v4, v5, vcc
	v_sub_u32_e32 v1, v1, v6
	v_cmp_lt_u32_e32 vcc, 47, v1
	s_mov_b64 s[0:1], 0
                                        ; implicit-def: $vgpr22
	s_and_saveexec_b64 s[2:3], vcc
	s_xor_b64 s[16:17], exec, s[2:3]
	s_cbranch_execnz .LBB12_34
; %bb.32:
	s_andn2_saveexec_b64 s[2:3], s[16:17]
	s_cbranch_execnz .LBB12_37
.LBB12_33:
	s_or_b64 exec, exec, s[2:3]
	s_and_b64 exec, exec, s[0:1]
	s_cbranch_execnz .LBB12_38
	s_branch .LBB12_40
.LBB12_34:
	v_lshrrev_b32_e32 v1, 4, v1
	v_lshlrev_b32_e32 v22, 1, v9
	v_lshlrev_b32_e32 v9, 4, v10
	;; [unrolled: 1-line block ×3, first 2 shown]
	v_add_u32_e32 v23, 1, v1
	v_add_u32_e32 v5, 48, v2
	;; [unrolled: 1-line block ×3, first 2 shown]
	v_add3_u32 v9, v22, v9, v19
	v_lshlrev_b32_e32 v8, 1, v8
	v_and_b32_e32 v24, 0x1ffffffc, v23
	s_mov_b32 s0, s10
	s_mov_b32 s1, s10
	s_mov_b32 s2, s10
	s_mov_b32 s3, s10
	s_mov_b32 s4, s11
	s_mov_b32 s5, s11
	s_mov_b32 s6, s11
	s_mov_b32 s7, s11
	v_add3_u32 v25, v9, v8, 0
	v_pk_mov_b32 v[10:11], v[4:5], v[4:5] op_sel:[0,1]
	v_mov_b32_e32 v1, v0
	v_mov_b32_e32 v6, v0
	;; [unrolled: 1-line block ×3, first 2 shown]
	s_mov_b64 s[18:19], 0
	v_max_f32_e64 v26, s3, s3
	v_max_f32_e64 v27, s2, s2
	v_max_f32_e64 v28, s1, s1
	v_max_f32_e64 v29, s0, s0
	v_max_f32_e64 v30, s4, s4
	v_max_f32_e64 v31, s5, s5
	v_max_f32_e64 v32, s6, s6
	v_max_f32_e64 v33, s7, s7
	v_mov_b32_e32 v34, v24
	v_pk_mov_b32 v[8:9], v[2:3], v[2:3] op_sel:[0,1]
.LBB12_35:                              ; =>This Inner Loop Header: Depth=1
	ds_read_u16 v35, v25
	ds_read_u16 v36, v25 offset:32
	ds_read_u16 v37, v25 offset:64
	;; [unrolled: 1-line block ×3, first 2 shown]
	v_ashrrev_i32_e32 v3, 31, v11
	s_waitcnt lgkmcnt(3)
	v_cvt_f32_f16_e32 v35, v35
	v_ashrrev_i32_e32 v5, 31, v9
	v_ashrrev_i32_e32 v15, 31, v8
	v_add_co_u32_e32 v4, vcc, v20, v9
	v_add_co_u32_e64 v14, s[2:3], v20, v11
	v_add_co_u32_e64 v16, s[4:5], v20, v8
	s_waitcnt lgkmcnt(2)
	v_cvt_f32_f16_e32 v36, v36
	v_addc_co_u32_e64 v17, s[4:5], v21, v15, s[4:5]
	v_addc_co_u32_e32 v5, vcc, v21, v5, vcc
	v_addc_co_u32_e64 v15, vcc, v21, v3, s[2:3]
	s_waitcnt lgkmcnt(0)
	v_cvt_f32_f16_e32 v3, v38
	v_cvt_f32_f16_e32 v37, v37
	v_ashrrev_i32_e32 v13, 31, v10
	v_add_co_u32_e64 v12, s[0:1], v20, v10
	v_addc_co_u32_e64 v13, vcc, v21, v13, s[0:1]
	v_div_scale_f32 v38, s[0:1], v0, v0, v35
	v_div_scale_f32 v40, s[0:1], v1, v1, v36
	v_rcp_f32_e32 v46, v38
	v_div_scale_f32 v42, s[2:3], v6, v6, v37
	v_div_scale_f32 v44, s[4:5], v7, v7, v3
	v_rcp_f32_e32 v47, v40
	v_rcp_f32_e32 v48, v42
	;; [unrolled: 1-line block ×3, first 2 shown]
	v_fma_f32 v50, -v38, v46, 1.0
	v_div_scale_f32 v39, vcc, v35, v0, v35
	v_fma_f32 v51, -v40, v47, 1.0
	v_fmac_f32_e32 v46, v50, v46
	v_div_scale_f32 v41, s[0:1], v36, v1, v36
	v_fma_f32 v52, -v42, v48, 1.0
	v_fma_f32 v53, -v44, v49, 1.0
	v_fmac_f32_e32 v47, v51, v47
	v_mul_f32_e32 v50, v39, v46
	v_div_scale_f32 v43, s[2:3], v37, v6, v37
	v_fmac_f32_e32 v48, v52, v48
	v_fmac_f32_e32 v49, v53, v49
	v_mul_f32_e32 v51, v41, v47
	v_fma_f32 v53, -v38, v50, v39
	v_mul_f32_e32 v52, v43, v48
	v_fmac_f32_e32 v50, v53, v46
	v_fma_f32 v53, -v40, v51, v41
	v_div_scale_f32 v45, s[4:5], v3, v7, v3
	v_fmac_f32_e32 v51, v53, v47
	v_fma_f32 v53, -v42, v52, v43
	v_fmac_f32_e32 v52, v53, v48
	v_mul_f32_e32 v53, v45, v49
	v_fma_f32 v38, -v38, v50, v39
	v_fma_f32 v54, -v44, v53, v45
	;; [unrolled: 1-line block ×3, first 2 shown]
	v_div_fmas_f32 v38, v38, v46, v50
	s_mov_b64 vcc, s[0:1]
	v_fmac_f32_e32 v53, v54, v49
	v_fma_f32 v40, -v42, v52, v43
	v_div_fixup_f32 v35, v38, v0, v35
	v_div_fmas_f32 v38, v39, v47, v51
	s_mov_b64 vcc, s[2:3]
	v_fma_f32 v41, -v44, v53, v45
	v_div_fixup_f32 v36, v38, v1, v36
	v_div_fmas_f32 v38, v40, v48, v52
	s_mov_b64 vcc, s[4:5]
	v_div_fixup_f32 v37, v38, v6, v37
	v_div_fmas_f32 v38, v41, v49, v53
	v_div_fixup_f32 v3, v38, v7, v3
	v_max_f32_e32 v35, v35, v29
	v_max_f32_e32 v36, v36, v28
	;; [unrolled: 1-line block ×4, first 2 shown]
	v_min_f32_e32 v35, v35, v30
	v_min_f32_e32 v36, v36, v31
	;; [unrolled: 1-line block ×4, first 2 shown]
	v_cvt_i32_f32_e32 v35, v35
	v_cvt_i32_f32_sdwa v36, v36 dst_sel:BYTE_1 dst_unused:UNUSED_PAD src0_sel:DWORD
	v_cvt_i32_f32_e32 v37, v37
	v_cvt_i32_f32_sdwa v3, v3 dst_sel:BYTE_1 dst_unused:UNUSED_PAD src0_sel:DWORD
	v_add_u32_e32 v34, -4, v34
	v_cmp_eq_u32_e64 s[6:7], 0, v34
	global_store_byte v[16:17], v35, off
	v_lshrrev_b32_e32 v16, 8, v36
	v_or_b32_sdwa v3, v37, v3 dst_sel:DWORD dst_unused:UNUSED_PAD src0_sel:BYTE_0 src1_sel:DWORD
	v_add_u32_e32 v11, 64, v11
	v_add_u32_e32 v10, 64, v10
	;; [unrolled: 1-line block ×5, first 2 shown]
	s_or_b64 s[18:19], s[6:7], s[18:19]
	global_store_byte v[4:5], v16, off
	global_store_byte v[12:13], v3, off
	v_lshrrev_b32_e32 v3, 8, v3
	global_store_byte v[14:15], v3, off
	s_andn2_b64 exec, exec, s[18:19]
	s_cbranch_execnz .LBB12_35
; %bb.36:
	s_or_b64 exec, exec, s[18:19]
	v_cmp_ne_u32_e32 vcc, v23, v24
	v_lshl_add_u32 v2, v24, 4, v2
	s_and_b64 s[0:1], vcc, exec
                                        ; implicit-def: $vgpr9
	s_andn2_saveexec_b64 s[2:3], s[16:17]
	s_cbranch_execz .LBB12_33
.LBB12_37:
	v_lshlrev_b32_e32 v22, 1, v9
	s_or_b64 s[0:1], s[0:1], exec
	s_or_b64 exec, exec, s[2:3]
	s_and_b64 exec, exec, s[0:1]
	s_cbranch_execz .LBB12_40
.LBB12_38:
	v_lshl_add_u32 v1, v2, 1, v22
	v_add3_u32 v3, v1, v19, 0
	v_ashrrev_i32_e32 v1, 31, v2
	s_mov_b64 s[2:3], 0
	v_max_f32_e64 v4, s10, s10
	v_max_f32_e64 v5, s11, s11
.LBB12_39:                              ; =>This Inner Loop Header: Depth=1
	ds_read_u16 v8, v3
	v_add_co_u32_e32 v6, vcc, v20, v2
	v_addc_co_u32_e32 v7, vcc, v21, v1, vcc
	s_waitcnt lgkmcnt(0)
	v_cvt_f32_f16_e32 v8, v8
	v_add_co_u32_e64 v2, s[0:1], 16, v2
	v_add_u32_e32 v3, 32, v3
	v_div_scale_f32 v9, s[4:5], v0, v0, v8
	v_rcp_f32_e32 v10, v9
	v_div_scale_f32 v11, vcc, v8, v0, v8
	v_fma_f32 v12, -v9, v10, 1.0
	v_fmac_f32_e32 v10, v12, v10
	v_mul_f32_e32 v12, v11, v10
	v_fma_f32 v13, -v9, v12, v11
	v_fmac_f32_e32 v12, v13, v10
	v_fma_f32 v9, -v9, v12, v11
	v_div_fmas_f32 v9, v9, v10, v12
	v_div_fixup_f32 v8, v9, v0, v8
	v_max_f32_e32 v8, v8, v4
	v_min_f32_e32 v8, v8, v5
	v_cvt_i32_f32_e32 v8, v8
	v_addc_co_u32_e64 v1, vcc, 0, v1, s[0:1]
	v_cmp_ge_i32_e32 vcc, v2, v18
	s_or_b64 s[2:3], vcc, s[2:3]
	global_store_byte v[6:7], v8, off
	s_andn2_b64 exec, exec, s[2:3]
	s_cbranch_execnz .LBB12_39
.LBB12_40:
	s_or_b64 exec, exec, s[14:15]
                                        ; implicit-def: $vgpr8
                                        ; implicit-def: $vgpr0
                                        ; implicit-def: $vgpr9
                                        ; implicit-def: $vgpr2_vgpr3
.LBB12_41:
	s_andn2_saveexec_b64 s[0:1], s[12:13]
	s_cbranch_execz .LBB12_45
; %bb.42:
	s_ashr_i32 s16, s20, 3
	v_cmp_gt_i32_e32 vcc, s16, v8
	s_and_saveexec_b64 s[0:1], vcc
	s_cbranch_execz .LBB12_45
; %bb.43:
	v_lshlrev_b32_e32 v1, 1, v9
	v_lshlrev_b32_e32 v4, 4, v8
	v_add3_u32 v1, v1, v4, 0
	v_lshlrev_b32_e32 v4, 3, v8
	v_add_co_u32_e32 v2, vcc, v2, v4
	v_addc_co_u32_e32 v3, vcc, 0, v3, vcc
	v_mov_b32_e32 v4, s9
	v_add_co_u32_e32 v6, vcc, s8, v2
	v_addc_co_u32_e32 v7, vcc, v4, v3, vcc
	s_mov_b64 s[14:15], 0
	v_max_f32_e64 v9, s10, s10
	v_max_f32_e64 v10, s11, s11
	v_mov_b32_e32 v11, 8
.LBB12_44:                              ; =>This Inner Loop Header: Depth=1
	ds_read_b128 v[2:5], v1
	v_add_u32_e32 v8, 16, v8
	v_cmp_le_i32_e32 vcc, s16, v8
	s_or_b64 s[14:15], vcc, s[14:15]
	v_add_u32_e32 v1, 0x100, v1
	s_waitcnt lgkmcnt(0)
	v_cvt_f32_f16_e32 v12, v2
	v_cvt_f32_f16_sdwa v2, v2 dst_sel:DWORD dst_unused:UNUSED_PAD src0_sel:WORD_1
	v_cvt_f32_f16_e32 v13, v3
	v_cvt_f32_f16_sdwa v3, v3 dst_sel:DWORD dst_unused:UNUSED_PAD src0_sel:WORD_1
	v_cvt_f32_f16_e32 v14, v4
	v_div_scale_f32 v16, s[0:1], v0, v0, v12
	v_cvt_f32_f16_sdwa v4, v4 dst_sel:DWORD dst_unused:UNUSED_PAD src0_sel:WORD_1
	v_div_scale_f32 v18, s[0:1], v0, v0, v2
	v_rcp_f32_e32 v32, v16
	v_cvt_f32_f16_e32 v15, v5
	v_div_scale_f32 v20, s[2:3], v0, v0, v13
	v_rcp_f32_e32 v33, v18
	v_div_scale_f32 v22, s[4:5], v0, v0, v3
	v_rcp_f32_e32 v34, v20
	v_cvt_f32_f16_sdwa v5, v5 dst_sel:DWORD dst_unused:UNUSED_PAD src0_sel:WORD_1
	v_div_scale_f32 v24, s[6:7], v0, v0, v14
	v_rcp_f32_e32 v35, v22
	v_div_scale_f32 v26, s[8:9], v0, v0, v4
	v_rcp_f32_e32 v36, v24
	v_fma_f32 v40, -v16, v32, 1.0
	v_div_scale_f32 v17, vcc, v12, v0, v12
	v_div_scale_f32 v28, s[10:11], v0, v0, v15
	v_rcp_f32_e32 v37, v26
	v_fma_f32 v41, -v18, v33, 1.0
	v_fmac_f32_e32 v32, v40, v32
	v_div_scale_f32 v19, s[0:1], v2, v0, v2
	v_rcp_f32_e32 v38, v28
	v_fma_f32 v42, -v20, v34, 1.0
	v_fmac_f32_e32 v33, v41, v33
	v_mul_f32_e32 v40, v17, v32
	v_div_scale_f32 v21, s[2:3], v13, v0, v13
	v_div_scale_f32 v30, s[12:13], v0, v0, v5
	v_fma_f32 v43, -v22, v35, 1.0
	v_fmac_f32_e32 v34, v42, v34
	v_mul_f32_e32 v41, v19, v33
	v_fma_f32 v48, -v16, v40, v17
	v_div_scale_f32 v23, s[4:5], v3, v0, v3
	v_rcp_f32_e32 v39, v30
	v_fma_f32 v44, -v24, v36, 1.0
	v_fmac_f32_e32 v35, v43, v35
	v_mul_f32_e32 v42, v21, v34
	v_fma_f32 v49, -v18, v41, v19
	v_fmac_f32_e32 v40, v48, v32
	v_div_scale_f32 v25, s[6:7], v14, v0, v14
	v_fma_f32 v45, -v26, v37, 1.0
	v_fmac_f32_e32 v36, v44, v36
	v_mul_f32_e32 v43, v23, v35
	v_fma_f32 v50, -v20, v42, v21
	v_fmac_f32_e32 v41, v49, v33
	v_fma_f32 v16, -v16, v40, v17
	v_div_scale_f32 v27, s[8:9], v4, v0, v4
	v_fma_f32 v46, -v28, v38, 1.0
	v_fmac_f32_e32 v37, v45, v37
	v_mul_f32_e32 v44, v25, v36
	v_fma_f32 v51, -v22, v43, v23
	v_fmac_f32_e32 v42, v50, v34
	v_fma_f32 v17, -v18, v41, v19
	v_div_fmas_f32 v16, v16, v32, v40
	s_mov_b64 vcc, s[0:1]
	v_div_scale_f32 v29, s[10:11], v15, v0, v15
	v_fmac_f32_e32 v38, v46, v38
	v_mul_f32_e32 v45, v27, v37
	v_fma_f32 v52, -v24, v44, v25
	v_fmac_f32_e32 v43, v51, v35
	v_fma_f32 v18, -v20, v42, v21
	v_div_fixup_f32 v12, v16, v0, v12
	v_div_fmas_f32 v16, v17, v33, v41
	s_mov_b64 vcc, s[2:3]
	v_fma_f32 v47, -v30, v39, 1.0
	v_mul_f32_e32 v46, v29, v38
	v_fma_f32 v53, -v26, v45, v27
	v_fmac_f32_e32 v44, v52, v36
	v_fma_f32 v19, -v22, v43, v23
	v_div_fixup_f32 v2, v16, v0, v2
	v_div_fmas_f32 v16, v18, v34, v42
	s_mov_b64 vcc, s[4:5]
	v_div_scale_f32 v31, s[12:13], v5, v0, v5
	v_fmac_f32_e32 v39, v47, v39
	v_fma_f32 v54, -v28, v46, v29
	v_fmac_f32_e32 v45, v53, v37
	v_fma_f32 v20, -v24, v44, v25
	v_div_fixup_f32 v13, v16, v0, v13
	v_div_fmas_f32 v16, v19, v35, v43
	s_mov_b64 vcc, s[6:7]
	v_mul_f32_e32 v47, v31, v39
	v_fmac_f32_e32 v46, v54, v38
	v_fma_f32 v21, -v26, v45, v27
	v_div_fixup_f32 v3, v16, v0, v3
	v_div_fmas_f32 v16, v20, v36, v44
	s_mov_b64 vcc, s[8:9]
	v_fma_f32 v55, -v30, v47, v31
	v_fma_f32 v22, -v28, v46, v29
	v_div_fixup_f32 v14, v16, v0, v14
	v_div_fmas_f32 v16, v21, v37, v45
	s_mov_b64 vcc, s[10:11]
	v_fmac_f32_e32 v47, v55, v39
	v_max_f32_e32 v13, v13, v9
	v_div_fixup_f32 v4, v16, v0, v4
	v_div_fmas_f32 v16, v22, v38, v46
	v_fma_f32 v23, -v30, v47, v31
	v_max_f32_e32 v2, v2, v9
	v_min_f32_e32 v13, v13, v10
	v_div_fixup_f32 v15, v16, v0, v15
	s_mov_b64 vcc, s[12:13]
	v_min_f32_e32 v2, v2, v10
	v_max_f32_e32 v3, v3, v9
	v_cvt_i32_f32_e32 v13, v13
	v_max_f32_e32 v4, v4, v9
	v_div_fmas_f32 v16, v23, v39, v47
	v_max_f32_e32 v15, v15, v9
	v_cvt_i32_f32_e32 v2, v2
	v_min_f32_e32 v3, v3, v10
	v_min_f32_e32 v4, v4, v10
	v_div_fixup_f32 v5, v16, v0, v5
	v_min_f32_e32 v15, v15, v10
	v_max_f32_e32 v14, v14, v9
	v_cvt_i32_f32_sdwa v3, v3 dst_sel:BYTE_3 dst_unused:UNUSED_PAD src0_sel:DWORD
	v_cvt_i32_f32_e32 v4, v4
	v_max_f32_e32 v5, v5, v9
	v_cvt_i32_f32_e32 v15, v15
	v_max_f32_e32 v12, v12, v9
	v_min_f32_e32 v14, v14, v10
	v_min_f32_e32 v5, v5, v10
	;; [unrolled: 1-line block ×3, first 2 shown]
	v_cvt_i32_f32_e32 v14, v14
	v_and_b32_e32 v13, 0xff, v13
	v_cvt_i32_f32_sdwa v5, v5 dst_sel:BYTE_3 dst_unused:UNUSED_PAD src0_sel:DWORD
	v_cvt_i32_f32_e32 v12, v12
	v_lshlrev_b32_sdwa v2, v11, v2 dst_sel:DWORD dst_unused:UNUSED_PAD src0_sel:DWORD src1_sel:BYTE_0
	v_lshlrev_b32_e32 v13, 16, v13
	v_or3_b32 v2, v3, v13, v2
	v_lshlrev_b32_sdwa v3, v11, v4 dst_sel:DWORD dst_unused:UNUSED_PAD src0_sel:DWORD src1_sel:BYTE_0
	v_and_b32_e32 v4, 0xff, v15
	v_lshlrev_b32_e32 v4, 16, v4
	v_and_b32_e32 v14, 0xff, v14
	v_or_b32_e32 v4, v5, v4
	v_or_b32_sdwa v2, v2, v12 dst_sel:DWORD dst_unused:UNUSED_PAD src0_sel:DWORD src1_sel:BYTE_0
	v_or3_b32 v3, v4, v3, v14
	global_store_dwordx2 v[6:7], v[2:3], off
	v_add_co_u32_e32 v6, vcc, 0x80, v6
	v_addc_co_u32_e32 v7, vcc, 0, v7, vcc
	s_andn2_b64 exec, exec, s[14:15]
	s_cbranch_execnz .LBB12_44
.LBB12_45:
	s_endpgm
	.section	.rodata,"a",@progbits
	.p2align	6, 0x0
	.amdhsa_kernel _Z33per_token_group_quant_8bit_kernelIN3c104HalfEaLb1ELb1EfEvPKT_PvPT3_iiifffii
		.amdhsa_group_segment_fixed_size 0
		.amdhsa_private_segment_fixed_size 0
		.amdhsa_kernarg_size 56
		.amdhsa_user_sgpr_count 6
		.amdhsa_user_sgpr_private_segment_buffer 1
		.amdhsa_user_sgpr_dispatch_ptr 0
		.amdhsa_user_sgpr_queue_ptr 0
		.amdhsa_user_sgpr_kernarg_segment_ptr 1
		.amdhsa_user_sgpr_dispatch_id 0
		.amdhsa_user_sgpr_flat_scratch_init 0
		.amdhsa_user_sgpr_kernarg_preload_length 0
		.amdhsa_user_sgpr_kernarg_preload_offset 0
		.amdhsa_user_sgpr_private_segment_size 0
		.amdhsa_uses_dynamic_stack 0
		.amdhsa_system_sgpr_private_segment_wavefront_offset 0
		.amdhsa_system_sgpr_workgroup_id_x 1
		.amdhsa_system_sgpr_workgroup_id_y 0
		.amdhsa_system_sgpr_workgroup_id_z 0
		.amdhsa_system_sgpr_workgroup_info 0
		.amdhsa_system_vgpr_workitem_id 0
		.amdhsa_next_free_vgpr 56
		.amdhsa_next_free_sgpr 21
		.amdhsa_accum_offset 56
		.amdhsa_reserve_vcc 1
		.amdhsa_reserve_flat_scratch 0
		.amdhsa_float_round_mode_32 0
		.amdhsa_float_round_mode_16_64 0
		.amdhsa_float_denorm_mode_32 3
		.amdhsa_float_denorm_mode_16_64 3
		.amdhsa_dx10_clamp 1
		.amdhsa_ieee_mode 1
		.amdhsa_fp16_overflow 0
		.amdhsa_tg_split 0
		.amdhsa_exception_fp_ieee_invalid_op 0
		.amdhsa_exception_fp_denorm_src 0
		.amdhsa_exception_fp_ieee_div_zero 0
		.amdhsa_exception_fp_ieee_overflow 0
		.amdhsa_exception_fp_ieee_underflow 0
		.amdhsa_exception_fp_ieee_inexact 0
		.amdhsa_exception_int_div_zero 0
	.end_amdhsa_kernel
	.section	.text._Z33per_token_group_quant_8bit_kernelIN3c104HalfEaLb1ELb1EfEvPKT_PvPT3_iiifffii,"axG",@progbits,_Z33per_token_group_quant_8bit_kernelIN3c104HalfEaLb1ELb1EfEvPKT_PvPT3_iiifffii,comdat
.Lfunc_end12:
	.size	_Z33per_token_group_quant_8bit_kernelIN3c104HalfEaLb1ELb1EfEvPKT_PvPT3_iiifffii, .Lfunc_end12-_Z33per_token_group_quant_8bit_kernelIN3c104HalfEaLb1ELb1EfEvPKT_PvPT3_iiifffii
                                        ; -- End function
	.section	.AMDGPU.csdata,"",@progbits
; Kernel info:
; codeLenInByte = 5468
; NumSgprs: 25
; NumVgprs: 56
; NumAgprs: 0
; TotalNumVgprs: 56
; ScratchSize: 0
; MemoryBound: 0
; FloatMode: 240
; IeeeMode: 1
; LDSByteSize: 0 bytes/workgroup (compile time only)
; SGPRBlocks: 3
; VGPRBlocks: 6
; NumSGPRsForWavesPerEU: 25
; NumVGPRsForWavesPerEU: 56
; AccumOffset: 56
; Occupancy: 8
; WaveLimiterHint : 0
; COMPUTE_PGM_RSRC2:SCRATCH_EN: 0
; COMPUTE_PGM_RSRC2:USER_SGPR: 6
; COMPUTE_PGM_RSRC2:TRAP_HANDLER: 0
; COMPUTE_PGM_RSRC2:TGID_X_EN: 1
; COMPUTE_PGM_RSRC2:TGID_Y_EN: 0
; COMPUTE_PGM_RSRC2:TGID_Z_EN: 0
; COMPUTE_PGM_RSRC2:TIDIG_COMP_CNT: 0
; COMPUTE_PGM_RSRC3_GFX90A:ACCUM_OFFSET: 13
; COMPUTE_PGM_RSRC3_GFX90A:TG_SPLIT: 0
	.section	.text._Z33per_token_group_quant_8bit_kernelIN3c104HalfEaLb1ELb0EfEvPKT_PvPT3_iiifffii,"axG",@progbits,_Z33per_token_group_quant_8bit_kernelIN3c104HalfEaLb1ELb0EfEvPKT_PvPT3_iiifffii,comdat
	.protected	_Z33per_token_group_quant_8bit_kernelIN3c104HalfEaLb1ELb0EfEvPKT_PvPT3_iiifffii ; -- Begin function _Z33per_token_group_quant_8bit_kernelIN3c104HalfEaLb1ELb0EfEvPKT_PvPT3_iiifffii
	.globl	_Z33per_token_group_quant_8bit_kernelIN3c104HalfEaLb1ELb0EfEvPKT_PvPT3_iiifffii
	.p2align	8
	.type	_Z33per_token_group_quant_8bit_kernelIN3c104HalfEaLb1ELb0EfEvPKT_PvPT3_iiifffii,@function
_Z33per_token_group_quant_8bit_kernelIN3c104HalfEaLb1ELb0EfEvPKT_PvPT3_iiifffii: ; @_Z33per_token_group_quant_8bit_kernelIN3c104HalfEaLb1ELb0EfEvPKT_PvPT3_iiifffii
; %bb.0:
	s_load_dword s20, s[4:5], 0x18
	s_load_dwordx2 s[0:1], s[4:5], 0x0
	s_load_dwordx4 s[8:11], s[4:5], 0x20
	s_load_dwordx2 s[2:3], s[4:5], 0x30
	v_lshrrev_b32_e32 v4, 4, v0
	s_waitcnt lgkmcnt(0)
	s_ashr_i32 s12, s20, 31
	v_and_b32_e32 v8, 15, v0
	s_mul_i32 s6, s6, s8
	v_add_co_u32_e32 v11, vcc, s6, v4
	v_addc_co_u32_e64 v12, s[6:7], 0, 0, vcc
	v_mul_lo_u32 v0, v12, s20
	v_mul_lo_u32 v1, v11, s12
	v_mad_u64_u32 v[2:3], s[6:7], v11, s20, 0
	v_add3_u32 v3, v3, v1, v0
	v_lshlrev_b64 v[0:1], 1, v[2:3]
	s_and_b32 s8, s20, 7
	v_mov_b32_e32 v6, s1
	v_add_co_u32_e32 v5, vcc, s0, v0
	s_cmp_eq_u32 s8, 0
	v_addc_co_u32_e32 v6, vcc, v6, v1, vcc
	v_mov_b32_e32 v15, 0
	v_and_b32_e32 v14, 15, v5
	s_cselect_b64 s[6:7], -1, 0
	s_cmp_lg_u32 s8, 0
	v_mul_lo_u32 v9, v4, s20
	v_cmp_ne_u64_e32 vcc, 0, v[14:15]
	s_cselect_b64 s[12:13], -1, 0
	v_lshl_add_u32 v10, v9, 1, 0
	s_or_b64 s[12:13], s[12:13], vcc
                                        ; implicit-def: $vgpr13
	s_and_saveexec_b64 s[14:15], s[12:13]
	s_xor_b64 s[12:13], exec, s[14:15]
	s_cbranch_execz .LBB13_12
; %bb.1:
	v_sub_u32_e32 v4, 0, v5
	v_bfe_u32 v4, v4, 1, 3
	v_min_i32_e32 v4, s20, v4
	v_cmp_gt_i32_e32 vcc, v4, v8
	v_mov_b32_e32 v13, s9
	s_and_saveexec_b64 s[14:15], vcc
	s_cbranch_execz .LBB13_3
; %bb.2:
	v_lshlrev_b32_e32 v7, 1, v8
	v_add_co_u32_e32 v14, vcc, v5, v7
	v_addc_co_u32_e32 v15, vcc, 0, v6, vcc
	global_load_ushort v5, v[14:15], off
	v_max_f32_e64 v13, s9, s9
	v_add_u32_e32 v7, v10, v7
	s_waitcnt vmcnt(0)
	v_cvt_f32_f16_e64 v6, |v5|
	ds_write_b16 v7, v5
	v_max_f32_e32 v13, v13, v6
.LBB13_3:
	s_or_b64 exec, exec, s[14:15]
	v_sub_u32_e32 v14, s20, v4
	v_ashrrev_i32_e32 v6, 31, v14
	v_lshrrev_b32_e32 v6, 29, v6
	v_add_u32_e32 v6, v14, v6
	v_ashrrev_i32_e32 v5, 31, v4
	v_ashrrev_i32_e32 v15, 3, v6
	v_cmp_gt_i32_e32 vcc, v15, v8
	v_lshlrev_b32_e32 v16, 1, v4
	v_lshlrev_b64 v[4:5], 1, v[4:5]
	s_and_saveexec_b64 s[14:15], vcc
	s_cbranch_execz .LBB13_7
; %bb.4:
	v_lshlrev_b32_e32 v6, 4, v8
	v_lshl_add_u32 v7, v9, 1, v6
	v_add_co_u32_e32 v6, vcc, v0, v6
	v_add3_u32 v17, v7, v16, 0
	v_addc_co_u32_e32 v7, vcc, 0, v1, vcc
	v_add_co_u32_e32 v6, vcc, v6, v4
	v_addc_co_u32_e32 v7, vcc, v7, v5, vcc
	v_mov_b32_e32 v18, s1
	v_add_co_u32_e32 v6, vcc, s0, v6
	v_addc_co_u32_e32 v7, vcc, v7, v18, vcc
	v_add_co_u32_e32 v6, vcc, 8, v6
	v_addc_co_u32_e32 v7, vcc, 0, v7, vcc
	s_mov_b64 s[16:17], 0
	v_mov_b32_e32 v18, v8
.LBB13_5:                               ; =>This Inner Loop Header: Depth=1
	global_load_dwordx4 v[20:23], v[6:7], off offset:-8
	v_add_co_u32_e32 v6, vcc, 0x100, v6
	v_add_u32_e32 v18, 16, v18
	v_addc_co_u32_e32 v7, vcc, 0, v7, vcc
	v_cmp_ge_i32_e32 vcc, v18, v15
	s_or_b64 s[16:17], vcc, s[16:17]
	s_waitcnt vmcnt(0)
	v_cvt_f32_f16_e64 v19, |v20|
	v_cvt_f32_f16_sdwa v24, |v20| dst_sel:DWORD dst_unused:UNUSED_PAD src0_sel:WORD_1
	v_cvt_f32_f16_e64 v25, |v21|
	v_cvt_f32_f16_sdwa v26, |v21| dst_sel:DWORD dst_unused:UNUSED_PAD src0_sel:WORD_1
	;; [unrolled: 2-line block ×4, first 2 shown]
	v_max3_f32 v13, v13, v19, v24
	v_max3_f32 v13, v13, v25, v26
	;; [unrolled: 1-line block ×3, first 2 shown]
	ds_write_b128 v17, v[20:23]
	v_add_u32_e32 v17, 0x100, v17
	v_max3_f32 v13, v13, v29, v30
	s_andn2_b64 exec, exec, s[16:17]
	s_cbranch_execnz .LBB13_5
; %bb.6:
	s_or_b64 exec, exec, s[16:17]
.LBB13_7:
	s_or_b64 exec, exec, s[14:15]
	v_lshl_add_u32 v6, v15, 3, v8
	v_cmp_lt_i32_e32 vcc, v6, v14
	s_and_saveexec_b64 s[14:15], vcc
	s_cbranch_execz .LBB13_11
; %bb.8:
	v_lshlrev_b32_e32 v7, 1, v9
	v_lshlrev_b32_e32 v15, 4, v15
	v_add3_u32 v7, v7, v15, v16
	v_lshlrev_b32_e32 v15, 1, v8
	v_add3_u32 v15, v7, v15, 0
	v_add_co_u32_e32 v4, vcc, v0, v4
	v_ashrrev_i32_e32 v7, 31, v6
	v_addc_co_u32_e32 v5, vcc, v1, v5, vcc
	v_lshlrev_b64 v[0:1], 1, v[6:7]
	v_add_co_u32_e32 v0, vcc, v4, v0
	v_addc_co_u32_e32 v1, vcc, v5, v1, vcc
	v_mov_b32_e32 v4, s1
	v_add_co_u32_e32 v0, vcc, s0, v0
	v_addc_co_u32_e32 v1, vcc, v4, v1, vcc
	s_mov_b64 s[16:17], 0
.LBB13_9:                               ; =>This Inner Loop Header: Depth=1
	global_load_ushort v4, v[0:1], off
	v_add_co_u32_e32 v0, vcc, 32, v0
	v_add_u32_e32 v6, 16, v6
	v_addc_co_u32_e32 v1, vcc, 0, v1, vcc
	v_max_f32_e32 v5, v13, v13
	v_cmp_ge_i32_e32 vcc, v6, v14
	s_or_b64 s[16:17], vcc, s[16:17]
	s_waitcnt vmcnt(0)
	v_cvt_f32_f16_e64 v7, |v4|
	ds_write_b16 v15, v4
	v_add_u32_e32 v15, 32, v15
	v_max_f32_e32 v13, v5, v7
	s_andn2_b64 exec, exec, s[16:17]
	s_cbranch_execnz .LBB13_9
; %bb.10:
	s_or_b64 exec, exec, s[16:17]
.LBB13_11:
	s_or_b64 exec, exec, s[14:15]
                                        ; implicit-def: $vgpr0_vgpr1
.LBB13_12:
	s_andn2_saveexec_b64 s[12:13], s[12:13]
	s_cbranch_execz .LBB13_18
; %bb.13:
	s_ashr_i32 s8, s20, 3
	v_cmp_gt_i32_e32 vcc, s8, v8
	v_mov_b32_e32 v13, s9
	s_and_saveexec_b64 s[14:15], vcc
	s_cbranch_execz .LBB13_17
; %bb.14:
	v_lshlrev_b32_e32 v5, 4, v8
	v_add_co_u32_e32 v0, vcc, v0, v5
	v_lshlrev_b32_e32 v4, 1, v9
	v_addc_co_u32_e32 v1, vcc, 0, v1, vcc
	v_add3_u32 v4, v4, v5, 0
	v_mov_b32_e32 v5, s1
	v_add_co_u32_e32 v0, vcc, s0, v0
	v_addc_co_u32_e32 v1, vcc, v1, v5, vcc
	v_add_co_u32_e32 v0, vcc, 8, v0
	v_addc_co_u32_e32 v1, vcc, 0, v1, vcc
	s_mov_b64 s[0:1], 0
	v_mov_b32_e32 v13, s9
	v_mov_b32_e32 v5, v8
.LBB13_15:                              ; =>This Inner Loop Header: Depth=1
	global_load_dwordx4 v[14:17], v[0:1], off offset:-8
	v_add_co_u32_e32 v0, vcc, 0x100, v0
	v_add_u32_e32 v5, 16, v5
	v_addc_co_u32_e32 v1, vcc, 0, v1, vcc
	v_cmp_le_i32_e32 vcc, s8, v5
	s_or_b64 s[0:1], vcc, s[0:1]
	s_waitcnt vmcnt(0)
	v_cvt_f32_f16_e64 v6, |v14|
	v_cvt_f32_f16_sdwa v7, |v14| dst_sel:DWORD dst_unused:UNUSED_PAD src0_sel:WORD_1
	v_cvt_f32_f16_e64 v18, |v15|
	v_cvt_f32_f16_sdwa v19, |v15| dst_sel:DWORD dst_unused:UNUSED_PAD src0_sel:WORD_1
	;; [unrolled: 2-line block ×4, first 2 shown]
	v_max3_f32 v6, v13, v6, v7
	v_max3_f32 v6, v6, v18, v19
	;; [unrolled: 1-line block ×3, first 2 shown]
	ds_write_b128 v4, v[14:17]
	v_add_u32_e32 v4, 0x100, v4
	v_max3_f32 v13, v6, v22, v23
	s_andn2_b64 exec, exec, s[0:1]
	s_cbranch_execnz .LBB13_15
; %bb.16:
	s_or_b64 exec, exec, s[0:1]
.LBB13_17:
	s_or_b64 exec, exec, s[14:15]
.LBB13_18:
	s_or_b64 exec, exec, s[12:13]
	v_mbcnt_lo_u32_b32 v0, -1, 0
	v_mbcnt_hi_u32_b32 v0, -1, v0
	v_and_b32_e32 v4, 0x70, v0
	v_xor_b32_e32 v1, 8, v0
	v_add_u32_e32 v4, 16, v4
	v_cmp_lt_i32_e32 vcc, v1, v4
	v_cndmask_b32_e32 v1, v0, v1, vcc
	v_lshlrev_b32_e32 v1, 2, v1
	ds_bpermute_b32 v1, v1, v13
	v_xor_b32_e32 v6, 4, v0
	v_max_f32_e32 v5, v13, v13
	v_cmp_lt_i32_e32 vcc, v6, v4
	s_load_dwordx2 s[8:9], s[4:5], 0x8
	s_waitcnt lgkmcnt(0)
	v_max_f32_e32 v1, v1, v1
	v_max_f32_e32 v1, v5, v1
	v_cndmask_b32_e32 v5, v0, v6, vcc
	v_lshlrev_b32_e32 v5, 2, v5
	ds_bpermute_b32 v5, v5, v1
	v_xor_b32_e32 v6, 2, v0
	v_cmp_lt_i32_e32 vcc, v6, v4
	s_waitcnt lgkmcnt(0)
	v_max_f32_e32 v5, v5, v5
	v_max_f32_e32 v1, v1, v5
	v_cndmask_b32_e32 v5, v0, v6, vcc
	v_lshlrev_b32_e32 v5, 2, v5
	ds_bpermute_b32 v5, v5, v1
	v_xor_b32_e32 v6, 1, v0
	v_cmp_lt_i32_e32 vcc, v6, v4
	v_cndmask_b32_e32 v0, v0, v6, vcc
	v_lshlrev_b32_e32 v0, 2, v0
	s_waitcnt lgkmcnt(0)
	v_max_f32_e32 v5, v5, v5
	v_max_f32_e32 v1, v1, v5
	ds_bpermute_b32 v0, v0, v1
	s_waitcnt lgkmcnt(0)
	v_max_f32_e32 v0, v0, v0
	v_max_f32_e32 v0, v1, v0
	v_div_scale_f32 v1, s[0:1], s11, s11, v0
	v_rcp_f32_e32 v4, v1
	v_div_scale_f32 v5, vcc, v0, s11, v0
	v_fma_f32 v6, -v1, v4, 1.0
	v_fmac_f32_e32 v4, v6, v4
	v_mul_f32_e32 v6, v5, v4
	v_fma_f32 v7, -v1, v6, v5
	v_fmac_f32_e32 v6, v7, v4
	v_fma_f32 v1, -v1, v6, v5
	v_div_fmas_f32 v1, v1, v4, v6
	v_div_fixup_f32 v0, v1, s11, v0
	v_cmp_eq_u32_e32 vcc, 0, v8
	s_and_saveexec_b64 s[12:13], vcc
	s_cbranch_execz .LBB13_24
; %bb.19:
	s_load_dwordx2 s[4:5], s[4:5], 0x10
	s_ashr_i32 s0, s2, 31
	v_or_b32_e32 v5, s0, v12
	v_mov_b32_e32 v4, 0
	v_cmp_ne_u64_e32 vcc, 0, v[4:5]
                                        ; implicit-def: $vgpr4_vgpr5
	s_and_saveexec_b64 s[14:15], vcc
	s_xor_b64 s[14:15], exec, s[14:15]
	s_cbranch_execz .LBB13_21
; %bb.20:
	s_add_u32 s18, s2, s0
	s_mov_b32 s16, s0
	s_mov_b32 s17, s0
	s_addc_u32 s19, s0, s0
	s_xor_b64 s[18:19], s[18:19], s[16:17]
	v_cvt_f32_u32_e32 v1, s18
	v_cvt_f32_u32_e32 v4, s19
	s_sub_u32 s0, 0, s18
	s_subb_u32 s1, 0, s19
	v_madmk_f32 v1, v4, 0x4f800000, v1
	v_rcp_f32_e32 v1, v1
	v_mul_f32_e32 v1, 0x5f7ffffc, v1
	v_mul_f32_e32 v4, 0x2f800000, v1
	v_trunc_f32_e32 v4, v4
	v_madmk_f32 v1, v4, 0xcf800000, v1
	v_cvt_u32_f32_e32 v4, v4
	v_cvt_u32_f32_e32 v1, v1
	v_mul_lo_u32 v5, s0, v4
	v_mul_hi_u32 v7, s0, v1
	v_mul_lo_u32 v6, s1, v1
	v_add_u32_e32 v5, v7, v5
	v_mul_lo_u32 v13, s0, v1
	v_add_u32_e32 v5, v5, v6
	v_mul_lo_u32 v7, v1, v5
	v_mul_hi_u32 v14, v1, v13
	v_mul_hi_u32 v6, v1, v5
	v_add_co_u32_e32 v7, vcc, v14, v7
	v_addc_co_u32_e32 v6, vcc, 0, v6, vcc
	v_mul_hi_u32 v15, v4, v13
	v_mul_lo_u32 v13, v4, v13
	v_add_co_u32_e32 v7, vcc, v7, v13
	v_mul_hi_u32 v14, v4, v5
	v_addc_co_u32_e32 v6, vcc, v6, v15, vcc
	v_addc_co_u32_e32 v7, vcc, 0, v14, vcc
	v_mul_lo_u32 v5, v4, v5
	v_add_co_u32_e32 v5, vcc, v6, v5
	v_addc_co_u32_e32 v6, vcc, 0, v7, vcc
	v_add_co_u32_e32 v1, vcc, v1, v5
	v_addc_co_u32_e32 v4, vcc, v4, v6, vcc
	v_mul_lo_u32 v5, s0, v4
	v_mul_hi_u32 v6, s0, v1
	v_add_u32_e32 v5, v6, v5
	v_mul_lo_u32 v6, s1, v1
	v_add_u32_e32 v5, v5, v6
	v_mul_lo_u32 v7, s0, v1
	v_mul_hi_u32 v13, v4, v7
	v_mul_lo_u32 v14, v4, v7
	v_mul_lo_u32 v16, v1, v5
	v_mul_hi_u32 v7, v1, v7
	v_mul_hi_u32 v15, v1, v5
	v_add_co_u32_e32 v7, vcc, v7, v16
	v_addc_co_u32_e32 v15, vcc, 0, v15, vcc
	v_add_co_u32_e32 v7, vcc, v7, v14
	v_mul_hi_u32 v6, v4, v5
	v_addc_co_u32_e32 v7, vcc, v15, v13, vcc
	v_addc_co_u32_e32 v6, vcc, 0, v6, vcc
	v_mul_lo_u32 v5, v4, v5
	v_add_co_u32_e32 v5, vcc, v7, v5
	v_addc_co_u32_e32 v6, vcc, 0, v6, vcc
	v_add_co_u32_e32 v1, vcc, v1, v5
	v_addc_co_u32_e32 v6, vcc, v4, v6, vcc
	v_mad_u64_u32 v[4:5], s[0:1], v11, v6, 0
	v_mul_hi_u32 v7, v11, v1
	v_add_co_u32_e32 v13, vcc, v7, v4
	v_addc_co_u32_e32 v14, vcc, 0, v5, vcc
	v_mad_u64_u32 v[4:5], s[0:1], v12, v6, 0
	v_mad_u64_u32 v[6:7], s[0:1], v12, v1, 0
	v_add_co_u32_e32 v1, vcc, v13, v6
	v_addc_co_u32_e32 v1, vcc, v14, v7, vcc
	v_addc_co_u32_e32 v5, vcc, 0, v5, vcc
	v_add_co_u32_e32 v1, vcc, v1, v4
	v_addc_co_u32_e32 v4, vcc, 0, v5, vcc
	v_mul_lo_u32 v6, s19, v1
	v_mul_lo_u32 v7, s18, v4
	v_mad_u64_u32 v[4:5], s[0:1], s18, v1, 0
	v_add3_u32 v5, v5, v7, v6
	v_sub_u32_e32 v6, v12, v5
	v_mov_b32_e32 v7, s19
	v_sub_co_u32_e32 v4, vcc, v11, v4
	v_subb_co_u32_e64 v6, s[0:1], v6, v7, vcc
	v_subrev_co_u32_e64 v7, s[0:1], s18, v4
	v_subbrev_co_u32_e64 v6, s[0:1], 0, v6, s[0:1]
	v_cmp_le_u32_e64 s[0:1], s19, v6
	v_subb_co_u32_e32 v5, vcc, v12, v5, vcc
	v_cndmask_b32_e64 v13, 0, -1, s[0:1]
	v_cmp_le_u32_e64 s[0:1], s18, v7
	v_cmp_le_u32_e32 vcc, s19, v5
	v_cndmask_b32_e64 v7, 0, -1, s[0:1]
	v_cmp_eq_u32_e64 s[0:1], s19, v6
	v_cndmask_b32_e64 v12, 0, -1, vcc
	v_cmp_le_u32_e32 vcc, s18, v4
	v_cndmask_b32_e64 v6, v13, v7, s[0:1]
	v_cndmask_b32_e64 v4, 0, -1, vcc
	v_cmp_eq_u32_e32 vcc, s19, v5
	v_add_co_u32_e64 v7, s[0:1], 2, v1
	v_add_co_u32_e64 v13, s[0:1], 1, v1
	v_cndmask_b32_e32 v4, v12, v4, vcc
	v_cmp_ne_u32_e32 vcc, 0, v6
	v_cndmask_b32_e32 v5, v13, v7, vcc
	v_cmp_ne_u32_e32 vcc, 0, v4
	v_cndmask_b32_e32 v1, v1, v5, vcc
	v_xor_b32_e32 v1, s16, v1
	v_subrev_co_u32_e32 v4, vcc, s16, v1
.LBB13_21:
	s_andn2_saveexec_b64 s[0:1], s[14:15]
	s_cbranch_execz .LBB13_23
; %bb.22:
	v_cvt_f32_u32_e32 v1, s2
	s_sub_i32 s14, 0, s2
	v_rcp_iflag_f32_e32 v1, v1
	v_mul_f32_e32 v1, 0x4f7ffffe, v1
	v_cvt_u32_f32_e32 v1, v1
	v_mul_lo_u32 v4, s14, v1
	v_mul_hi_u32 v4, v1, v4
	v_add_u32_e32 v1, v1, v4
	v_mul_hi_u32 v1, v11, v1
	v_mul_lo_u32 v4, v1, s2
	v_sub_u32_e32 v4, v11, v4
	v_add_u32_e32 v5, 1, v1
	v_subrev_u32_e32 v6, s2, v4
	v_cmp_le_u32_e32 vcc, s2, v4
	v_cndmask_b32_e32 v4, v4, v6, vcc
	v_cndmask_b32_e32 v1, v1, v5, vcc
	v_add_u32_e32 v5, 1, v1
	v_cmp_le_u32_e32 vcc, s2, v4
	v_cndmask_b32_e32 v4, v1, v5, vcc
.LBB13_23:
	s_or_b64 exec, exec, s[0:1]
	v_mul_lo_u32 v1, v4, s2
	v_sub_u32_e32 v1, v11, v1
	v_mad_u64_u32 v[4:5], s[0:1], v1, s3, v[4:5]
	v_ashrrev_i32_e32 v5, 31, v4
	v_lshlrev_b64 v[4:5], 2, v[4:5]
	s_waitcnt lgkmcnt(0)
	v_mov_b32_e32 v1, s5
	v_add_co_u32_e32 v4, vcc, s4, v4
	v_addc_co_u32_e32 v5, vcc, v1, v5, vcc
	global_store_dword v[4:5], v0, off
.LBB13_24:
	s_or_b64 exec, exec, s[12:13]
	v_and_b32_e32 v4, 15, v10
	v_mov_b32_e32 v5, 0
	v_cmp_ne_u64_e32 vcc, 0, v[4:5]
	s_xor_b64 s[0:1], s[6:7], -1
	s_or_b64 s[0:1], s[0:1], vcc
	s_barrier
	s_and_saveexec_b64 s[2:3], s[0:1]
	s_xor_b64 s[12:13], exec, s[2:3]
	s_cbranch_execz .LBB13_41
; %bb.25:
	v_sub_u32_e32 v5, 0, v10
	v_mov_b32_e32 v4, s9
	v_add_co_u32_e32 v1, vcc, s8, v2
	v_bfe_u32 v5, v5, 1, 3
	v_addc_co_u32_e32 v4, vcc, v4, v3, vcc
	v_min_i32_e32 v11, s20, v5
	v_cmp_gt_i32_e32 vcc, v11, v8
	s_and_saveexec_b64 s[0:1], vcc
	s_cbranch_execz .LBB13_27
; %bb.26:
	v_lshl_add_u32 v5, v8, 1, v10
	ds_read_u16 v5, v5
	v_max_f32_e64 v6, s10, s10
	v_max_f32_e64 v12, s11, s11
	s_waitcnt lgkmcnt(0)
	v_cvt_f32_f16_e32 v5, v5
	v_div_scale_f32 v7, s[2:3], v0, v0, v5
	v_rcp_f32_e32 v10, v7
	v_div_scale_f32 v13, vcc, v5, v0, v5
	v_fma_f32 v14, -v7, v10, 1.0
	v_fmac_f32_e32 v10, v14, v10
	v_mul_f32_e32 v14, v13, v10
	v_fma_f32 v15, -v7, v14, v13
	v_fmac_f32_e32 v14, v15, v10
	v_fma_f32 v7, -v7, v14, v13
	v_div_fmas_f32 v7, v7, v10, v14
	v_div_fixup_f32 v5, v7, v0, v5
	v_max_f32_e32 v5, v5, v6
	v_min_f32_e32 v5, v5, v12
	v_cvt_i32_f32_e32 v5, v5
	v_add_co_u32_e32 v6, vcc, v1, v8
	v_addc_co_u32_e32 v7, vcc, 0, v4, vcc
	global_store_byte v[6:7], v5, off
.LBB13_27:
	s_or_b64 exec, exec, s[0:1]
	v_sub_u32_e32 v18, s20, v11
	v_ashrrev_i32_e32 v6, 31, v18
	v_lshrrev_b32_e32 v6, 29, v6
	v_add_u32_e32 v6, v18, v6
	v_ashrrev_i32_e32 v10, 3, v6
	v_ashrrev_i32_e32 v5, 31, v11
	v_cmp_gt_i32_e32 vcc, v10, v8
	v_lshlrev_b32_e32 v19, 1, v11
	s_and_saveexec_b64 s[0:1], vcc
	s_cbranch_execz .LBB13_30
; %bb.28:
	v_lshlrev_b32_e32 v6, 4, v8
	v_lshl_add_u32 v6, v9, 1, v6
	v_lshlrev_b32_e32 v7, 1, v11
	v_add_co_u32_e32 v2, vcc, v11, v2
	v_add3_u32 v6, v6, v7, 0
	v_addc_co_u32_e32 v3, vcc, v5, v3, vcc
	v_lshlrev_b32_e32 v7, 3, v8
	v_add_co_u32_e32 v2, vcc, v2, v7
	v_addc_co_u32_e32 v3, vcc, 0, v3, vcc
	v_mov_b32_e32 v7, s9
	v_add_co_u32_e32 v2, vcc, s8, v2
	v_addc_co_u32_e32 v3, vcc, v7, v3, vcc
	s_mov_b64 s[2:3], 0
	v_max_f32_e64 v7, s10, s10
	v_max_f32_e64 v12, s11, s11
	v_mov_b32_e32 v13, 8
	v_mov_b32_e32 v14, v8
.LBB13_29:                              ; =>This Inner Loop Header: Depth=1
	ds_read_b128 v[20:23], v6
	v_add_u32_e32 v14, 16, v14
	v_add_u32_e32 v6, 0x100, v6
	s_waitcnt lgkmcnt(0)
	v_cvt_f32_f16_e32 v15, v20
	v_div_scale_f32 v16, s[4:5], v0, v0, v15
	v_rcp_f32_e32 v17, v16
	v_fma_f32 v24, -v16, v17, 1.0
	v_fmac_f32_e32 v17, v24, v17
	v_div_scale_f32 v24, vcc, v15, v0, v15
	v_mul_f32_e32 v25, v24, v17
	v_fma_f32 v26, -v16, v25, v24
	v_fmac_f32_e32 v25, v26, v17
	v_fma_f32 v16, -v16, v25, v24
	v_div_fmas_f32 v16, v16, v17, v25
	v_div_fixup_f32 v15, v16, v0, v15
	v_cvt_f32_f16_sdwa v16, v20 dst_sel:DWORD dst_unused:UNUSED_PAD src0_sel:WORD_1
	v_max_f32_e32 v15, v15, v7
	v_min_f32_e32 v15, v15, v12
	v_cvt_i32_f32_e32 v15, v15
	v_div_scale_f32 v17, s[4:5], v0, v0, v16
	v_rcp_f32_e32 v20, v17
	v_fma_f32 v24, -v17, v20, 1.0
	v_fmac_f32_e32 v20, v24, v20
	v_div_scale_f32 v24, vcc, v16, v0, v16
	v_mul_f32_e32 v25, v24, v20
	v_fma_f32 v26, -v17, v25, v24
	v_fmac_f32_e32 v25, v26, v20
	v_fma_f32 v17, -v17, v25, v24
	v_div_fmas_f32 v17, v17, v20, v25
	v_div_fixup_f32 v16, v17, v0, v16
	v_cvt_f32_f16_e32 v17, v21
	v_max_f32_e32 v16, v16, v7
	v_min_f32_e32 v16, v16, v12
	v_cvt_i32_f32_e32 v16, v16
	v_div_scale_f32 v20, s[4:5], v0, v0, v17
	v_rcp_f32_e32 v24, v20
	v_lshlrev_b32_sdwa v16, v13, v16 dst_sel:DWORD dst_unused:UNUSED_PAD src0_sel:DWORD src1_sel:BYTE_0
	v_fma_f32 v25, -v20, v24, 1.0
	v_fmac_f32_e32 v24, v25, v24
	v_div_scale_f32 v25, vcc, v17, v0, v17
	v_mul_f32_e32 v26, v25, v24
	v_fma_f32 v27, -v20, v26, v25
	v_fmac_f32_e32 v26, v27, v24
	v_fma_f32 v20, -v20, v26, v25
	v_div_fmas_f32 v20, v20, v24, v26
	v_div_fixup_f32 v17, v20, v0, v17
	v_max_f32_e32 v17, v17, v7
	v_min_f32_e32 v17, v17, v12
	v_cvt_i32_f32_e32 v20, v17
	v_cvt_f32_f16_sdwa v17, v21 dst_sel:DWORD dst_unused:UNUSED_PAD src0_sel:WORD_1
	v_and_b32_e32 v20, 0xff, v20
	v_div_scale_f32 v21, s[4:5], v0, v0, v17
	v_rcp_f32_e32 v24, v21
	v_lshlrev_b32_e32 v20, 16, v20
	v_fma_f32 v25, -v21, v24, 1.0
	v_fmac_f32_e32 v24, v25, v24
	v_div_scale_f32 v25, vcc, v17, v0, v17
	v_mul_f32_e32 v26, v25, v24
	v_fma_f32 v27, -v21, v26, v25
	v_fmac_f32_e32 v26, v27, v24
	v_fma_f32 v21, -v21, v26, v25
	v_div_fmas_f32 v21, v21, v24, v26
	v_div_fixup_f32 v17, v21, v0, v17
	v_max_f32_e32 v17, v17, v7
	v_min_f32_e32 v17, v17, v12
	v_cvt_i32_f32_sdwa v21, v17 dst_sel:BYTE_3 dst_unused:UNUSED_PAD src0_sel:DWORD
	v_cvt_f32_f16_e32 v17, v22
	v_cvt_f32_f16_sdwa v22, v22 dst_sel:DWORD dst_unused:UNUSED_PAD src0_sel:WORD_1
	v_or3_b32 v16, v21, v20, v16
	v_div_scale_f32 v24, s[4:5], v0, v0, v17
	v_rcp_f32_e32 v25, v24
	v_or_b32_sdwa v16, v16, v15 dst_sel:DWORD dst_unused:UNUSED_PAD src0_sel:DWORD src1_sel:BYTE_0
	v_fma_f32 v26, -v24, v25, 1.0
	v_fmac_f32_e32 v25, v26, v25
	v_div_scale_f32 v26, vcc, v17, v0, v17
	v_mul_f32_e32 v27, v26, v25
	v_fma_f32 v28, -v24, v27, v26
	v_fmac_f32_e32 v27, v28, v25
	v_fma_f32 v24, -v24, v27, v26
	v_div_fmas_f32 v24, v24, v25, v27
	v_div_fixup_f32 v17, v24, v0, v17
	v_div_scale_f32 v24, s[4:5], v0, v0, v22
	v_rcp_f32_e32 v25, v24
	v_max_f32_e32 v17, v17, v7
	v_min_f32_e32 v17, v17, v12
	v_cvt_i32_f32_e32 v17, v17
	v_fma_f32 v26, -v24, v25, 1.0
	v_fmac_f32_e32 v25, v26, v25
	v_div_scale_f32 v26, vcc, v22, v0, v22
	v_mul_f32_e32 v27, v26, v25
	v_fma_f32 v28, -v24, v27, v26
	v_fmac_f32_e32 v27, v28, v25
	v_fma_f32 v24, -v24, v27, v26
	v_div_fmas_f32 v24, v24, v25, v27
	v_div_fixup_f32 v22, v24, v0, v22
	v_cvt_f32_f16_e32 v24, v23
	v_cvt_f32_f16_sdwa v23, v23 dst_sel:DWORD dst_unused:UNUSED_PAD src0_sel:WORD_1
	v_max_f32_e32 v22, v22, v7
	v_min_f32_e32 v22, v22, v12
	v_div_scale_f32 v25, s[4:5], v0, v0, v24
	v_rcp_f32_e32 v26, v25
	v_cvt_i32_f32_e32 v22, v22
	v_and_b32_e32 v17, 0xff, v17
	v_fma_f32 v27, -v25, v26, 1.0
	v_fmac_f32_e32 v26, v27, v26
	v_div_scale_f32 v27, vcc, v24, v0, v24
	v_mul_f32_e32 v28, v27, v26
	v_fma_f32 v29, -v25, v28, v27
	v_fmac_f32_e32 v28, v29, v26
	v_fma_f32 v25, -v25, v28, v27
	v_div_fmas_f32 v25, v25, v26, v28
	v_div_fixup_f32 v24, v25, v0, v24
	v_div_scale_f32 v25, s[4:5], v0, v0, v23
	v_rcp_f32_e32 v26, v25
	v_max_f32_e32 v24, v24, v7
	v_min_f32_e32 v24, v24, v12
	v_cvt_i32_f32_e32 v24, v24
	v_fma_f32 v27, -v25, v26, 1.0
	v_fmac_f32_e32 v26, v27, v26
	v_div_scale_f32 v27, vcc, v23, v0, v23
	v_mul_f32_e32 v28, v27, v26
	v_fma_f32 v29, -v25, v28, v27
	v_fmac_f32_e32 v28, v29, v26
	v_fma_f32 v25, -v25, v28, v27
	v_div_fmas_f32 v25, v25, v26, v28
	v_div_fixup_f32 v23, v25, v0, v23
	v_max_f32_e32 v23, v23, v7
	v_min_f32_e32 v23, v23, v12
	v_cvt_i32_f32_sdwa v23, v23 dst_sel:BYTE_3 dst_unused:UNUSED_PAD src0_sel:DWORD
	v_and_b32_e32 v24, 0xff, v24
	v_lshlrev_b32_e32 v24, 16, v24
	v_lshlrev_b32_sdwa v22, v13, v22 dst_sel:DWORD dst_unused:UNUSED_PAD src0_sel:DWORD src1_sel:BYTE_0
	v_or_b32_e32 v23, v23, v24
	v_or3_b32 v17, v23, v22, v17
	global_store_dwordx2 v[2:3], v[16:17], off
	v_add_co_u32_e32 v2, vcc, 0x80, v2
	v_addc_co_u32_e32 v3, vcc, 0, v3, vcc
	v_cmp_ge_i32_e32 vcc, v14, v10
	s_or_b64 s[2:3], vcc, s[2:3]
	s_andn2_b64 exec, exec, s[2:3]
	s_cbranch_execnz .LBB13_29
.LBB13_30:
	s_or_b64 exec, exec, s[0:1]
	v_lshlrev_b32_e32 v6, 3, v10
	v_add_u32_e32 v2, v6, v8
	v_cmp_lt_i32_e32 vcc, v2, v18
	s_and_saveexec_b64 s[14:15], vcc
	s_cbranch_execz .LBB13_40
; %bb.31:
	v_add_u32_e32 v3, 16, v2
	v_add_co_u32_e32 v20, vcc, v1, v11
	v_max_i32_e32 v1, v3, v18
	v_xad_u32 v1, v8, -1, v1
	v_addc_co_u32_e32 v21, vcc, v4, v5, vcc
	v_sub_u32_e32 v1, v1, v6
	v_cmp_lt_u32_e32 vcc, 47, v1
	s_mov_b64 s[0:1], 0
                                        ; implicit-def: $vgpr22
	s_and_saveexec_b64 s[2:3], vcc
	s_xor_b64 s[16:17], exec, s[2:3]
	s_cbranch_execnz .LBB13_34
; %bb.32:
	s_andn2_saveexec_b64 s[2:3], s[16:17]
	s_cbranch_execnz .LBB13_37
.LBB13_33:
	s_or_b64 exec, exec, s[2:3]
	s_and_b64 exec, exec, s[0:1]
	s_cbranch_execnz .LBB13_38
	s_branch .LBB13_40
.LBB13_34:
	v_lshrrev_b32_e32 v1, 4, v1
	v_lshlrev_b32_e32 v22, 1, v9
	v_lshlrev_b32_e32 v9, 4, v10
	;; [unrolled: 1-line block ×3, first 2 shown]
	v_add_u32_e32 v23, 1, v1
	v_add_u32_e32 v5, 48, v2
	;; [unrolled: 1-line block ×3, first 2 shown]
	v_add3_u32 v9, v22, v9, v19
	v_lshlrev_b32_e32 v8, 1, v8
	v_and_b32_e32 v24, 0x1ffffffc, v23
	s_mov_b32 s0, s10
	s_mov_b32 s1, s10
	;; [unrolled: 1-line block ×8, first 2 shown]
	v_add3_u32 v25, v9, v8, 0
	v_pk_mov_b32 v[10:11], v[4:5], v[4:5] op_sel:[0,1]
	v_mov_b32_e32 v1, v0
	v_mov_b32_e32 v6, v0
	;; [unrolled: 1-line block ×3, first 2 shown]
	s_mov_b64 s[18:19], 0
	v_max_f32_e64 v26, s3, s3
	v_max_f32_e64 v27, s2, s2
	;; [unrolled: 1-line block ×8, first 2 shown]
	v_mov_b32_e32 v34, v24
	v_pk_mov_b32 v[8:9], v[2:3], v[2:3] op_sel:[0,1]
.LBB13_35:                              ; =>This Inner Loop Header: Depth=1
	ds_read_u16 v35, v25
	ds_read_u16 v36, v25 offset:32
	ds_read_u16 v37, v25 offset:64
	ds_read_u16 v38, v25 offset:96
	v_ashrrev_i32_e32 v3, 31, v11
	s_waitcnt lgkmcnt(3)
	v_cvt_f32_f16_e32 v35, v35
	v_ashrrev_i32_e32 v5, 31, v9
	v_ashrrev_i32_e32 v15, 31, v8
	v_add_co_u32_e32 v4, vcc, v20, v9
	v_add_co_u32_e64 v14, s[2:3], v20, v11
	v_add_co_u32_e64 v16, s[4:5], v20, v8
	s_waitcnt lgkmcnt(2)
	v_cvt_f32_f16_e32 v36, v36
	v_addc_co_u32_e64 v17, s[4:5], v21, v15, s[4:5]
	v_addc_co_u32_e32 v5, vcc, v21, v5, vcc
	v_addc_co_u32_e64 v15, vcc, v21, v3, s[2:3]
	s_waitcnt lgkmcnt(0)
	v_cvt_f32_f16_e32 v3, v38
	v_cvt_f32_f16_e32 v37, v37
	v_ashrrev_i32_e32 v13, 31, v10
	v_add_co_u32_e64 v12, s[0:1], v20, v10
	v_addc_co_u32_e64 v13, vcc, v21, v13, s[0:1]
	v_div_scale_f32 v38, s[0:1], v0, v0, v35
	v_div_scale_f32 v40, s[0:1], v1, v1, v36
	v_rcp_f32_e32 v46, v38
	v_div_scale_f32 v42, s[2:3], v6, v6, v37
	v_div_scale_f32 v44, s[4:5], v7, v7, v3
	v_rcp_f32_e32 v47, v40
	v_rcp_f32_e32 v48, v42
	;; [unrolled: 1-line block ×3, first 2 shown]
	v_fma_f32 v50, -v38, v46, 1.0
	v_div_scale_f32 v39, vcc, v35, v0, v35
	v_fma_f32 v51, -v40, v47, 1.0
	v_fmac_f32_e32 v46, v50, v46
	v_div_scale_f32 v41, s[0:1], v36, v1, v36
	v_fma_f32 v52, -v42, v48, 1.0
	v_fma_f32 v53, -v44, v49, 1.0
	v_fmac_f32_e32 v47, v51, v47
	v_mul_f32_e32 v50, v39, v46
	v_div_scale_f32 v43, s[2:3], v37, v6, v37
	v_fmac_f32_e32 v48, v52, v48
	v_fmac_f32_e32 v49, v53, v49
	v_mul_f32_e32 v51, v41, v47
	v_fma_f32 v53, -v38, v50, v39
	v_mul_f32_e32 v52, v43, v48
	v_fmac_f32_e32 v50, v53, v46
	v_fma_f32 v53, -v40, v51, v41
	v_div_scale_f32 v45, s[4:5], v3, v7, v3
	v_fmac_f32_e32 v51, v53, v47
	v_fma_f32 v53, -v42, v52, v43
	v_fmac_f32_e32 v52, v53, v48
	v_mul_f32_e32 v53, v45, v49
	v_fma_f32 v38, -v38, v50, v39
	v_fma_f32 v54, -v44, v53, v45
	;; [unrolled: 1-line block ×3, first 2 shown]
	v_div_fmas_f32 v38, v38, v46, v50
	s_mov_b64 vcc, s[0:1]
	v_fmac_f32_e32 v53, v54, v49
	v_fma_f32 v40, -v42, v52, v43
	v_div_fixup_f32 v35, v38, v0, v35
	v_div_fmas_f32 v38, v39, v47, v51
	s_mov_b64 vcc, s[2:3]
	v_fma_f32 v41, -v44, v53, v45
	v_div_fixup_f32 v36, v38, v1, v36
	v_div_fmas_f32 v38, v40, v48, v52
	s_mov_b64 vcc, s[4:5]
	v_div_fixup_f32 v37, v38, v6, v37
	v_div_fmas_f32 v38, v41, v49, v53
	v_div_fixup_f32 v3, v38, v7, v3
	v_max_f32_e32 v35, v35, v29
	v_max_f32_e32 v36, v36, v28
	;; [unrolled: 1-line block ×4, first 2 shown]
	v_min_f32_e32 v35, v35, v30
	v_min_f32_e32 v36, v36, v31
	;; [unrolled: 1-line block ×4, first 2 shown]
	v_cvt_i32_f32_e32 v35, v35
	v_cvt_i32_f32_sdwa v36, v36 dst_sel:BYTE_1 dst_unused:UNUSED_PAD src0_sel:DWORD
	v_cvt_i32_f32_e32 v37, v37
	v_cvt_i32_f32_sdwa v3, v3 dst_sel:BYTE_1 dst_unused:UNUSED_PAD src0_sel:DWORD
	v_add_u32_e32 v34, -4, v34
	v_cmp_eq_u32_e64 s[6:7], 0, v34
	global_store_byte v[16:17], v35, off
	v_lshrrev_b32_e32 v16, 8, v36
	v_or_b32_sdwa v3, v37, v3 dst_sel:DWORD dst_unused:UNUSED_PAD src0_sel:BYTE_0 src1_sel:DWORD
	v_add_u32_e32 v11, 64, v11
	v_add_u32_e32 v10, 64, v10
	;; [unrolled: 1-line block ×5, first 2 shown]
	s_or_b64 s[18:19], s[6:7], s[18:19]
	global_store_byte v[4:5], v16, off
	global_store_byte v[12:13], v3, off
	v_lshrrev_b32_e32 v3, 8, v3
	global_store_byte v[14:15], v3, off
	s_andn2_b64 exec, exec, s[18:19]
	s_cbranch_execnz .LBB13_35
; %bb.36:
	s_or_b64 exec, exec, s[18:19]
	v_cmp_ne_u32_e32 vcc, v23, v24
	v_lshl_add_u32 v2, v24, 4, v2
	s_and_b64 s[0:1], vcc, exec
                                        ; implicit-def: $vgpr9
	s_andn2_saveexec_b64 s[2:3], s[16:17]
	s_cbranch_execz .LBB13_33
.LBB13_37:
	v_lshlrev_b32_e32 v22, 1, v9
	s_or_b64 s[0:1], s[0:1], exec
	s_or_b64 exec, exec, s[2:3]
	s_and_b64 exec, exec, s[0:1]
	s_cbranch_execz .LBB13_40
.LBB13_38:
	v_lshl_add_u32 v1, v2, 1, v22
	v_add3_u32 v3, v1, v19, 0
	v_ashrrev_i32_e32 v1, 31, v2
	s_mov_b64 s[2:3], 0
	v_max_f32_e64 v4, s10, s10
	v_max_f32_e64 v5, s11, s11
.LBB13_39:                              ; =>This Inner Loop Header: Depth=1
	ds_read_u16 v8, v3
	v_add_co_u32_e32 v6, vcc, v20, v2
	v_addc_co_u32_e32 v7, vcc, v21, v1, vcc
	s_waitcnt lgkmcnt(0)
	v_cvt_f32_f16_e32 v8, v8
	v_add_co_u32_e64 v2, s[0:1], 16, v2
	v_add_u32_e32 v3, 32, v3
	v_div_scale_f32 v9, s[4:5], v0, v0, v8
	v_rcp_f32_e32 v10, v9
	v_div_scale_f32 v11, vcc, v8, v0, v8
	v_fma_f32 v12, -v9, v10, 1.0
	v_fmac_f32_e32 v10, v12, v10
	v_mul_f32_e32 v12, v11, v10
	v_fma_f32 v13, -v9, v12, v11
	v_fmac_f32_e32 v12, v13, v10
	v_fma_f32 v9, -v9, v12, v11
	v_div_fmas_f32 v9, v9, v10, v12
	v_div_fixup_f32 v8, v9, v0, v8
	v_max_f32_e32 v8, v8, v4
	v_min_f32_e32 v8, v8, v5
	v_cvt_i32_f32_e32 v8, v8
	v_addc_co_u32_e64 v1, vcc, 0, v1, s[0:1]
	v_cmp_ge_i32_e32 vcc, v2, v18
	s_or_b64 s[2:3], vcc, s[2:3]
	global_store_byte v[6:7], v8, off
	s_andn2_b64 exec, exec, s[2:3]
	s_cbranch_execnz .LBB13_39
.LBB13_40:
	s_or_b64 exec, exec, s[14:15]
                                        ; implicit-def: $vgpr8
                                        ; implicit-def: $vgpr0
                                        ; implicit-def: $vgpr9
                                        ; implicit-def: $vgpr2_vgpr3
.LBB13_41:
	s_andn2_saveexec_b64 s[0:1], s[12:13]
	s_cbranch_execz .LBB13_45
; %bb.42:
	s_ashr_i32 s16, s20, 3
	v_cmp_gt_i32_e32 vcc, s16, v8
	s_and_saveexec_b64 s[0:1], vcc
	s_cbranch_execz .LBB13_45
; %bb.43:
	v_lshlrev_b32_e32 v1, 1, v9
	v_lshlrev_b32_e32 v4, 4, v8
	v_add3_u32 v1, v1, v4, 0
	v_lshlrev_b32_e32 v4, 3, v8
	v_add_co_u32_e32 v2, vcc, v2, v4
	v_addc_co_u32_e32 v3, vcc, 0, v3, vcc
	v_mov_b32_e32 v4, s9
	v_add_co_u32_e32 v6, vcc, s8, v2
	v_addc_co_u32_e32 v7, vcc, v4, v3, vcc
	s_mov_b64 s[14:15], 0
	v_max_f32_e64 v9, s10, s10
	v_max_f32_e64 v10, s11, s11
	v_mov_b32_e32 v11, 8
.LBB13_44:                              ; =>This Inner Loop Header: Depth=1
	ds_read_b128 v[2:5], v1
	v_add_u32_e32 v8, 16, v8
	v_cmp_le_i32_e32 vcc, s16, v8
	s_or_b64 s[14:15], vcc, s[14:15]
	v_add_u32_e32 v1, 0x100, v1
	s_waitcnt lgkmcnt(0)
	v_cvt_f32_f16_e32 v12, v2
	v_cvt_f32_f16_sdwa v2, v2 dst_sel:DWORD dst_unused:UNUSED_PAD src0_sel:WORD_1
	v_cvt_f32_f16_e32 v13, v3
	v_cvt_f32_f16_sdwa v3, v3 dst_sel:DWORD dst_unused:UNUSED_PAD src0_sel:WORD_1
	v_cvt_f32_f16_e32 v14, v4
	v_div_scale_f32 v16, s[0:1], v0, v0, v12
	v_cvt_f32_f16_sdwa v4, v4 dst_sel:DWORD dst_unused:UNUSED_PAD src0_sel:WORD_1
	v_div_scale_f32 v18, s[0:1], v0, v0, v2
	v_rcp_f32_e32 v32, v16
	v_cvt_f32_f16_e32 v15, v5
	v_div_scale_f32 v20, s[2:3], v0, v0, v13
	v_rcp_f32_e32 v33, v18
	v_div_scale_f32 v22, s[4:5], v0, v0, v3
	v_rcp_f32_e32 v34, v20
	v_cvt_f32_f16_sdwa v5, v5 dst_sel:DWORD dst_unused:UNUSED_PAD src0_sel:WORD_1
	v_div_scale_f32 v24, s[6:7], v0, v0, v14
	v_rcp_f32_e32 v35, v22
	v_div_scale_f32 v26, s[8:9], v0, v0, v4
	v_rcp_f32_e32 v36, v24
	v_fma_f32 v40, -v16, v32, 1.0
	v_div_scale_f32 v17, vcc, v12, v0, v12
	v_div_scale_f32 v28, s[10:11], v0, v0, v15
	v_rcp_f32_e32 v37, v26
	v_fma_f32 v41, -v18, v33, 1.0
	v_fmac_f32_e32 v32, v40, v32
	v_div_scale_f32 v19, s[0:1], v2, v0, v2
	v_rcp_f32_e32 v38, v28
	v_fma_f32 v42, -v20, v34, 1.0
	v_fmac_f32_e32 v33, v41, v33
	v_mul_f32_e32 v40, v17, v32
	v_div_scale_f32 v21, s[2:3], v13, v0, v13
	v_div_scale_f32 v30, s[12:13], v0, v0, v5
	v_fma_f32 v43, -v22, v35, 1.0
	v_fmac_f32_e32 v34, v42, v34
	v_mul_f32_e32 v41, v19, v33
	v_fma_f32 v48, -v16, v40, v17
	v_div_scale_f32 v23, s[4:5], v3, v0, v3
	v_rcp_f32_e32 v39, v30
	v_fma_f32 v44, -v24, v36, 1.0
	v_fmac_f32_e32 v35, v43, v35
	v_mul_f32_e32 v42, v21, v34
	v_fma_f32 v49, -v18, v41, v19
	v_fmac_f32_e32 v40, v48, v32
	v_div_scale_f32 v25, s[6:7], v14, v0, v14
	v_fma_f32 v45, -v26, v37, 1.0
	v_fmac_f32_e32 v36, v44, v36
	v_mul_f32_e32 v43, v23, v35
	v_fma_f32 v50, -v20, v42, v21
	v_fmac_f32_e32 v41, v49, v33
	v_fma_f32 v16, -v16, v40, v17
	v_div_scale_f32 v27, s[8:9], v4, v0, v4
	v_fma_f32 v46, -v28, v38, 1.0
	v_fmac_f32_e32 v37, v45, v37
	v_mul_f32_e32 v44, v25, v36
	v_fma_f32 v51, -v22, v43, v23
	v_fmac_f32_e32 v42, v50, v34
	v_fma_f32 v17, -v18, v41, v19
	v_div_fmas_f32 v16, v16, v32, v40
	s_mov_b64 vcc, s[0:1]
	v_div_scale_f32 v29, s[10:11], v15, v0, v15
	v_fmac_f32_e32 v38, v46, v38
	v_mul_f32_e32 v45, v27, v37
	v_fma_f32 v52, -v24, v44, v25
	v_fmac_f32_e32 v43, v51, v35
	v_fma_f32 v18, -v20, v42, v21
	v_div_fixup_f32 v12, v16, v0, v12
	v_div_fmas_f32 v16, v17, v33, v41
	s_mov_b64 vcc, s[2:3]
	v_fma_f32 v47, -v30, v39, 1.0
	v_mul_f32_e32 v46, v29, v38
	v_fma_f32 v53, -v26, v45, v27
	v_fmac_f32_e32 v44, v52, v36
	v_fma_f32 v19, -v22, v43, v23
	v_div_fixup_f32 v2, v16, v0, v2
	v_div_fmas_f32 v16, v18, v34, v42
	s_mov_b64 vcc, s[4:5]
	v_div_scale_f32 v31, s[12:13], v5, v0, v5
	v_fmac_f32_e32 v39, v47, v39
	v_fma_f32 v54, -v28, v46, v29
	v_fmac_f32_e32 v45, v53, v37
	v_fma_f32 v20, -v24, v44, v25
	v_div_fixup_f32 v13, v16, v0, v13
	v_div_fmas_f32 v16, v19, v35, v43
	s_mov_b64 vcc, s[6:7]
	v_mul_f32_e32 v47, v31, v39
	v_fmac_f32_e32 v46, v54, v38
	v_fma_f32 v21, -v26, v45, v27
	v_div_fixup_f32 v3, v16, v0, v3
	v_div_fmas_f32 v16, v20, v36, v44
	s_mov_b64 vcc, s[8:9]
	v_fma_f32 v55, -v30, v47, v31
	v_fma_f32 v22, -v28, v46, v29
	v_div_fixup_f32 v14, v16, v0, v14
	v_div_fmas_f32 v16, v21, v37, v45
	s_mov_b64 vcc, s[10:11]
	v_fmac_f32_e32 v47, v55, v39
	v_max_f32_e32 v13, v13, v9
	v_div_fixup_f32 v4, v16, v0, v4
	v_div_fmas_f32 v16, v22, v38, v46
	v_fma_f32 v23, -v30, v47, v31
	v_max_f32_e32 v2, v2, v9
	v_min_f32_e32 v13, v13, v10
	v_div_fixup_f32 v15, v16, v0, v15
	s_mov_b64 vcc, s[12:13]
	v_min_f32_e32 v2, v2, v10
	v_max_f32_e32 v3, v3, v9
	v_cvt_i32_f32_e32 v13, v13
	v_max_f32_e32 v4, v4, v9
	v_div_fmas_f32 v16, v23, v39, v47
	v_max_f32_e32 v15, v15, v9
	v_cvt_i32_f32_e32 v2, v2
	v_min_f32_e32 v3, v3, v10
	v_min_f32_e32 v4, v4, v10
	v_div_fixup_f32 v5, v16, v0, v5
	v_min_f32_e32 v15, v15, v10
	v_max_f32_e32 v14, v14, v9
	v_cvt_i32_f32_sdwa v3, v3 dst_sel:BYTE_3 dst_unused:UNUSED_PAD src0_sel:DWORD
	v_cvt_i32_f32_e32 v4, v4
	v_max_f32_e32 v5, v5, v9
	v_cvt_i32_f32_e32 v15, v15
	v_max_f32_e32 v12, v12, v9
	v_min_f32_e32 v14, v14, v10
	v_min_f32_e32 v5, v5, v10
	;; [unrolled: 1-line block ×3, first 2 shown]
	v_cvt_i32_f32_e32 v14, v14
	v_and_b32_e32 v13, 0xff, v13
	v_cvt_i32_f32_sdwa v5, v5 dst_sel:BYTE_3 dst_unused:UNUSED_PAD src0_sel:DWORD
	v_cvt_i32_f32_e32 v12, v12
	v_lshlrev_b32_sdwa v2, v11, v2 dst_sel:DWORD dst_unused:UNUSED_PAD src0_sel:DWORD src1_sel:BYTE_0
	v_lshlrev_b32_e32 v13, 16, v13
	v_or3_b32 v2, v3, v13, v2
	v_lshlrev_b32_sdwa v3, v11, v4 dst_sel:DWORD dst_unused:UNUSED_PAD src0_sel:DWORD src1_sel:BYTE_0
	v_and_b32_e32 v4, 0xff, v15
	v_lshlrev_b32_e32 v4, 16, v4
	v_and_b32_e32 v14, 0xff, v14
	v_or_b32_e32 v4, v5, v4
	v_or_b32_sdwa v2, v2, v12 dst_sel:DWORD dst_unused:UNUSED_PAD src0_sel:DWORD src1_sel:BYTE_0
	v_or3_b32 v3, v4, v3, v14
	global_store_dwordx2 v[6:7], v[2:3], off
	v_add_co_u32_e32 v6, vcc, 0x80, v6
	v_addc_co_u32_e32 v7, vcc, 0, v7, vcc
	s_andn2_b64 exec, exec, s[14:15]
	s_cbranch_execnz .LBB13_44
.LBB13_45:
	s_endpgm
	.section	.rodata,"a",@progbits
	.p2align	6, 0x0
	.amdhsa_kernel _Z33per_token_group_quant_8bit_kernelIN3c104HalfEaLb1ELb0EfEvPKT_PvPT3_iiifffii
		.amdhsa_group_segment_fixed_size 0
		.amdhsa_private_segment_fixed_size 0
		.amdhsa_kernarg_size 56
		.amdhsa_user_sgpr_count 6
		.amdhsa_user_sgpr_private_segment_buffer 1
		.amdhsa_user_sgpr_dispatch_ptr 0
		.amdhsa_user_sgpr_queue_ptr 0
		.amdhsa_user_sgpr_kernarg_segment_ptr 1
		.amdhsa_user_sgpr_dispatch_id 0
		.amdhsa_user_sgpr_flat_scratch_init 0
		.amdhsa_user_sgpr_kernarg_preload_length 0
		.amdhsa_user_sgpr_kernarg_preload_offset 0
		.amdhsa_user_sgpr_private_segment_size 0
		.amdhsa_uses_dynamic_stack 0
		.amdhsa_system_sgpr_private_segment_wavefront_offset 0
		.amdhsa_system_sgpr_workgroup_id_x 1
		.amdhsa_system_sgpr_workgroup_id_y 0
		.amdhsa_system_sgpr_workgroup_id_z 0
		.amdhsa_system_sgpr_workgroup_info 0
		.amdhsa_system_vgpr_workitem_id 0
		.amdhsa_next_free_vgpr 56
		.amdhsa_next_free_sgpr 21
		.amdhsa_accum_offset 56
		.amdhsa_reserve_vcc 1
		.amdhsa_reserve_flat_scratch 0
		.amdhsa_float_round_mode_32 0
		.amdhsa_float_round_mode_16_64 0
		.amdhsa_float_denorm_mode_32 3
		.amdhsa_float_denorm_mode_16_64 3
		.amdhsa_dx10_clamp 1
		.amdhsa_ieee_mode 1
		.amdhsa_fp16_overflow 0
		.amdhsa_tg_split 0
		.amdhsa_exception_fp_ieee_invalid_op 0
		.amdhsa_exception_fp_denorm_src 0
		.amdhsa_exception_fp_ieee_div_zero 0
		.amdhsa_exception_fp_ieee_overflow 0
		.amdhsa_exception_fp_ieee_underflow 0
		.amdhsa_exception_fp_ieee_inexact 0
		.amdhsa_exception_int_div_zero 0
	.end_amdhsa_kernel
	.section	.text._Z33per_token_group_quant_8bit_kernelIN3c104HalfEaLb1ELb0EfEvPKT_PvPT3_iiifffii,"axG",@progbits,_Z33per_token_group_quant_8bit_kernelIN3c104HalfEaLb1ELb0EfEvPKT_PvPT3_iiifffii,comdat
.Lfunc_end13:
	.size	_Z33per_token_group_quant_8bit_kernelIN3c104HalfEaLb1ELb0EfEvPKT_PvPT3_iiifffii, .Lfunc_end13-_Z33per_token_group_quant_8bit_kernelIN3c104HalfEaLb1ELb0EfEvPKT_PvPT3_iiifffii
                                        ; -- End function
	.section	.AMDGPU.csdata,"",@progbits
; Kernel info:
; codeLenInByte = 5352
; NumSgprs: 25
; NumVgprs: 56
; NumAgprs: 0
; TotalNumVgprs: 56
; ScratchSize: 0
; MemoryBound: 0
; FloatMode: 240
; IeeeMode: 1
; LDSByteSize: 0 bytes/workgroup (compile time only)
; SGPRBlocks: 3
; VGPRBlocks: 6
; NumSGPRsForWavesPerEU: 25
; NumVGPRsForWavesPerEU: 56
; AccumOffset: 56
; Occupancy: 8
; WaveLimiterHint : 0
; COMPUTE_PGM_RSRC2:SCRATCH_EN: 0
; COMPUTE_PGM_RSRC2:USER_SGPR: 6
; COMPUTE_PGM_RSRC2:TRAP_HANDLER: 0
; COMPUTE_PGM_RSRC2:TGID_X_EN: 1
; COMPUTE_PGM_RSRC2:TGID_Y_EN: 0
; COMPUTE_PGM_RSRC2:TGID_Z_EN: 0
; COMPUTE_PGM_RSRC2:TIDIG_COMP_CNT: 0
; COMPUTE_PGM_RSRC3_GFX90A:ACCUM_OFFSET: 13
; COMPUTE_PGM_RSRC3_GFX90A:TG_SPLIT: 0
	.section	.text._Z33per_token_group_quant_8bit_kernelIN3c104HalfEaLb0ELb1EfEvPKT_PvPT3_iiifffii,"axG",@progbits,_Z33per_token_group_quant_8bit_kernelIN3c104HalfEaLb0ELb1EfEvPKT_PvPT3_iiifffii,comdat
	.protected	_Z33per_token_group_quant_8bit_kernelIN3c104HalfEaLb0ELb1EfEvPKT_PvPT3_iiifffii ; -- Begin function _Z33per_token_group_quant_8bit_kernelIN3c104HalfEaLb0ELb1EfEvPKT_PvPT3_iiifffii
	.globl	_Z33per_token_group_quant_8bit_kernelIN3c104HalfEaLb0ELb1EfEvPKT_PvPT3_iiifffii
	.p2align	8
	.type	_Z33per_token_group_quant_8bit_kernelIN3c104HalfEaLb0ELb1EfEvPKT_PvPT3_iiifffii,@function
_Z33per_token_group_quant_8bit_kernelIN3c104HalfEaLb0ELb1EfEvPKT_PvPT3_iiifffii: ; @_Z33per_token_group_quant_8bit_kernelIN3c104HalfEaLb0ELb1EfEvPKT_PvPT3_iiifffii
; %bb.0:
	s_load_dword s20, s[4:5], 0x18
	s_load_dwordx4 s[8:11], s[4:5], 0x20
	s_load_dwordx2 s[2:3], s[4:5], 0x0
	v_lshrrev_b32_e32 v6, 4, v0
	v_and_b32_e32 v10, 15, v0
	s_waitcnt lgkmcnt(0)
	s_ashr_i32 s7, s20, 31
	s_mul_i32 s6, s6, s8
	v_add_co_u32_e32 v4, vcc, s6, v6
	v_addc_co_u32_e64 v5, s[0:1], 0, 0, vcc
	v_mul_lo_u32 v0, v5, s20
	v_mul_lo_u32 v1, v4, s7
	v_mad_u64_u32 v[2:3], s[0:1], v4, s20, 0
	v_add3_u32 v3, v3, v1, v0
	v_lshlrev_b64 v[0:1], 1, v[2:3]
	s_and_b32 s6, s20, 7
	v_mov_b32_e32 v8, s3
	v_add_co_u32_e32 v7, vcc, s2, v0
	s_cmp_eq_u32 s6, 0
	v_addc_co_u32_e32 v8, vcc, v8, v1, vcc
	v_mov_b32_e32 v15, 0
	v_and_b32_e32 v14, 15, v7
	s_cselect_b64 s[0:1], -1, 0
	s_cmp_lg_u32 s6, 0
	v_mul_lo_u32 v11, v6, s20
	v_cmp_ne_u64_e32 vcc, 0, v[14:15]
	s_cselect_b64 s[6:7], -1, 0
	v_lshl_add_u32 v12, v11, 1, 0
	s_or_b64 s[6:7], s[6:7], vcc
                                        ; implicit-def: $vgpr13
	s_and_saveexec_b64 s[12:13], s[6:7]
	s_xor_b64 s[6:7], exec, s[12:13]
	s_cbranch_execz .LBB14_12
; %bb.1:
	v_sub_u32_e32 v6, 0, v7
	v_bfe_u32 v6, v6, 1, 3
	v_min_i32_e32 v6, s20, v6
	v_cmp_gt_i32_e32 vcc, v6, v10
	v_mov_b32_e32 v13, s9
	s_and_saveexec_b64 s[12:13], vcc
	s_cbranch_execz .LBB14_3
; %bb.2:
	v_lshlrev_b32_e32 v9, 1, v10
	v_add_co_u32_e32 v14, vcc, v7, v9
	v_addc_co_u32_e32 v15, vcc, 0, v8, vcc
	global_load_ushort v7, v[14:15], off
	v_max_f32_e64 v13, s9, s9
	v_add_u32_e32 v9, v12, v9
	s_waitcnt vmcnt(0)
	v_cvt_f32_f16_e64 v8, |v7|
	ds_write_b16 v9, v7
	v_max_f32_e32 v13, v13, v8
.LBB14_3:
	s_or_b64 exec, exec, s[12:13]
	v_sub_u32_e32 v14, s20, v6
	v_ashrrev_i32_e32 v8, 31, v14
	v_lshrrev_b32_e32 v8, 29, v8
	v_add_u32_e32 v8, v14, v8
	v_ashrrev_i32_e32 v7, 31, v6
	v_ashrrev_i32_e32 v15, 3, v8
	v_cmp_gt_i32_e32 vcc, v15, v10
	v_lshlrev_b32_e32 v16, 1, v6
	v_lshlrev_b64 v[6:7], 1, v[6:7]
	s_and_saveexec_b64 s[12:13], vcc
	s_cbranch_execz .LBB14_7
; %bb.4:
	v_lshlrev_b32_e32 v8, 4, v10
	v_lshl_add_u32 v9, v11, 1, v8
	v_add_co_u32_e32 v8, vcc, v0, v8
	v_add3_u32 v17, v9, v16, 0
	v_addc_co_u32_e32 v9, vcc, 0, v1, vcc
	v_add_co_u32_e32 v8, vcc, v8, v6
	v_addc_co_u32_e32 v9, vcc, v9, v7, vcc
	v_mov_b32_e32 v18, s3
	v_add_co_u32_e32 v8, vcc, s2, v8
	v_addc_co_u32_e32 v9, vcc, v9, v18, vcc
	v_add_co_u32_e32 v8, vcc, 8, v8
	v_addc_co_u32_e32 v9, vcc, 0, v9, vcc
	s_mov_b64 s[14:15], 0
	v_mov_b32_e32 v18, v10
.LBB14_5:                               ; =>This Inner Loop Header: Depth=1
	global_load_dwordx4 v[20:23], v[8:9], off offset:-8
	v_add_co_u32_e32 v8, vcc, 0x100, v8
	v_add_u32_e32 v18, 16, v18
	v_addc_co_u32_e32 v9, vcc, 0, v9, vcc
	v_cmp_ge_i32_e32 vcc, v18, v15
	s_or_b64 s[14:15], vcc, s[14:15]
	s_waitcnt vmcnt(0)
	v_cvt_f32_f16_e64 v19, |v20|
	v_cvt_f32_f16_sdwa v24, |v20| dst_sel:DWORD dst_unused:UNUSED_PAD src0_sel:WORD_1
	v_cvt_f32_f16_e64 v25, |v21|
	v_cvt_f32_f16_sdwa v26, |v21| dst_sel:DWORD dst_unused:UNUSED_PAD src0_sel:WORD_1
	;; [unrolled: 2-line block ×4, first 2 shown]
	v_max3_f32 v13, v13, v19, v24
	v_max3_f32 v13, v13, v25, v26
	;; [unrolled: 1-line block ×3, first 2 shown]
	ds_write_b128 v17, v[20:23]
	v_add_u32_e32 v17, 0x100, v17
	v_max3_f32 v13, v13, v29, v30
	s_andn2_b64 exec, exec, s[14:15]
	s_cbranch_execnz .LBB14_5
; %bb.6:
	s_or_b64 exec, exec, s[14:15]
.LBB14_7:
	s_or_b64 exec, exec, s[12:13]
	v_lshl_add_u32 v8, v15, 3, v10
	v_cmp_lt_i32_e32 vcc, v8, v14
	s_and_saveexec_b64 s[12:13], vcc
	s_cbranch_execz .LBB14_11
; %bb.8:
	v_lshlrev_b32_e32 v9, 1, v11
	v_lshlrev_b32_e32 v15, 4, v15
	v_add3_u32 v9, v9, v15, v16
	v_lshlrev_b32_e32 v15, 1, v10
	v_add3_u32 v15, v9, v15, 0
	v_add_co_u32_e32 v6, vcc, v0, v6
	v_ashrrev_i32_e32 v9, 31, v8
	v_addc_co_u32_e32 v7, vcc, v1, v7, vcc
	v_lshlrev_b64 v[0:1], 1, v[8:9]
	v_add_co_u32_e32 v0, vcc, v6, v0
	v_addc_co_u32_e32 v1, vcc, v7, v1, vcc
	v_mov_b32_e32 v6, s3
	v_add_co_u32_e32 v0, vcc, s2, v0
	v_addc_co_u32_e32 v1, vcc, v6, v1, vcc
	s_mov_b64 s[14:15], 0
.LBB14_9:                               ; =>This Inner Loop Header: Depth=1
	global_load_ushort v6, v[0:1], off
	v_add_co_u32_e32 v0, vcc, 32, v0
	v_add_u32_e32 v8, 16, v8
	v_addc_co_u32_e32 v1, vcc, 0, v1, vcc
	v_max_f32_e32 v7, v13, v13
	v_cmp_ge_i32_e32 vcc, v8, v14
	s_or_b64 s[14:15], vcc, s[14:15]
	s_waitcnt vmcnt(0)
	v_cvt_f32_f16_e64 v9, |v6|
	ds_write_b16 v15, v6
	v_add_u32_e32 v15, 32, v15
	v_max_f32_e32 v13, v7, v9
	s_andn2_b64 exec, exec, s[14:15]
	s_cbranch_execnz .LBB14_9
; %bb.10:
	s_or_b64 exec, exec, s[14:15]
.LBB14_11:
	s_or_b64 exec, exec, s[12:13]
                                        ; implicit-def: $vgpr0_vgpr1
.LBB14_12:
	s_andn2_saveexec_b64 s[6:7], s[6:7]
	s_cbranch_execz .LBB14_18
; %bb.13:
	s_ashr_i32 s8, s20, 3
	v_cmp_gt_i32_e32 vcc, s8, v10
	v_mov_b32_e32 v13, s9
	s_and_saveexec_b64 s[12:13], vcc
	s_cbranch_execz .LBB14_17
; %bb.14:
	v_lshlrev_b32_e32 v7, 4, v10
	v_add_co_u32_e32 v0, vcc, v0, v7
	v_lshlrev_b32_e32 v6, 1, v11
	v_addc_co_u32_e32 v1, vcc, 0, v1, vcc
	v_add3_u32 v6, v6, v7, 0
	v_mov_b32_e32 v7, s3
	v_add_co_u32_e32 v0, vcc, s2, v0
	v_addc_co_u32_e32 v1, vcc, v1, v7, vcc
	v_add_co_u32_e32 v0, vcc, 8, v0
	v_addc_co_u32_e32 v1, vcc, 0, v1, vcc
	s_mov_b64 s[2:3], 0
	v_mov_b32_e32 v13, s9
	v_mov_b32_e32 v7, v10
.LBB14_15:                              ; =>This Inner Loop Header: Depth=1
	global_load_dwordx4 v[14:17], v[0:1], off offset:-8
	v_add_co_u32_e32 v0, vcc, 0x100, v0
	v_add_u32_e32 v7, 16, v7
	v_addc_co_u32_e32 v1, vcc, 0, v1, vcc
	v_cmp_le_i32_e32 vcc, s8, v7
	s_or_b64 s[2:3], vcc, s[2:3]
	s_waitcnt vmcnt(0)
	v_cvt_f32_f16_e64 v8, |v14|
	v_cvt_f32_f16_sdwa v9, |v14| dst_sel:DWORD dst_unused:UNUSED_PAD src0_sel:WORD_1
	v_cvt_f32_f16_e64 v18, |v15|
	v_cvt_f32_f16_sdwa v19, |v15| dst_sel:DWORD dst_unused:UNUSED_PAD src0_sel:WORD_1
	;; [unrolled: 2-line block ×4, first 2 shown]
	v_max3_f32 v8, v13, v8, v9
	v_max3_f32 v8, v8, v18, v19
	;; [unrolled: 1-line block ×3, first 2 shown]
	ds_write_b128 v6, v[14:17]
	v_add_u32_e32 v6, 0x100, v6
	v_max3_f32 v13, v8, v22, v23
	s_andn2_b64 exec, exec, s[2:3]
	s_cbranch_execnz .LBB14_15
; %bb.16:
	s_or_b64 exec, exec, s[2:3]
.LBB14_17:
	s_or_b64 exec, exec, s[12:13]
.LBB14_18:
	s_or_b64 exec, exec, s[6:7]
	v_mbcnt_lo_u32_b32 v0, -1, 0
	v_mbcnt_hi_u32_b32 v0, -1, v0
	v_and_b32_e32 v6, 0x70, v0
	v_xor_b32_e32 v1, 8, v0
	v_add_u32_e32 v6, 16, v6
	v_cmp_lt_i32_e32 vcc, v1, v6
	v_cndmask_b32_e32 v1, v0, v1, vcc
	v_lshlrev_b32_e32 v1, 2, v1
	ds_bpermute_b32 v1, v1, v13
	v_xor_b32_e32 v8, 4, v0
	v_max_f32_e32 v7, v13, v13
	v_cmp_lt_i32_e32 vcc, v8, v6
	s_load_dwordx2 s[8:9], s[4:5], 0x8
	s_waitcnt lgkmcnt(0)
	v_max_f32_e32 v1, v1, v1
	v_max_f32_e32 v1, v7, v1
	v_cndmask_b32_e32 v7, v0, v8, vcc
	v_lshlrev_b32_e32 v7, 2, v7
	ds_bpermute_b32 v7, v7, v1
	v_xor_b32_e32 v8, 2, v0
	v_cmp_lt_i32_e32 vcc, v8, v6
	s_waitcnt lgkmcnt(0)
	v_max_f32_e32 v7, v7, v7
	v_max_f32_e32 v1, v1, v7
	v_cndmask_b32_e32 v7, v0, v8, vcc
	v_lshlrev_b32_e32 v7, 2, v7
	ds_bpermute_b32 v7, v7, v1
	v_xor_b32_e32 v8, 1, v0
	v_cmp_lt_i32_e32 vcc, v8, v6
	v_cndmask_b32_e32 v0, v0, v8, vcc
	v_lshlrev_b32_e32 v0, 2, v0
	s_waitcnt lgkmcnt(0)
	v_max_f32_e32 v7, v7, v7
	v_max_f32_e32 v1, v1, v7
	ds_bpermute_b32 v0, v0, v1
	s_waitcnt lgkmcnt(0)
	v_max_f32_e32 v0, v0, v0
	v_max_f32_e32 v0, v1, v0
	v_div_scale_f32 v1, s[2:3], s11, s11, v0
	v_rcp_f32_e32 v6, v1
	v_div_scale_f32 v7, vcc, v0, s11, v0
	s_mov_b32 s2, 0x2edbe6ff
	v_fma_f32 v8, -v1, v6, 1.0
	v_fmac_f32_e32 v6, v8, v6
	v_mul_f32_e32 v8, v7, v6
	v_fma_f32 v9, -v1, v8, v7
	v_fmac_f32_e32 v8, v9, v6
	v_fma_f32 v1, -v1, v8, v7
	v_div_fmas_f32 v1, v1, v6, v8
	v_div_fixup_f32 v0, v1, s11, v0
	v_max_f32_e64 v0, |v0|, s2
	s_mov_b32 s2, 0x800000
	v_mov_b32_e32 v1, 0x4f800000
	v_cmp_gt_f32_e32 vcc, s2, v0
	v_cndmask_b32_e32 v1, 1.0, v1, vcc
	v_mul_f32_e32 v0, v0, v1
	v_log_f32_e32 v0, v0
	v_mov_b32_e32 v1, 0x42000000
	v_cndmask_b32_e32 v1, 0, v1, vcc
	s_mov_b32 s2, 0xc2fc0000
	v_sub_f32_e32 v0, v0, v1
	v_ceil_f32_e32 v0, v0
	v_mov_b32_e32 v1, 0x42800000
	v_cmp_gt_f32_e32 vcc, s2, v0
	v_cndmask_b32_e32 v1, 0, v1, vcc
	v_add_f32_e32 v0, v0, v1
	v_exp_f32_e32 v0, v0
	v_mov_b32_e32 v1, 0x1f800000
	v_cndmask_b32_e32 v1, 1.0, v1, vcc
	v_cmp_eq_u32_e32 vcc, 0, v10
	v_mul_f32_e32 v0, v0, v1
	s_and_saveexec_b64 s[2:3], vcc
	s_cbranch_execz .LBB14_20
; %bb.19:
	s_load_dwordx2 s[4:5], s[4:5], 0x10
	v_lshlrev_b64 v[4:5], 2, v[4:5]
	s_waitcnt lgkmcnt(0)
	v_mov_b32_e32 v1, s5
	v_add_co_u32_e32 v4, vcc, s4, v4
	v_addc_co_u32_e32 v5, vcc, v1, v5, vcc
	global_store_dword v[4:5], v0, off
.LBB14_20:
	s_or_b64 exec, exec, s[2:3]
	v_and_b32_e32 v4, 15, v12
	v_mov_b32_e32 v5, 0
	v_cmp_ne_u64_e32 vcc, 0, v[4:5]
	s_xor_b64 s[0:1], s[0:1], -1
	s_or_b64 s[0:1], s[0:1], vcc
	s_barrier
	s_and_saveexec_b64 s[2:3], s[0:1]
	s_xor_b64 s[12:13], exec, s[2:3]
	s_cbranch_execz .LBB14_37
; %bb.21:
	v_sub_u32_e32 v5, 0, v12
	v_mov_b32_e32 v4, s9
	v_add_co_u32_e32 v1, vcc, s8, v2
	v_bfe_u32 v5, v5, 1, 3
	v_addc_co_u32_e32 v4, vcc, v4, v3, vcc
	v_min_i32_e32 v8, s20, v5
	v_cmp_gt_i32_e32 vcc, v8, v10
	s_and_saveexec_b64 s[0:1], vcc
	s_cbranch_execz .LBB14_23
; %bb.22:
	v_lshl_add_u32 v5, v10, 1, v12
	ds_read_u16 v5, v5
	v_max_f32_e64 v6, s10, s10
	v_max_f32_e64 v12, s11, s11
	s_waitcnt lgkmcnt(0)
	v_cvt_f32_f16_e32 v5, v5
	v_div_scale_f32 v7, s[2:3], v0, v0, v5
	v_rcp_f32_e32 v9, v7
	v_div_scale_f32 v13, vcc, v5, v0, v5
	v_fma_f32 v14, -v7, v9, 1.0
	v_fmac_f32_e32 v9, v14, v9
	v_mul_f32_e32 v14, v13, v9
	v_fma_f32 v15, -v7, v14, v13
	v_fmac_f32_e32 v14, v15, v9
	v_fma_f32 v7, -v7, v14, v13
	v_div_fmas_f32 v7, v7, v9, v14
	v_div_fixup_f32 v5, v7, v0, v5
	v_max_f32_e32 v5, v5, v6
	v_min_f32_e32 v5, v5, v12
	v_cvt_i32_f32_e32 v5, v5
	v_add_co_u32_e32 v6, vcc, v1, v10
	v_addc_co_u32_e32 v7, vcc, 0, v4, vcc
	global_store_byte v[6:7], v5, off
.LBB14_23:
	s_or_b64 exec, exec, s[0:1]
	v_sub_u32_e32 v18, s20, v8
	v_ashrrev_i32_e32 v6, 31, v18
	v_lshrrev_b32_e32 v6, 29, v6
	v_add_u32_e32 v6, v18, v6
	v_ashrrev_i32_e32 v9, 3, v6
	v_ashrrev_i32_e32 v5, 31, v8
	v_cmp_gt_i32_e32 vcc, v9, v10
	v_lshlrev_b32_e32 v19, 1, v8
	s_and_saveexec_b64 s[0:1], vcc
	s_cbranch_execz .LBB14_26
; %bb.24:
	v_lshlrev_b32_e32 v6, 4, v10
	v_lshl_add_u32 v6, v11, 1, v6
	v_lshlrev_b32_e32 v7, 1, v8
	v_add_co_u32_e32 v2, vcc, v8, v2
	v_add3_u32 v6, v6, v7, 0
	v_addc_co_u32_e32 v3, vcc, v5, v3, vcc
	v_lshlrev_b32_e32 v7, 3, v10
	v_add_co_u32_e32 v2, vcc, v2, v7
	v_addc_co_u32_e32 v3, vcc, 0, v3, vcc
	v_mov_b32_e32 v7, s9
	v_add_co_u32_e32 v2, vcc, s8, v2
	v_addc_co_u32_e32 v3, vcc, v7, v3, vcc
	s_mov_b64 s[2:3], 0
	v_max_f32_e64 v7, s10, s10
	v_max_f32_e64 v12, s11, s11
	v_mov_b32_e32 v13, 8
	v_mov_b32_e32 v14, v10
.LBB14_25:                              ; =>This Inner Loop Header: Depth=1
	ds_read_b128 v[20:23], v6
	v_add_u32_e32 v14, 16, v14
	v_add_u32_e32 v6, 0x100, v6
	s_waitcnt lgkmcnt(0)
	v_cvt_f32_f16_e32 v15, v20
	v_div_scale_f32 v16, s[4:5], v0, v0, v15
	v_rcp_f32_e32 v17, v16
	v_fma_f32 v24, -v16, v17, 1.0
	v_fmac_f32_e32 v17, v24, v17
	v_div_scale_f32 v24, vcc, v15, v0, v15
	v_mul_f32_e32 v25, v24, v17
	v_fma_f32 v26, -v16, v25, v24
	v_fmac_f32_e32 v25, v26, v17
	v_fma_f32 v16, -v16, v25, v24
	v_div_fmas_f32 v16, v16, v17, v25
	v_div_fixup_f32 v15, v16, v0, v15
	v_cvt_f32_f16_sdwa v16, v20 dst_sel:DWORD dst_unused:UNUSED_PAD src0_sel:WORD_1
	v_max_f32_e32 v15, v15, v7
	v_min_f32_e32 v15, v15, v12
	v_cvt_i32_f32_e32 v15, v15
	v_div_scale_f32 v17, s[4:5], v0, v0, v16
	v_rcp_f32_e32 v20, v17
	v_fma_f32 v24, -v17, v20, 1.0
	v_fmac_f32_e32 v20, v24, v20
	v_div_scale_f32 v24, vcc, v16, v0, v16
	v_mul_f32_e32 v25, v24, v20
	v_fma_f32 v26, -v17, v25, v24
	v_fmac_f32_e32 v25, v26, v20
	v_fma_f32 v17, -v17, v25, v24
	v_div_fmas_f32 v17, v17, v20, v25
	v_div_fixup_f32 v16, v17, v0, v16
	v_cvt_f32_f16_e32 v17, v21
	v_max_f32_e32 v16, v16, v7
	v_min_f32_e32 v16, v16, v12
	v_cvt_i32_f32_e32 v16, v16
	v_div_scale_f32 v20, s[4:5], v0, v0, v17
	v_rcp_f32_e32 v24, v20
	v_lshlrev_b32_sdwa v16, v13, v16 dst_sel:DWORD dst_unused:UNUSED_PAD src0_sel:DWORD src1_sel:BYTE_0
	v_fma_f32 v25, -v20, v24, 1.0
	v_fmac_f32_e32 v24, v25, v24
	v_div_scale_f32 v25, vcc, v17, v0, v17
	v_mul_f32_e32 v26, v25, v24
	v_fma_f32 v27, -v20, v26, v25
	v_fmac_f32_e32 v26, v27, v24
	v_fma_f32 v20, -v20, v26, v25
	v_div_fmas_f32 v20, v20, v24, v26
	v_div_fixup_f32 v17, v20, v0, v17
	v_max_f32_e32 v17, v17, v7
	v_min_f32_e32 v17, v17, v12
	v_cvt_i32_f32_e32 v20, v17
	v_cvt_f32_f16_sdwa v17, v21 dst_sel:DWORD dst_unused:UNUSED_PAD src0_sel:WORD_1
	v_and_b32_e32 v20, 0xff, v20
	v_div_scale_f32 v21, s[4:5], v0, v0, v17
	v_rcp_f32_e32 v24, v21
	v_lshlrev_b32_e32 v20, 16, v20
	v_fma_f32 v25, -v21, v24, 1.0
	v_fmac_f32_e32 v24, v25, v24
	v_div_scale_f32 v25, vcc, v17, v0, v17
	v_mul_f32_e32 v26, v25, v24
	v_fma_f32 v27, -v21, v26, v25
	v_fmac_f32_e32 v26, v27, v24
	v_fma_f32 v21, -v21, v26, v25
	v_div_fmas_f32 v21, v21, v24, v26
	v_div_fixup_f32 v17, v21, v0, v17
	v_max_f32_e32 v17, v17, v7
	v_min_f32_e32 v17, v17, v12
	v_cvt_i32_f32_sdwa v21, v17 dst_sel:BYTE_3 dst_unused:UNUSED_PAD src0_sel:DWORD
	v_cvt_f32_f16_e32 v17, v22
	v_cvt_f32_f16_sdwa v22, v22 dst_sel:DWORD dst_unused:UNUSED_PAD src0_sel:WORD_1
	v_or3_b32 v16, v21, v20, v16
	v_div_scale_f32 v24, s[4:5], v0, v0, v17
	v_rcp_f32_e32 v25, v24
	v_or_b32_sdwa v16, v16, v15 dst_sel:DWORD dst_unused:UNUSED_PAD src0_sel:DWORD src1_sel:BYTE_0
	v_fma_f32 v26, -v24, v25, 1.0
	v_fmac_f32_e32 v25, v26, v25
	v_div_scale_f32 v26, vcc, v17, v0, v17
	v_mul_f32_e32 v27, v26, v25
	v_fma_f32 v28, -v24, v27, v26
	v_fmac_f32_e32 v27, v28, v25
	v_fma_f32 v24, -v24, v27, v26
	v_div_fmas_f32 v24, v24, v25, v27
	v_div_fixup_f32 v17, v24, v0, v17
	v_div_scale_f32 v24, s[4:5], v0, v0, v22
	v_rcp_f32_e32 v25, v24
	v_max_f32_e32 v17, v17, v7
	v_min_f32_e32 v17, v17, v12
	v_cvt_i32_f32_e32 v17, v17
	v_fma_f32 v26, -v24, v25, 1.0
	v_fmac_f32_e32 v25, v26, v25
	v_div_scale_f32 v26, vcc, v22, v0, v22
	v_mul_f32_e32 v27, v26, v25
	v_fma_f32 v28, -v24, v27, v26
	v_fmac_f32_e32 v27, v28, v25
	v_fma_f32 v24, -v24, v27, v26
	v_div_fmas_f32 v24, v24, v25, v27
	v_div_fixup_f32 v22, v24, v0, v22
	v_cvt_f32_f16_e32 v24, v23
	v_cvt_f32_f16_sdwa v23, v23 dst_sel:DWORD dst_unused:UNUSED_PAD src0_sel:WORD_1
	v_max_f32_e32 v22, v22, v7
	v_min_f32_e32 v22, v22, v12
	v_div_scale_f32 v25, s[4:5], v0, v0, v24
	v_rcp_f32_e32 v26, v25
	v_cvt_i32_f32_e32 v22, v22
	v_and_b32_e32 v17, 0xff, v17
	v_fma_f32 v27, -v25, v26, 1.0
	v_fmac_f32_e32 v26, v27, v26
	v_div_scale_f32 v27, vcc, v24, v0, v24
	v_mul_f32_e32 v28, v27, v26
	v_fma_f32 v29, -v25, v28, v27
	v_fmac_f32_e32 v28, v29, v26
	v_fma_f32 v25, -v25, v28, v27
	v_div_fmas_f32 v25, v25, v26, v28
	v_div_fixup_f32 v24, v25, v0, v24
	v_div_scale_f32 v25, s[4:5], v0, v0, v23
	v_rcp_f32_e32 v26, v25
	v_max_f32_e32 v24, v24, v7
	v_min_f32_e32 v24, v24, v12
	v_cvt_i32_f32_e32 v24, v24
	v_fma_f32 v27, -v25, v26, 1.0
	v_fmac_f32_e32 v26, v27, v26
	v_div_scale_f32 v27, vcc, v23, v0, v23
	v_mul_f32_e32 v28, v27, v26
	v_fma_f32 v29, -v25, v28, v27
	v_fmac_f32_e32 v28, v29, v26
	v_fma_f32 v25, -v25, v28, v27
	v_div_fmas_f32 v25, v25, v26, v28
	v_div_fixup_f32 v23, v25, v0, v23
	v_max_f32_e32 v23, v23, v7
	v_min_f32_e32 v23, v23, v12
	v_cvt_i32_f32_sdwa v23, v23 dst_sel:BYTE_3 dst_unused:UNUSED_PAD src0_sel:DWORD
	v_and_b32_e32 v24, 0xff, v24
	v_lshlrev_b32_e32 v24, 16, v24
	v_lshlrev_b32_sdwa v22, v13, v22 dst_sel:DWORD dst_unused:UNUSED_PAD src0_sel:DWORD src1_sel:BYTE_0
	v_or_b32_e32 v23, v23, v24
	v_or3_b32 v17, v23, v22, v17
	global_store_dwordx2 v[2:3], v[16:17], off
	v_add_co_u32_e32 v2, vcc, 0x80, v2
	v_addc_co_u32_e32 v3, vcc, 0, v3, vcc
	v_cmp_ge_i32_e32 vcc, v14, v9
	s_or_b64 s[2:3], vcc, s[2:3]
	s_andn2_b64 exec, exec, s[2:3]
	s_cbranch_execnz .LBB14_25
.LBB14_26:
	s_or_b64 exec, exec, s[0:1]
	v_lshlrev_b32_e32 v6, 3, v9
	v_add_u32_e32 v2, v6, v10
	v_cmp_lt_i32_e32 vcc, v2, v18
	s_and_saveexec_b64 s[14:15], vcc
	s_cbranch_execz .LBB14_36
; %bb.27:
	v_add_u32_e32 v3, 16, v2
	v_add_co_u32_e32 v20, vcc, v1, v8
	v_max_i32_e32 v1, v3, v18
	v_xad_u32 v1, v10, -1, v1
	v_addc_co_u32_e32 v21, vcc, v4, v5, vcc
	v_sub_u32_e32 v1, v1, v6
	v_cmp_lt_u32_e32 vcc, 47, v1
	s_mov_b64 s[0:1], 0
                                        ; implicit-def: $vgpr22
	s_and_saveexec_b64 s[2:3], vcc
	s_xor_b64 s[16:17], exec, s[2:3]
	s_cbranch_execnz .LBB14_30
; %bb.28:
	s_andn2_saveexec_b64 s[2:3], s[16:17]
	s_cbranch_execnz .LBB14_33
.LBB14_29:
	s_or_b64 exec, exec, s[2:3]
	s_and_b64 exec, exec, s[0:1]
	s_cbranch_execnz .LBB14_34
	s_branch .LBB14_36
.LBB14_30:
	v_lshrrev_b32_e32 v1, 4, v1
	v_lshlrev_b32_e32 v22, 1, v11
	v_lshlrev_b32_e32 v9, 4, v9
	;; [unrolled: 1-line block ×3, first 2 shown]
	v_add_u32_e32 v23, 1, v1
	v_add_u32_e32 v5, 48, v2
	;; [unrolled: 1-line block ×3, first 2 shown]
	v_add3_u32 v8, v22, v9, v19
	v_lshlrev_b32_e32 v9, 1, v10
	v_and_b32_e32 v24, 0x1ffffffc, v23
	s_mov_b32 s0, s10
	s_mov_b32 s1, s10
	;; [unrolled: 1-line block ×8, first 2 shown]
	v_add3_u32 v25, v8, v9, 0
	v_pk_mov_b32 v[10:11], v[4:5], v[4:5] op_sel:[0,1]
	v_mov_b32_e32 v1, v0
	v_mov_b32_e32 v6, v0
	;; [unrolled: 1-line block ×3, first 2 shown]
	s_mov_b64 s[18:19], 0
	v_max_f32_e64 v26, s3, s3
	v_max_f32_e64 v27, s2, s2
	v_max_f32_e64 v28, s1, s1
	v_max_f32_e64 v29, s0, s0
	v_max_f32_e64 v30, s4, s4
	v_max_f32_e64 v31, s5, s5
	v_max_f32_e64 v32, s6, s6
	v_max_f32_e64 v33, s7, s7
	v_mov_b32_e32 v34, v24
	v_pk_mov_b32 v[8:9], v[2:3], v[2:3] op_sel:[0,1]
.LBB14_31:                              ; =>This Inner Loop Header: Depth=1
	ds_read_u16 v35, v25
	ds_read_u16 v36, v25 offset:32
	ds_read_u16 v37, v25 offset:64
	;; [unrolled: 1-line block ×3, first 2 shown]
	v_ashrrev_i32_e32 v3, 31, v11
	s_waitcnt lgkmcnt(3)
	v_cvt_f32_f16_e32 v35, v35
	v_ashrrev_i32_e32 v5, 31, v9
	v_ashrrev_i32_e32 v15, 31, v8
	v_add_co_u32_e32 v4, vcc, v20, v9
	v_add_co_u32_e64 v14, s[2:3], v20, v11
	v_add_co_u32_e64 v16, s[4:5], v20, v8
	s_waitcnt lgkmcnt(2)
	v_cvt_f32_f16_e32 v36, v36
	v_addc_co_u32_e64 v17, s[4:5], v21, v15, s[4:5]
	v_addc_co_u32_e32 v5, vcc, v21, v5, vcc
	v_addc_co_u32_e64 v15, vcc, v21, v3, s[2:3]
	s_waitcnt lgkmcnt(0)
	v_cvt_f32_f16_e32 v3, v38
	v_cvt_f32_f16_e32 v37, v37
	v_ashrrev_i32_e32 v13, 31, v10
	v_add_co_u32_e64 v12, s[0:1], v20, v10
	v_addc_co_u32_e64 v13, vcc, v21, v13, s[0:1]
	v_div_scale_f32 v38, s[0:1], v0, v0, v35
	v_div_scale_f32 v40, s[0:1], v1, v1, v36
	v_rcp_f32_e32 v46, v38
	v_div_scale_f32 v42, s[2:3], v6, v6, v37
	v_div_scale_f32 v44, s[4:5], v7, v7, v3
	v_rcp_f32_e32 v47, v40
	v_rcp_f32_e32 v48, v42
	;; [unrolled: 1-line block ×3, first 2 shown]
	v_fma_f32 v50, -v38, v46, 1.0
	v_div_scale_f32 v39, vcc, v35, v0, v35
	v_fma_f32 v51, -v40, v47, 1.0
	v_fmac_f32_e32 v46, v50, v46
	v_div_scale_f32 v41, s[0:1], v36, v1, v36
	v_fma_f32 v52, -v42, v48, 1.0
	v_fma_f32 v53, -v44, v49, 1.0
	v_fmac_f32_e32 v47, v51, v47
	v_mul_f32_e32 v50, v39, v46
	v_div_scale_f32 v43, s[2:3], v37, v6, v37
	v_fmac_f32_e32 v48, v52, v48
	v_fmac_f32_e32 v49, v53, v49
	v_mul_f32_e32 v51, v41, v47
	v_fma_f32 v53, -v38, v50, v39
	v_mul_f32_e32 v52, v43, v48
	v_fmac_f32_e32 v50, v53, v46
	v_fma_f32 v53, -v40, v51, v41
	v_div_scale_f32 v45, s[4:5], v3, v7, v3
	v_fmac_f32_e32 v51, v53, v47
	v_fma_f32 v53, -v42, v52, v43
	v_fmac_f32_e32 v52, v53, v48
	v_mul_f32_e32 v53, v45, v49
	v_fma_f32 v38, -v38, v50, v39
	v_fma_f32 v54, -v44, v53, v45
	;; [unrolled: 1-line block ×3, first 2 shown]
	v_div_fmas_f32 v38, v38, v46, v50
	s_mov_b64 vcc, s[0:1]
	v_fmac_f32_e32 v53, v54, v49
	v_fma_f32 v40, -v42, v52, v43
	v_div_fixup_f32 v35, v38, v0, v35
	v_div_fmas_f32 v38, v39, v47, v51
	s_mov_b64 vcc, s[2:3]
	v_fma_f32 v41, -v44, v53, v45
	v_div_fixup_f32 v36, v38, v1, v36
	v_div_fmas_f32 v38, v40, v48, v52
	s_mov_b64 vcc, s[4:5]
	v_div_fixup_f32 v37, v38, v6, v37
	v_div_fmas_f32 v38, v41, v49, v53
	v_div_fixup_f32 v3, v38, v7, v3
	v_max_f32_e32 v35, v35, v29
	v_max_f32_e32 v36, v36, v28
	v_max_f32_e32 v37, v37, v27
	v_max_f32_e32 v3, v3, v26
	v_min_f32_e32 v35, v35, v30
	v_min_f32_e32 v36, v36, v31
	v_min_f32_e32 v37, v37, v32
	v_min_f32_e32 v3, v3, v33
	v_cvt_i32_f32_e32 v35, v35
	v_cvt_i32_f32_sdwa v36, v36 dst_sel:BYTE_1 dst_unused:UNUSED_PAD src0_sel:DWORD
	v_cvt_i32_f32_e32 v37, v37
	v_cvt_i32_f32_sdwa v3, v3 dst_sel:BYTE_1 dst_unused:UNUSED_PAD src0_sel:DWORD
	v_add_u32_e32 v34, -4, v34
	v_cmp_eq_u32_e64 s[6:7], 0, v34
	global_store_byte v[16:17], v35, off
	v_lshrrev_b32_e32 v16, 8, v36
	v_or_b32_sdwa v3, v37, v3 dst_sel:DWORD dst_unused:UNUSED_PAD src0_sel:BYTE_0 src1_sel:DWORD
	v_add_u32_e32 v11, 64, v11
	v_add_u32_e32 v10, 64, v10
	;; [unrolled: 1-line block ×5, first 2 shown]
	s_or_b64 s[18:19], s[6:7], s[18:19]
	global_store_byte v[4:5], v16, off
	global_store_byte v[12:13], v3, off
	v_lshrrev_b32_e32 v3, 8, v3
	global_store_byte v[14:15], v3, off
	s_andn2_b64 exec, exec, s[18:19]
	s_cbranch_execnz .LBB14_31
; %bb.32:
	s_or_b64 exec, exec, s[18:19]
	v_cmp_ne_u32_e32 vcc, v23, v24
	v_lshl_add_u32 v2, v24, 4, v2
	s_and_b64 s[0:1], vcc, exec
                                        ; implicit-def: $vgpr11
	s_andn2_saveexec_b64 s[2:3], s[16:17]
	s_cbranch_execz .LBB14_29
.LBB14_33:
	v_lshlrev_b32_e32 v22, 1, v11
	s_or_b64 s[0:1], s[0:1], exec
	s_or_b64 exec, exec, s[2:3]
	s_and_b64 exec, exec, s[0:1]
	s_cbranch_execz .LBB14_36
.LBB14_34:
	v_lshl_add_u32 v1, v2, 1, v22
	v_add3_u32 v3, v1, v19, 0
	v_ashrrev_i32_e32 v1, 31, v2
	s_mov_b64 s[2:3], 0
	v_max_f32_e64 v4, s10, s10
	v_max_f32_e64 v5, s11, s11
.LBB14_35:                              ; =>This Inner Loop Header: Depth=1
	ds_read_u16 v8, v3
	v_add_co_u32_e32 v6, vcc, v20, v2
	v_addc_co_u32_e32 v7, vcc, v21, v1, vcc
	s_waitcnt lgkmcnt(0)
	v_cvt_f32_f16_e32 v8, v8
	v_add_co_u32_e64 v2, s[0:1], 16, v2
	v_add_u32_e32 v3, 32, v3
	v_div_scale_f32 v9, s[4:5], v0, v0, v8
	v_rcp_f32_e32 v10, v9
	v_div_scale_f32 v11, vcc, v8, v0, v8
	v_fma_f32 v12, -v9, v10, 1.0
	v_fmac_f32_e32 v10, v12, v10
	v_mul_f32_e32 v12, v11, v10
	v_fma_f32 v13, -v9, v12, v11
	v_fmac_f32_e32 v12, v13, v10
	v_fma_f32 v9, -v9, v12, v11
	v_div_fmas_f32 v9, v9, v10, v12
	v_div_fixup_f32 v8, v9, v0, v8
	v_max_f32_e32 v8, v8, v4
	v_min_f32_e32 v8, v8, v5
	v_cvt_i32_f32_e32 v8, v8
	v_addc_co_u32_e64 v1, vcc, 0, v1, s[0:1]
	v_cmp_ge_i32_e32 vcc, v2, v18
	s_or_b64 s[2:3], vcc, s[2:3]
	global_store_byte v[6:7], v8, off
	s_andn2_b64 exec, exec, s[2:3]
	s_cbranch_execnz .LBB14_35
.LBB14_36:
	s_or_b64 exec, exec, s[14:15]
                                        ; implicit-def: $vgpr10
                                        ; implicit-def: $vgpr0
                                        ; implicit-def: $vgpr11
                                        ; implicit-def: $vgpr2_vgpr3
.LBB14_37:
	s_andn2_saveexec_b64 s[0:1], s[12:13]
	s_cbranch_execz .LBB14_41
; %bb.38:
	s_ashr_i32 s16, s20, 3
	v_cmp_gt_i32_e32 vcc, s16, v10
	s_and_saveexec_b64 s[0:1], vcc
	s_cbranch_execz .LBB14_41
; %bb.39:
	v_lshlrev_b32_e32 v1, 1, v11
	v_lshlrev_b32_e32 v4, 4, v10
	v_add3_u32 v1, v1, v4, 0
	v_lshlrev_b32_e32 v4, 3, v10
	v_add_co_u32_e32 v2, vcc, v2, v4
	v_addc_co_u32_e32 v3, vcc, 0, v3, vcc
	v_mov_b32_e32 v4, s9
	v_add_co_u32_e32 v6, vcc, s8, v2
	v_addc_co_u32_e32 v7, vcc, v4, v3, vcc
	s_mov_b64 s[14:15], 0
	v_max_f32_e64 v8, s10, s10
	v_max_f32_e64 v9, s11, s11
	v_mov_b32_e32 v11, 8
.LBB14_40:                              ; =>This Inner Loop Header: Depth=1
	ds_read_b128 v[2:5], v1
	v_add_u32_e32 v10, 16, v10
	v_cmp_le_i32_e32 vcc, s16, v10
	s_or_b64 s[14:15], vcc, s[14:15]
	v_add_u32_e32 v1, 0x100, v1
	s_waitcnt lgkmcnt(0)
	v_cvt_f32_f16_e32 v12, v2
	v_cvt_f32_f16_sdwa v2, v2 dst_sel:DWORD dst_unused:UNUSED_PAD src0_sel:WORD_1
	v_cvt_f32_f16_e32 v13, v3
	v_cvt_f32_f16_sdwa v3, v3 dst_sel:DWORD dst_unused:UNUSED_PAD src0_sel:WORD_1
	v_cvt_f32_f16_e32 v14, v4
	v_div_scale_f32 v16, s[0:1], v0, v0, v12
	v_cvt_f32_f16_sdwa v4, v4 dst_sel:DWORD dst_unused:UNUSED_PAD src0_sel:WORD_1
	v_div_scale_f32 v18, s[0:1], v0, v0, v2
	v_rcp_f32_e32 v32, v16
	v_cvt_f32_f16_e32 v15, v5
	v_div_scale_f32 v20, s[2:3], v0, v0, v13
	v_rcp_f32_e32 v33, v18
	v_div_scale_f32 v22, s[4:5], v0, v0, v3
	v_rcp_f32_e32 v34, v20
	v_cvt_f32_f16_sdwa v5, v5 dst_sel:DWORD dst_unused:UNUSED_PAD src0_sel:WORD_1
	v_div_scale_f32 v24, s[6:7], v0, v0, v14
	v_rcp_f32_e32 v35, v22
	v_div_scale_f32 v26, s[8:9], v0, v0, v4
	v_rcp_f32_e32 v36, v24
	v_fma_f32 v40, -v16, v32, 1.0
	v_div_scale_f32 v17, vcc, v12, v0, v12
	v_div_scale_f32 v28, s[10:11], v0, v0, v15
	v_rcp_f32_e32 v37, v26
	v_fma_f32 v41, -v18, v33, 1.0
	v_fmac_f32_e32 v32, v40, v32
	v_div_scale_f32 v19, s[0:1], v2, v0, v2
	v_rcp_f32_e32 v38, v28
	v_fma_f32 v42, -v20, v34, 1.0
	v_fmac_f32_e32 v33, v41, v33
	v_mul_f32_e32 v40, v17, v32
	v_div_scale_f32 v21, s[2:3], v13, v0, v13
	v_div_scale_f32 v30, s[12:13], v0, v0, v5
	v_fma_f32 v43, -v22, v35, 1.0
	v_fmac_f32_e32 v34, v42, v34
	v_mul_f32_e32 v41, v19, v33
	v_fma_f32 v48, -v16, v40, v17
	v_div_scale_f32 v23, s[4:5], v3, v0, v3
	v_rcp_f32_e32 v39, v30
	v_fma_f32 v44, -v24, v36, 1.0
	v_fmac_f32_e32 v35, v43, v35
	v_mul_f32_e32 v42, v21, v34
	v_fma_f32 v49, -v18, v41, v19
	v_fmac_f32_e32 v40, v48, v32
	v_div_scale_f32 v25, s[6:7], v14, v0, v14
	v_fma_f32 v45, -v26, v37, 1.0
	v_fmac_f32_e32 v36, v44, v36
	v_mul_f32_e32 v43, v23, v35
	v_fma_f32 v50, -v20, v42, v21
	v_fmac_f32_e32 v41, v49, v33
	v_fma_f32 v16, -v16, v40, v17
	v_div_scale_f32 v27, s[8:9], v4, v0, v4
	v_fma_f32 v46, -v28, v38, 1.0
	v_fmac_f32_e32 v37, v45, v37
	v_mul_f32_e32 v44, v25, v36
	v_fma_f32 v51, -v22, v43, v23
	v_fmac_f32_e32 v42, v50, v34
	v_fma_f32 v17, -v18, v41, v19
	v_div_fmas_f32 v16, v16, v32, v40
	s_mov_b64 vcc, s[0:1]
	v_div_scale_f32 v29, s[10:11], v15, v0, v15
	v_fmac_f32_e32 v38, v46, v38
	v_mul_f32_e32 v45, v27, v37
	v_fma_f32 v52, -v24, v44, v25
	v_fmac_f32_e32 v43, v51, v35
	v_fma_f32 v18, -v20, v42, v21
	v_div_fixup_f32 v12, v16, v0, v12
	v_div_fmas_f32 v16, v17, v33, v41
	s_mov_b64 vcc, s[2:3]
	v_fma_f32 v47, -v30, v39, 1.0
	v_mul_f32_e32 v46, v29, v38
	v_fma_f32 v53, -v26, v45, v27
	v_fmac_f32_e32 v44, v52, v36
	v_fma_f32 v19, -v22, v43, v23
	v_div_fixup_f32 v2, v16, v0, v2
	v_div_fmas_f32 v16, v18, v34, v42
	s_mov_b64 vcc, s[4:5]
	v_div_scale_f32 v31, s[12:13], v5, v0, v5
	v_fmac_f32_e32 v39, v47, v39
	v_fma_f32 v54, -v28, v46, v29
	v_fmac_f32_e32 v45, v53, v37
	v_fma_f32 v20, -v24, v44, v25
	v_div_fixup_f32 v13, v16, v0, v13
	v_div_fmas_f32 v16, v19, v35, v43
	s_mov_b64 vcc, s[6:7]
	v_mul_f32_e32 v47, v31, v39
	v_fmac_f32_e32 v46, v54, v38
	v_fma_f32 v21, -v26, v45, v27
	v_div_fixup_f32 v3, v16, v0, v3
	v_div_fmas_f32 v16, v20, v36, v44
	s_mov_b64 vcc, s[8:9]
	v_fma_f32 v55, -v30, v47, v31
	v_fma_f32 v22, -v28, v46, v29
	v_div_fixup_f32 v14, v16, v0, v14
	v_div_fmas_f32 v16, v21, v37, v45
	s_mov_b64 vcc, s[10:11]
	v_fmac_f32_e32 v47, v55, v39
	v_max_f32_e32 v13, v13, v8
	v_div_fixup_f32 v4, v16, v0, v4
	v_div_fmas_f32 v16, v22, v38, v46
	v_fma_f32 v23, -v30, v47, v31
	v_max_f32_e32 v2, v2, v8
	v_min_f32_e32 v13, v13, v9
	v_div_fixup_f32 v15, v16, v0, v15
	s_mov_b64 vcc, s[12:13]
	v_min_f32_e32 v2, v2, v9
	v_max_f32_e32 v3, v3, v8
	v_cvt_i32_f32_e32 v13, v13
	v_max_f32_e32 v4, v4, v8
	v_div_fmas_f32 v16, v23, v39, v47
	v_max_f32_e32 v15, v15, v8
	v_cvt_i32_f32_e32 v2, v2
	v_min_f32_e32 v3, v3, v9
	v_min_f32_e32 v4, v4, v9
	v_div_fixup_f32 v5, v16, v0, v5
	v_min_f32_e32 v15, v15, v9
	v_max_f32_e32 v14, v14, v8
	v_cvt_i32_f32_sdwa v3, v3 dst_sel:BYTE_3 dst_unused:UNUSED_PAD src0_sel:DWORD
	v_cvt_i32_f32_e32 v4, v4
	v_max_f32_e32 v5, v5, v8
	v_cvt_i32_f32_e32 v15, v15
	v_max_f32_e32 v12, v12, v8
	v_min_f32_e32 v14, v14, v9
	v_min_f32_e32 v5, v5, v9
	;; [unrolled: 1-line block ×3, first 2 shown]
	v_cvt_i32_f32_e32 v14, v14
	v_and_b32_e32 v13, 0xff, v13
	v_cvt_i32_f32_sdwa v5, v5 dst_sel:BYTE_3 dst_unused:UNUSED_PAD src0_sel:DWORD
	v_cvt_i32_f32_e32 v12, v12
	v_lshlrev_b32_sdwa v2, v11, v2 dst_sel:DWORD dst_unused:UNUSED_PAD src0_sel:DWORD src1_sel:BYTE_0
	v_lshlrev_b32_e32 v13, 16, v13
	v_or3_b32 v2, v3, v13, v2
	v_lshlrev_b32_sdwa v3, v11, v4 dst_sel:DWORD dst_unused:UNUSED_PAD src0_sel:DWORD src1_sel:BYTE_0
	v_and_b32_e32 v4, 0xff, v15
	v_lshlrev_b32_e32 v4, 16, v4
	v_and_b32_e32 v14, 0xff, v14
	v_or_b32_e32 v4, v5, v4
	v_or_b32_sdwa v2, v2, v12 dst_sel:DWORD dst_unused:UNUSED_PAD src0_sel:DWORD src1_sel:BYTE_0
	v_or3_b32 v3, v4, v3, v14
	global_store_dwordx2 v[6:7], v[2:3], off
	v_add_co_u32_e32 v6, vcc, 0x80, v6
	v_addc_co_u32_e32 v7, vcc, 0, v7, vcc
	s_andn2_b64 exec, exec, s[14:15]
	s_cbranch_execnz .LBB14_40
.LBB14_41:
	s_endpgm
	.section	.rodata,"a",@progbits
	.p2align	6, 0x0
	.amdhsa_kernel _Z33per_token_group_quant_8bit_kernelIN3c104HalfEaLb0ELb1EfEvPKT_PvPT3_iiifffii
		.amdhsa_group_segment_fixed_size 0
		.amdhsa_private_segment_fixed_size 0
		.amdhsa_kernarg_size 56
		.amdhsa_user_sgpr_count 6
		.amdhsa_user_sgpr_private_segment_buffer 1
		.amdhsa_user_sgpr_dispatch_ptr 0
		.amdhsa_user_sgpr_queue_ptr 0
		.amdhsa_user_sgpr_kernarg_segment_ptr 1
		.amdhsa_user_sgpr_dispatch_id 0
		.amdhsa_user_sgpr_flat_scratch_init 0
		.amdhsa_user_sgpr_kernarg_preload_length 0
		.amdhsa_user_sgpr_kernarg_preload_offset 0
		.amdhsa_user_sgpr_private_segment_size 0
		.amdhsa_uses_dynamic_stack 0
		.amdhsa_system_sgpr_private_segment_wavefront_offset 0
		.amdhsa_system_sgpr_workgroup_id_x 1
		.amdhsa_system_sgpr_workgroup_id_y 0
		.amdhsa_system_sgpr_workgroup_id_z 0
		.amdhsa_system_sgpr_workgroup_info 0
		.amdhsa_system_vgpr_workitem_id 0
		.amdhsa_next_free_vgpr 56
		.amdhsa_next_free_sgpr 21
		.amdhsa_accum_offset 56
		.amdhsa_reserve_vcc 1
		.amdhsa_reserve_flat_scratch 0
		.amdhsa_float_round_mode_32 0
		.amdhsa_float_round_mode_16_64 0
		.amdhsa_float_denorm_mode_32 3
		.amdhsa_float_denorm_mode_16_64 3
		.amdhsa_dx10_clamp 1
		.amdhsa_ieee_mode 1
		.amdhsa_fp16_overflow 0
		.amdhsa_tg_split 0
		.amdhsa_exception_fp_ieee_invalid_op 0
		.amdhsa_exception_fp_denorm_src 0
		.amdhsa_exception_fp_ieee_div_zero 0
		.amdhsa_exception_fp_ieee_overflow 0
		.amdhsa_exception_fp_ieee_underflow 0
		.amdhsa_exception_fp_ieee_inexact 0
		.amdhsa_exception_int_div_zero 0
	.end_amdhsa_kernel
	.section	.text._Z33per_token_group_quant_8bit_kernelIN3c104HalfEaLb0ELb1EfEvPKT_PvPT3_iiifffii,"axG",@progbits,_Z33per_token_group_quant_8bit_kernelIN3c104HalfEaLb0ELb1EfEvPKT_PvPT3_iiifffii,comdat
.Lfunc_end14:
	.size	_Z33per_token_group_quant_8bit_kernelIN3c104HalfEaLb0ELb1EfEvPKT_PvPT3_iiifffii, .Lfunc_end14-_Z33per_token_group_quant_8bit_kernelIN3c104HalfEaLb0ELb1EfEvPKT_PvPT3_iiifffii
                                        ; -- End function
	.section	.AMDGPU.csdata,"",@progbits
; Kernel info:
; codeLenInByte = 4692
; NumSgprs: 25
; NumVgprs: 56
; NumAgprs: 0
; TotalNumVgprs: 56
; ScratchSize: 0
; MemoryBound: 0
; FloatMode: 240
; IeeeMode: 1
; LDSByteSize: 0 bytes/workgroup (compile time only)
; SGPRBlocks: 3
; VGPRBlocks: 6
; NumSGPRsForWavesPerEU: 25
; NumVGPRsForWavesPerEU: 56
; AccumOffset: 56
; Occupancy: 8
; WaveLimiterHint : 0
; COMPUTE_PGM_RSRC2:SCRATCH_EN: 0
; COMPUTE_PGM_RSRC2:USER_SGPR: 6
; COMPUTE_PGM_RSRC2:TRAP_HANDLER: 0
; COMPUTE_PGM_RSRC2:TGID_X_EN: 1
; COMPUTE_PGM_RSRC2:TGID_Y_EN: 0
; COMPUTE_PGM_RSRC2:TGID_Z_EN: 0
; COMPUTE_PGM_RSRC2:TIDIG_COMP_CNT: 0
; COMPUTE_PGM_RSRC3_GFX90A:ACCUM_OFFSET: 13
; COMPUTE_PGM_RSRC3_GFX90A:TG_SPLIT: 0
	.section	.text._Z33per_token_group_quant_8bit_kernelIN3c104HalfEaLb0ELb0EfEvPKT_PvPT3_iiifffii,"axG",@progbits,_Z33per_token_group_quant_8bit_kernelIN3c104HalfEaLb0ELb0EfEvPKT_PvPT3_iiifffii,comdat
	.protected	_Z33per_token_group_quant_8bit_kernelIN3c104HalfEaLb0ELb0EfEvPKT_PvPT3_iiifffii ; -- Begin function _Z33per_token_group_quant_8bit_kernelIN3c104HalfEaLb0ELb0EfEvPKT_PvPT3_iiifffii
	.globl	_Z33per_token_group_quant_8bit_kernelIN3c104HalfEaLb0ELb0EfEvPKT_PvPT3_iiifffii
	.p2align	8
	.type	_Z33per_token_group_quant_8bit_kernelIN3c104HalfEaLb0ELb0EfEvPKT_PvPT3_iiifffii,@function
_Z33per_token_group_quant_8bit_kernelIN3c104HalfEaLb0ELb0EfEvPKT_PvPT3_iiifffii: ; @_Z33per_token_group_quant_8bit_kernelIN3c104HalfEaLb0ELb0EfEvPKT_PvPT3_iiifffii
; %bb.0:
	s_load_dword s20, s[4:5], 0x18
	s_load_dwordx4 s[8:11], s[4:5], 0x20
	s_load_dwordx2 s[2:3], s[4:5], 0x0
	v_lshrrev_b32_e32 v6, 4, v0
	v_and_b32_e32 v10, 15, v0
	s_waitcnt lgkmcnt(0)
	s_ashr_i32 s7, s20, 31
	s_mul_i32 s6, s6, s8
	v_add_co_u32_e32 v4, vcc, s6, v6
	v_addc_co_u32_e64 v5, s[0:1], 0, 0, vcc
	v_mul_lo_u32 v0, v5, s20
	v_mul_lo_u32 v1, v4, s7
	v_mad_u64_u32 v[2:3], s[0:1], v4, s20, 0
	v_add3_u32 v3, v3, v1, v0
	v_lshlrev_b64 v[0:1], 1, v[2:3]
	s_and_b32 s6, s20, 7
	v_mov_b32_e32 v8, s3
	v_add_co_u32_e32 v7, vcc, s2, v0
	s_cmp_eq_u32 s6, 0
	v_addc_co_u32_e32 v8, vcc, v8, v1, vcc
	v_mov_b32_e32 v15, 0
	v_and_b32_e32 v14, 15, v7
	s_cselect_b64 s[0:1], -1, 0
	s_cmp_lg_u32 s6, 0
	v_mul_lo_u32 v11, v6, s20
	v_cmp_ne_u64_e32 vcc, 0, v[14:15]
	s_cselect_b64 s[6:7], -1, 0
	v_lshl_add_u32 v12, v11, 1, 0
	s_or_b64 s[6:7], s[6:7], vcc
                                        ; implicit-def: $vgpr13
	s_and_saveexec_b64 s[12:13], s[6:7]
	s_xor_b64 s[6:7], exec, s[12:13]
	s_cbranch_execz .LBB15_12
; %bb.1:
	v_sub_u32_e32 v6, 0, v7
	v_bfe_u32 v6, v6, 1, 3
	v_min_i32_e32 v6, s20, v6
	v_cmp_gt_i32_e32 vcc, v6, v10
	v_mov_b32_e32 v13, s9
	s_and_saveexec_b64 s[12:13], vcc
	s_cbranch_execz .LBB15_3
; %bb.2:
	v_lshlrev_b32_e32 v9, 1, v10
	v_add_co_u32_e32 v14, vcc, v7, v9
	v_addc_co_u32_e32 v15, vcc, 0, v8, vcc
	global_load_ushort v7, v[14:15], off
	v_max_f32_e64 v13, s9, s9
	v_add_u32_e32 v9, v12, v9
	s_waitcnt vmcnt(0)
	v_cvt_f32_f16_e64 v8, |v7|
	ds_write_b16 v9, v7
	v_max_f32_e32 v13, v13, v8
.LBB15_3:
	s_or_b64 exec, exec, s[12:13]
	v_sub_u32_e32 v14, s20, v6
	v_ashrrev_i32_e32 v8, 31, v14
	v_lshrrev_b32_e32 v8, 29, v8
	v_add_u32_e32 v8, v14, v8
	v_ashrrev_i32_e32 v7, 31, v6
	v_ashrrev_i32_e32 v15, 3, v8
	v_cmp_gt_i32_e32 vcc, v15, v10
	v_lshlrev_b32_e32 v16, 1, v6
	v_lshlrev_b64 v[6:7], 1, v[6:7]
	s_and_saveexec_b64 s[12:13], vcc
	s_cbranch_execz .LBB15_7
; %bb.4:
	v_lshlrev_b32_e32 v8, 4, v10
	v_lshl_add_u32 v9, v11, 1, v8
	v_add_co_u32_e32 v8, vcc, v0, v8
	v_add3_u32 v17, v9, v16, 0
	v_addc_co_u32_e32 v9, vcc, 0, v1, vcc
	v_add_co_u32_e32 v8, vcc, v8, v6
	v_addc_co_u32_e32 v9, vcc, v9, v7, vcc
	v_mov_b32_e32 v18, s3
	v_add_co_u32_e32 v8, vcc, s2, v8
	v_addc_co_u32_e32 v9, vcc, v9, v18, vcc
	v_add_co_u32_e32 v8, vcc, 8, v8
	v_addc_co_u32_e32 v9, vcc, 0, v9, vcc
	s_mov_b64 s[14:15], 0
	v_mov_b32_e32 v18, v10
.LBB15_5:                               ; =>This Inner Loop Header: Depth=1
	global_load_dwordx4 v[20:23], v[8:9], off offset:-8
	v_add_co_u32_e32 v8, vcc, 0x100, v8
	v_add_u32_e32 v18, 16, v18
	v_addc_co_u32_e32 v9, vcc, 0, v9, vcc
	v_cmp_ge_i32_e32 vcc, v18, v15
	s_or_b64 s[14:15], vcc, s[14:15]
	s_waitcnt vmcnt(0)
	v_cvt_f32_f16_e64 v19, |v20|
	v_cvt_f32_f16_sdwa v24, |v20| dst_sel:DWORD dst_unused:UNUSED_PAD src0_sel:WORD_1
	v_cvt_f32_f16_e64 v25, |v21|
	v_cvt_f32_f16_sdwa v26, |v21| dst_sel:DWORD dst_unused:UNUSED_PAD src0_sel:WORD_1
	;; [unrolled: 2-line block ×4, first 2 shown]
	v_max3_f32 v13, v13, v19, v24
	v_max3_f32 v13, v13, v25, v26
	v_max3_f32 v13, v13, v27, v28
	ds_write_b128 v17, v[20:23]
	v_add_u32_e32 v17, 0x100, v17
	v_max3_f32 v13, v13, v29, v30
	s_andn2_b64 exec, exec, s[14:15]
	s_cbranch_execnz .LBB15_5
; %bb.6:
	s_or_b64 exec, exec, s[14:15]
.LBB15_7:
	s_or_b64 exec, exec, s[12:13]
	v_lshl_add_u32 v8, v15, 3, v10
	v_cmp_lt_i32_e32 vcc, v8, v14
	s_and_saveexec_b64 s[12:13], vcc
	s_cbranch_execz .LBB15_11
; %bb.8:
	v_lshlrev_b32_e32 v9, 1, v11
	v_lshlrev_b32_e32 v15, 4, v15
	v_add3_u32 v9, v9, v15, v16
	v_lshlrev_b32_e32 v15, 1, v10
	v_add3_u32 v15, v9, v15, 0
	v_add_co_u32_e32 v6, vcc, v0, v6
	v_ashrrev_i32_e32 v9, 31, v8
	v_addc_co_u32_e32 v7, vcc, v1, v7, vcc
	v_lshlrev_b64 v[0:1], 1, v[8:9]
	v_add_co_u32_e32 v0, vcc, v6, v0
	v_addc_co_u32_e32 v1, vcc, v7, v1, vcc
	v_mov_b32_e32 v6, s3
	v_add_co_u32_e32 v0, vcc, s2, v0
	v_addc_co_u32_e32 v1, vcc, v6, v1, vcc
	s_mov_b64 s[14:15], 0
.LBB15_9:                               ; =>This Inner Loop Header: Depth=1
	global_load_ushort v6, v[0:1], off
	v_add_co_u32_e32 v0, vcc, 32, v0
	v_add_u32_e32 v8, 16, v8
	v_addc_co_u32_e32 v1, vcc, 0, v1, vcc
	v_max_f32_e32 v7, v13, v13
	v_cmp_ge_i32_e32 vcc, v8, v14
	s_or_b64 s[14:15], vcc, s[14:15]
	s_waitcnt vmcnt(0)
	v_cvt_f32_f16_e64 v9, |v6|
	ds_write_b16 v15, v6
	v_add_u32_e32 v15, 32, v15
	v_max_f32_e32 v13, v7, v9
	s_andn2_b64 exec, exec, s[14:15]
	s_cbranch_execnz .LBB15_9
; %bb.10:
	s_or_b64 exec, exec, s[14:15]
.LBB15_11:
	s_or_b64 exec, exec, s[12:13]
                                        ; implicit-def: $vgpr0_vgpr1
.LBB15_12:
	s_andn2_saveexec_b64 s[6:7], s[6:7]
	s_cbranch_execz .LBB15_18
; %bb.13:
	s_ashr_i32 s8, s20, 3
	v_cmp_gt_i32_e32 vcc, s8, v10
	v_mov_b32_e32 v13, s9
	s_and_saveexec_b64 s[12:13], vcc
	s_cbranch_execz .LBB15_17
; %bb.14:
	v_lshlrev_b32_e32 v7, 4, v10
	v_add_co_u32_e32 v0, vcc, v0, v7
	v_lshlrev_b32_e32 v6, 1, v11
	v_addc_co_u32_e32 v1, vcc, 0, v1, vcc
	v_add3_u32 v6, v6, v7, 0
	v_mov_b32_e32 v7, s3
	v_add_co_u32_e32 v0, vcc, s2, v0
	v_addc_co_u32_e32 v1, vcc, v1, v7, vcc
	v_add_co_u32_e32 v0, vcc, 8, v0
	v_addc_co_u32_e32 v1, vcc, 0, v1, vcc
	s_mov_b64 s[2:3], 0
	v_mov_b32_e32 v13, s9
	v_mov_b32_e32 v7, v10
.LBB15_15:                              ; =>This Inner Loop Header: Depth=1
	global_load_dwordx4 v[14:17], v[0:1], off offset:-8
	v_add_co_u32_e32 v0, vcc, 0x100, v0
	v_add_u32_e32 v7, 16, v7
	v_addc_co_u32_e32 v1, vcc, 0, v1, vcc
	v_cmp_le_i32_e32 vcc, s8, v7
	s_or_b64 s[2:3], vcc, s[2:3]
	s_waitcnt vmcnt(0)
	v_cvt_f32_f16_e64 v8, |v14|
	v_cvt_f32_f16_sdwa v9, |v14| dst_sel:DWORD dst_unused:UNUSED_PAD src0_sel:WORD_1
	v_cvt_f32_f16_e64 v18, |v15|
	v_cvt_f32_f16_sdwa v19, |v15| dst_sel:DWORD dst_unused:UNUSED_PAD src0_sel:WORD_1
	;; [unrolled: 2-line block ×4, first 2 shown]
	v_max3_f32 v8, v13, v8, v9
	v_max3_f32 v8, v8, v18, v19
	;; [unrolled: 1-line block ×3, first 2 shown]
	ds_write_b128 v6, v[14:17]
	v_add_u32_e32 v6, 0x100, v6
	v_max3_f32 v13, v8, v22, v23
	s_andn2_b64 exec, exec, s[2:3]
	s_cbranch_execnz .LBB15_15
; %bb.16:
	s_or_b64 exec, exec, s[2:3]
.LBB15_17:
	s_or_b64 exec, exec, s[12:13]
.LBB15_18:
	s_or_b64 exec, exec, s[6:7]
	v_mbcnt_lo_u32_b32 v0, -1, 0
	v_mbcnt_hi_u32_b32 v0, -1, v0
	v_and_b32_e32 v6, 0x70, v0
	v_xor_b32_e32 v1, 8, v0
	v_add_u32_e32 v6, 16, v6
	v_cmp_lt_i32_e32 vcc, v1, v6
	v_cndmask_b32_e32 v1, v0, v1, vcc
	v_lshlrev_b32_e32 v1, 2, v1
	ds_bpermute_b32 v1, v1, v13
	v_xor_b32_e32 v8, 4, v0
	v_max_f32_e32 v7, v13, v13
	v_cmp_lt_i32_e32 vcc, v8, v6
	s_load_dwordx2 s[8:9], s[4:5], 0x8
	s_waitcnt lgkmcnt(0)
	v_max_f32_e32 v1, v1, v1
	v_max_f32_e32 v1, v7, v1
	v_cndmask_b32_e32 v7, v0, v8, vcc
	v_lshlrev_b32_e32 v7, 2, v7
	ds_bpermute_b32 v7, v7, v1
	v_xor_b32_e32 v8, 2, v0
	v_cmp_lt_i32_e32 vcc, v8, v6
	s_waitcnt lgkmcnt(0)
	v_max_f32_e32 v7, v7, v7
	v_max_f32_e32 v1, v1, v7
	v_cndmask_b32_e32 v7, v0, v8, vcc
	v_lshlrev_b32_e32 v7, 2, v7
	ds_bpermute_b32 v7, v7, v1
	v_xor_b32_e32 v8, 1, v0
	v_cmp_lt_i32_e32 vcc, v8, v6
	v_cndmask_b32_e32 v0, v0, v8, vcc
	v_lshlrev_b32_e32 v0, 2, v0
	s_waitcnt lgkmcnt(0)
	v_max_f32_e32 v7, v7, v7
	v_max_f32_e32 v1, v1, v7
	ds_bpermute_b32 v0, v0, v1
	s_waitcnt lgkmcnt(0)
	v_max_f32_e32 v0, v0, v0
	v_max_f32_e32 v0, v1, v0
	v_div_scale_f32 v1, s[2:3], s11, s11, v0
	v_rcp_f32_e32 v6, v1
	v_div_scale_f32 v7, vcc, v0, s11, v0
	v_fma_f32 v8, -v1, v6, 1.0
	v_fmac_f32_e32 v6, v8, v6
	v_mul_f32_e32 v8, v7, v6
	v_fma_f32 v9, -v1, v8, v7
	v_fmac_f32_e32 v8, v9, v6
	v_fma_f32 v1, -v1, v8, v7
	v_div_fmas_f32 v1, v1, v6, v8
	v_div_fixup_f32 v0, v1, s11, v0
	v_cmp_eq_u32_e32 vcc, 0, v10
	s_and_saveexec_b64 s[2:3], vcc
	s_cbranch_execz .LBB15_20
; %bb.19:
	s_load_dwordx2 s[4:5], s[4:5], 0x10
	v_lshlrev_b64 v[4:5], 2, v[4:5]
	s_waitcnt lgkmcnt(0)
	v_mov_b32_e32 v1, s5
	v_add_co_u32_e32 v4, vcc, s4, v4
	v_addc_co_u32_e32 v5, vcc, v1, v5, vcc
	global_store_dword v[4:5], v0, off
.LBB15_20:
	s_or_b64 exec, exec, s[2:3]
	v_and_b32_e32 v4, 15, v12
	v_mov_b32_e32 v5, 0
	v_cmp_ne_u64_e32 vcc, 0, v[4:5]
	s_xor_b64 s[0:1], s[0:1], -1
	s_or_b64 s[0:1], s[0:1], vcc
	s_barrier
	s_and_saveexec_b64 s[2:3], s[0:1]
	s_xor_b64 s[12:13], exec, s[2:3]
	s_cbranch_execz .LBB15_37
; %bb.21:
	v_sub_u32_e32 v5, 0, v12
	v_mov_b32_e32 v4, s9
	v_add_co_u32_e32 v1, vcc, s8, v2
	v_bfe_u32 v5, v5, 1, 3
	v_addc_co_u32_e32 v4, vcc, v4, v3, vcc
	v_min_i32_e32 v8, s20, v5
	v_cmp_gt_i32_e32 vcc, v8, v10
	s_and_saveexec_b64 s[0:1], vcc
	s_cbranch_execz .LBB15_23
; %bb.22:
	v_lshl_add_u32 v5, v10, 1, v12
	ds_read_u16 v5, v5
	v_max_f32_e64 v6, s10, s10
	v_max_f32_e64 v12, s11, s11
	s_waitcnt lgkmcnt(0)
	v_cvt_f32_f16_e32 v5, v5
	v_div_scale_f32 v7, s[2:3], v0, v0, v5
	v_rcp_f32_e32 v9, v7
	v_div_scale_f32 v13, vcc, v5, v0, v5
	v_fma_f32 v14, -v7, v9, 1.0
	v_fmac_f32_e32 v9, v14, v9
	v_mul_f32_e32 v14, v13, v9
	v_fma_f32 v15, -v7, v14, v13
	v_fmac_f32_e32 v14, v15, v9
	v_fma_f32 v7, -v7, v14, v13
	v_div_fmas_f32 v7, v7, v9, v14
	v_div_fixup_f32 v5, v7, v0, v5
	v_max_f32_e32 v5, v5, v6
	v_min_f32_e32 v5, v5, v12
	v_cvt_i32_f32_e32 v5, v5
	v_add_co_u32_e32 v6, vcc, v1, v10
	v_addc_co_u32_e32 v7, vcc, 0, v4, vcc
	global_store_byte v[6:7], v5, off
.LBB15_23:
	s_or_b64 exec, exec, s[0:1]
	v_sub_u32_e32 v18, s20, v8
	v_ashrrev_i32_e32 v6, 31, v18
	v_lshrrev_b32_e32 v6, 29, v6
	v_add_u32_e32 v6, v18, v6
	v_ashrrev_i32_e32 v9, 3, v6
	v_ashrrev_i32_e32 v5, 31, v8
	v_cmp_gt_i32_e32 vcc, v9, v10
	v_lshlrev_b32_e32 v19, 1, v8
	s_and_saveexec_b64 s[0:1], vcc
	s_cbranch_execz .LBB15_26
; %bb.24:
	v_lshlrev_b32_e32 v6, 4, v10
	v_lshl_add_u32 v6, v11, 1, v6
	v_lshlrev_b32_e32 v7, 1, v8
	v_add_co_u32_e32 v2, vcc, v8, v2
	v_add3_u32 v6, v6, v7, 0
	v_addc_co_u32_e32 v3, vcc, v5, v3, vcc
	v_lshlrev_b32_e32 v7, 3, v10
	v_add_co_u32_e32 v2, vcc, v2, v7
	v_addc_co_u32_e32 v3, vcc, 0, v3, vcc
	v_mov_b32_e32 v7, s9
	v_add_co_u32_e32 v2, vcc, s8, v2
	v_addc_co_u32_e32 v3, vcc, v7, v3, vcc
	s_mov_b64 s[2:3], 0
	v_max_f32_e64 v7, s10, s10
	v_max_f32_e64 v12, s11, s11
	v_mov_b32_e32 v13, 8
	v_mov_b32_e32 v14, v10
.LBB15_25:                              ; =>This Inner Loop Header: Depth=1
	ds_read_b128 v[20:23], v6
	v_add_u32_e32 v14, 16, v14
	v_add_u32_e32 v6, 0x100, v6
	s_waitcnt lgkmcnt(0)
	v_cvt_f32_f16_e32 v15, v20
	v_div_scale_f32 v16, s[4:5], v0, v0, v15
	v_rcp_f32_e32 v17, v16
	v_fma_f32 v24, -v16, v17, 1.0
	v_fmac_f32_e32 v17, v24, v17
	v_div_scale_f32 v24, vcc, v15, v0, v15
	v_mul_f32_e32 v25, v24, v17
	v_fma_f32 v26, -v16, v25, v24
	v_fmac_f32_e32 v25, v26, v17
	v_fma_f32 v16, -v16, v25, v24
	v_div_fmas_f32 v16, v16, v17, v25
	v_div_fixup_f32 v15, v16, v0, v15
	v_cvt_f32_f16_sdwa v16, v20 dst_sel:DWORD dst_unused:UNUSED_PAD src0_sel:WORD_1
	v_max_f32_e32 v15, v15, v7
	v_min_f32_e32 v15, v15, v12
	v_cvt_i32_f32_e32 v15, v15
	v_div_scale_f32 v17, s[4:5], v0, v0, v16
	v_rcp_f32_e32 v20, v17
	v_fma_f32 v24, -v17, v20, 1.0
	v_fmac_f32_e32 v20, v24, v20
	v_div_scale_f32 v24, vcc, v16, v0, v16
	v_mul_f32_e32 v25, v24, v20
	v_fma_f32 v26, -v17, v25, v24
	v_fmac_f32_e32 v25, v26, v20
	v_fma_f32 v17, -v17, v25, v24
	v_div_fmas_f32 v17, v17, v20, v25
	v_div_fixup_f32 v16, v17, v0, v16
	v_cvt_f32_f16_e32 v17, v21
	v_max_f32_e32 v16, v16, v7
	v_min_f32_e32 v16, v16, v12
	v_cvt_i32_f32_e32 v16, v16
	v_div_scale_f32 v20, s[4:5], v0, v0, v17
	v_rcp_f32_e32 v24, v20
	v_lshlrev_b32_sdwa v16, v13, v16 dst_sel:DWORD dst_unused:UNUSED_PAD src0_sel:DWORD src1_sel:BYTE_0
	v_fma_f32 v25, -v20, v24, 1.0
	v_fmac_f32_e32 v24, v25, v24
	v_div_scale_f32 v25, vcc, v17, v0, v17
	v_mul_f32_e32 v26, v25, v24
	v_fma_f32 v27, -v20, v26, v25
	v_fmac_f32_e32 v26, v27, v24
	v_fma_f32 v20, -v20, v26, v25
	v_div_fmas_f32 v20, v20, v24, v26
	v_div_fixup_f32 v17, v20, v0, v17
	v_max_f32_e32 v17, v17, v7
	v_min_f32_e32 v17, v17, v12
	v_cvt_i32_f32_e32 v20, v17
	v_cvt_f32_f16_sdwa v17, v21 dst_sel:DWORD dst_unused:UNUSED_PAD src0_sel:WORD_1
	v_and_b32_e32 v20, 0xff, v20
	v_div_scale_f32 v21, s[4:5], v0, v0, v17
	v_rcp_f32_e32 v24, v21
	v_lshlrev_b32_e32 v20, 16, v20
	v_fma_f32 v25, -v21, v24, 1.0
	v_fmac_f32_e32 v24, v25, v24
	v_div_scale_f32 v25, vcc, v17, v0, v17
	v_mul_f32_e32 v26, v25, v24
	v_fma_f32 v27, -v21, v26, v25
	v_fmac_f32_e32 v26, v27, v24
	v_fma_f32 v21, -v21, v26, v25
	v_div_fmas_f32 v21, v21, v24, v26
	v_div_fixup_f32 v17, v21, v0, v17
	v_max_f32_e32 v17, v17, v7
	v_min_f32_e32 v17, v17, v12
	v_cvt_i32_f32_sdwa v21, v17 dst_sel:BYTE_3 dst_unused:UNUSED_PAD src0_sel:DWORD
	v_cvt_f32_f16_e32 v17, v22
	v_cvt_f32_f16_sdwa v22, v22 dst_sel:DWORD dst_unused:UNUSED_PAD src0_sel:WORD_1
	v_or3_b32 v16, v21, v20, v16
	v_div_scale_f32 v24, s[4:5], v0, v0, v17
	v_rcp_f32_e32 v25, v24
	v_or_b32_sdwa v16, v16, v15 dst_sel:DWORD dst_unused:UNUSED_PAD src0_sel:DWORD src1_sel:BYTE_0
	v_fma_f32 v26, -v24, v25, 1.0
	v_fmac_f32_e32 v25, v26, v25
	v_div_scale_f32 v26, vcc, v17, v0, v17
	v_mul_f32_e32 v27, v26, v25
	v_fma_f32 v28, -v24, v27, v26
	v_fmac_f32_e32 v27, v28, v25
	v_fma_f32 v24, -v24, v27, v26
	v_div_fmas_f32 v24, v24, v25, v27
	v_div_fixup_f32 v17, v24, v0, v17
	v_div_scale_f32 v24, s[4:5], v0, v0, v22
	v_rcp_f32_e32 v25, v24
	v_max_f32_e32 v17, v17, v7
	v_min_f32_e32 v17, v17, v12
	v_cvt_i32_f32_e32 v17, v17
	v_fma_f32 v26, -v24, v25, 1.0
	v_fmac_f32_e32 v25, v26, v25
	v_div_scale_f32 v26, vcc, v22, v0, v22
	v_mul_f32_e32 v27, v26, v25
	v_fma_f32 v28, -v24, v27, v26
	v_fmac_f32_e32 v27, v28, v25
	v_fma_f32 v24, -v24, v27, v26
	v_div_fmas_f32 v24, v24, v25, v27
	v_div_fixup_f32 v22, v24, v0, v22
	v_cvt_f32_f16_e32 v24, v23
	v_cvt_f32_f16_sdwa v23, v23 dst_sel:DWORD dst_unused:UNUSED_PAD src0_sel:WORD_1
	v_max_f32_e32 v22, v22, v7
	v_min_f32_e32 v22, v22, v12
	v_div_scale_f32 v25, s[4:5], v0, v0, v24
	v_rcp_f32_e32 v26, v25
	v_cvt_i32_f32_e32 v22, v22
	v_and_b32_e32 v17, 0xff, v17
	v_fma_f32 v27, -v25, v26, 1.0
	v_fmac_f32_e32 v26, v27, v26
	v_div_scale_f32 v27, vcc, v24, v0, v24
	v_mul_f32_e32 v28, v27, v26
	v_fma_f32 v29, -v25, v28, v27
	v_fmac_f32_e32 v28, v29, v26
	v_fma_f32 v25, -v25, v28, v27
	v_div_fmas_f32 v25, v25, v26, v28
	v_div_fixup_f32 v24, v25, v0, v24
	v_div_scale_f32 v25, s[4:5], v0, v0, v23
	v_rcp_f32_e32 v26, v25
	v_max_f32_e32 v24, v24, v7
	v_min_f32_e32 v24, v24, v12
	v_cvt_i32_f32_e32 v24, v24
	v_fma_f32 v27, -v25, v26, 1.0
	v_fmac_f32_e32 v26, v27, v26
	v_div_scale_f32 v27, vcc, v23, v0, v23
	v_mul_f32_e32 v28, v27, v26
	v_fma_f32 v29, -v25, v28, v27
	v_fmac_f32_e32 v28, v29, v26
	v_fma_f32 v25, -v25, v28, v27
	v_div_fmas_f32 v25, v25, v26, v28
	v_div_fixup_f32 v23, v25, v0, v23
	v_max_f32_e32 v23, v23, v7
	v_min_f32_e32 v23, v23, v12
	v_cvt_i32_f32_sdwa v23, v23 dst_sel:BYTE_3 dst_unused:UNUSED_PAD src0_sel:DWORD
	v_and_b32_e32 v24, 0xff, v24
	v_lshlrev_b32_e32 v24, 16, v24
	v_lshlrev_b32_sdwa v22, v13, v22 dst_sel:DWORD dst_unused:UNUSED_PAD src0_sel:DWORD src1_sel:BYTE_0
	v_or_b32_e32 v23, v23, v24
	v_or3_b32 v17, v23, v22, v17
	global_store_dwordx2 v[2:3], v[16:17], off
	v_add_co_u32_e32 v2, vcc, 0x80, v2
	v_addc_co_u32_e32 v3, vcc, 0, v3, vcc
	v_cmp_ge_i32_e32 vcc, v14, v9
	s_or_b64 s[2:3], vcc, s[2:3]
	s_andn2_b64 exec, exec, s[2:3]
	s_cbranch_execnz .LBB15_25
.LBB15_26:
	s_or_b64 exec, exec, s[0:1]
	v_lshlrev_b32_e32 v6, 3, v9
	v_add_u32_e32 v2, v6, v10
	v_cmp_lt_i32_e32 vcc, v2, v18
	s_and_saveexec_b64 s[14:15], vcc
	s_cbranch_execz .LBB15_36
; %bb.27:
	v_add_u32_e32 v3, 16, v2
	v_add_co_u32_e32 v20, vcc, v1, v8
	v_max_i32_e32 v1, v3, v18
	v_xad_u32 v1, v10, -1, v1
	v_addc_co_u32_e32 v21, vcc, v4, v5, vcc
	v_sub_u32_e32 v1, v1, v6
	v_cmp_lt_u32_e32 vcc, 47, v1
	s_mov_b64 s[0:1], 0
                                        ; implicit-def: $vgpr22
	s_and_saveexec_b64 s[2:3], vcc
	s_xor_b64 s[16:17], exec, s[2:3]
	s_cbranch_execnz .LBB15_30
; %bb.28:
	s_andn2_saveexec_b64 s[2:3], s[16:17]
	s_cbranch_execnz .LBB15_33
.LBB15_29:
	s_or_b64 exec, exec, s[2:3]
	s_and_b64 exec, exec, s[0:1]
	s_cbranch_execnz .LBB15_34
	s_branch .LBB15_36
.LBB15_30:
	v_lshrrev_b32_e32 v1, 4, v1
	v_lshlrev_b32_e32 v22, 1, v11
	v_lshlrev_b32_e32 v9, 4, v9
	;; [unrolled: 1-line block ×3, first 2 shown]
	v_add_u32_e32 v23, 1, v1
	v_add_u32_e32 v5, 48, v2
	;; [unrolled: 1-line block ×3, first 2 shown]
	v_add3_u32 v8, v22, v9, v19
	v_lshlrev_b32_e32 v9, 1, v10
	v_and_b32_e32 v24, 0x1ffffffc, v23
	s_mov_b32 s0, s10
	s_mov_b32 s1, s10
	;; [unrolled: 1-line block ×8, first 2 shown]
	v_add3_u32 v25, v8, v9, 0
	v_pk_mov_b32 v[10:11], v[4:5], v[4:5] op_sel:[0,1]
	v_mov_b32_e32 v1, v0
	v_mov_b32_e32 v6, v0
	v_mov_b32_e32 v7, v0
	s_mov_b64 s[18:19], 0
	v_max_f32_e64 v26, s3, s3
	v_max_f32_e64 v27, s2, s2
	;; [unrolled: 1-line block ×8, first 2 shown]
	v_mov_b32_e32 v34, v24
	v_pk_mov_b32 v[8:9], v[2:3], v[2:3] op_sel:[0,1]
.LBB15_31:                              ; =>This Inner Loop Header: Depth=1
	ds_read_u16 v35, v25
	ds_read_u16 v36, v25 offset:32
	ds_read_u16 v37, v25 offset:64
	;; [unrolled: 1-line block ×3, first 2 shown]
	v_ashrrev_i32_e32 v3, 31, v11
	s_waitcnt lgkmcnt(3)
	v_cvt_f32_f16_e32 v35, v35
	v_ashrrev_i32_e32 v5, 31, v9
	v_ashrrev_i32_e32 v15, 31, v8
	v_add_co_u32_e32 v4, vcc, v20, v9
	v_add_co_u32_e64 v14, s[2:3], v20, v11
	v_add_co_u32_e64 v16, s[4:5], v20, v8
	s_waitcnt lgkmcnt(2)
	v_cvt_f32_f16_e32 v36, v36
	v_addc_co_u32_e64 v17, s[4:5], v21, v15, s[4:5]
	v_addc_co_u32_e32 v5, vcc, v21, v5, vcc
	v_addc_co_u32_e64 v15, vcc, v21, v3, s[2:3]
	s_waitcnt lgkmcnt(0)
	v_cvt_f32_f16_e32 v3, v38
	v_cvt_f32_f16_e32 v37, v37
	v_ashrrev_i32_e32 v13, 31, v10
	v_add_co_u32_e64 v12, s[0:1], v20, v10
	v_addc_co_u32_e64 v13, vcc, v21, v13, s[0:1]
	v_div_scale_f32 v38, s[0:1], v0, v0, v35
	v_div_scale_f32 v40, s[0:1], v1, v1, v36
	v_rcp_f32_e32 v46, v38
	v_div_scale_f32 v42, s[2:3], v6, v6, v37
	v_div_scale_f32 v44, s[4:5], v7, v7, v3
	v_rcp_f32_e32 v47, v40
	v_rcp_f32_e32 v48, v42
	;; [unrolled: 1-line block ×3, first 2 shown]
	v_fma_f32 v50, -v38, v46, 1.0
	v_div_scale_f32 v39, vcc, v35, v0, v35
	v_fma_f32 v51, -v40, v47, 1.0
	v_fmac_f32_e32 v46, v50, v46
	v_div_scale_f32 v41, s[0:1], v36, v1, v36
	v_fma_f32 v52, -v42, v48, 1.0
	v_fma_f32 v53, -v44, v49, 1.0
	v_fmac_f32_e32 v47, v51, v47
	v_mul_f32_e32 v50, v39, v46
	v_div_scale_f32 v43, s[2:3], v37, v6, v37
	v_fmac_f32_e32 v48, v52, v48
	v_fmac_f32_e32 v49, v53, v49
	v_mul_f32_e32 v51, v41, v47
	v_fma_f32 v53, -v38, v50, v39
	v_mul_f32_e32 v52, v43, v48
	v_fmac_f32_e32 v50, v53, v46
	v_fma_f32 v53, -v40, v51, v41
	v_div_scale_f32 v45, s[4:5], v3, v7, v3
	v_fmac_f32_e32 v51, v53, v47
	v_fma_f32 v53, -v42, v52, v43
	v_fmac_f32_e32 v52, v53, v48
	v_mul_f32_e32 v53, v45, v49
	v_fma_f32 v38, -v38, v50, v39
	v_fma_f32 v54, -v44, v53, v45
	;; [unrolled: 1-line block ×3, first 2 shown]
	v_div_fmas_f32 v38, v38, v46, v50
	s_mov_b64 vcc, s[0:1]
	v_fmac_f32_e32 v53, v54, v49
	v_fma_f32 v40, -v42, v52, v43
	v_div_fixup_f32 v35, v38, v0, v35
	v_div_fmas_f32 v38, v39, v47, v51
	s_mov_b64 vcc, s[2:3]
	v_fma_f32 v41, -v44, v53, v45
	v_div_fixup_f32 v36, v38, v1, v36
	v_div_fmas_f32 v38, v40, v48, v52
	s_mov_b64 vcc, s[4:5]
	v_div_fixup_f32 v37, v38, v6, v37
	v_div_fmas_f32 v38, v41, v49, v53
	v_div_fixup_f32 v3, v38, v7, v3
	v_max_f32_e32 v35, v35, v29
	v_max_f32_e32 v36, v36, v28
	;; [unrolled: 1-line block ×4, first 2 shown]
	v_min_f32_e32 v35, v35, v30
	v_min_f32_e32 v36, v36, v31
	;; [unrolled: 1-line block ×4, first 2 shown]
	v_cvt_i32_f32_e32 v35, v35
	v_cvt_i32_f32_sdwa v36, v36 dst_sel:BYTE_1 dst_unused:UNUSED_PAD src0_sel:DWORD
	v_cvt_i32_f32_e32 v37, v37
	v_cvt_i32_f32_sdwa v3, v3 dst_sel:BYTE_1 dst_unused:UNUSED_PAD src0_sel:DWORD
	v_add_u32_e32 v34, -4, v34
	v_cmp_eq_u32_e64 s[6:7], 0, v34
	global_store_byte v[16:17], v35, off
	v_lshrrev_b32_e32 v16, 8, v36
	v_or_b32_sdwa v3, v37, v3 dst_sel:DWORD dst_unused:UNUSED_PAD src0_sel:BYTE_0 src1_sel:DWORD
	v_add_u32_e32 v11, 64, v11
	v_add_u32_e32 v10, 64, v10
	;; [unrolled: 1-line block ×5, first 2 shown]
	s_or_b64 s[18:19], s[6:7], s[18:19]
	global_store_byte v[4:5], v16, off
	global_store_byte v[12:13], v3, off
	v_lshrrev_b32_e32 v3, 8, v3
	global_store_byte v[14:15], v3, off
	s_andn2_b64 exec, exec, s[18:19]
	s_cbranch_execnz .LBB15_31
; %bb.32:
	s_or_b64 exec, exec, s[18:19]
	v_cmp_ne_u32_e32 vcc, v23, v24
	v_lshl_add_u32 v2, v24, 4, v2
	s_and_b64 s[0:1], vcc, exec
                                        ; implicit-def: $vgpr11
	s_andn2_saveexec_b64 s[2:3], s[16:17]
	s_cbranch_execz .LBB15_29
.LBB15_33:
	v_lshlrev_b32_e32 v22, 1, v11
	s_or_b64 s[0:1], s[0:1], exec
	s_or_b64 exec, exec, s[2:3]
	s_and_b64 exec, exec, s[0:1]
	s_cbranch_execz .LBB15_36
.LBB15_34:
	v_lshl_add_u32 v1, v2, 1, v22
	v_add3_u32 v3, v1, v19, 0
	v_ashrrev_i32_e32 v1, 31, v2
	s_mov_b64 s[2:3], 0
	v_max_f32_e64 v4, s10, s10
	v_max_f32_e64 v5, s11, s11
.LBB15_35:                              ; =>This Inner Loop Header: Depth=1
	ds_read_u16 v8, v3
	v_add_co_u32_e32 v6, vcc, v20, v2
	v_addc_co_u32_e32 v7, vcc, v21, v1, vcc
	s_waitcnt lgkmcnt(0)
	v_cvt_f32_f16_e32 v8, v8
	v_add_co_u32_e64 v2, s[0:1], 16, v2
	v_add_u32_e32 v3, 32, v3
	v_div_scale_f32 v9, s[4:5], v0, v0, v8
	v_rcp_f32_e32 v10, v9
	v_div_scale_f32 v11, vcc, v8, v0, v8
	v_fma_f32 v12, -v9, v10, 1.0
	v_fmac_f32_e32 v10, v12, v10
	v_mul_f32_e32 v12, v11, v10
	v_fma_f32 v13, -v9, v12, v11
	v_fmac_f32_e32 v12, v13, v10
	v_fma_f32 v9, -v9, v12, v11
	v_div_fmas_f32 v9, v9, v10, v12
	v_div_fixup_f32 v8, v9, v0, v8
	v_max_f32_e32 v8, v8, v4
	v_min_f32_e32 v8, v8, v5
	v_cvt_i32_f32_e32 v8, v8
	v_addc_co_u32_e64 v1, vcc, 0, v1, s[0:1]
	v_cmp_ge_i32_e32 vcc, v2, v18
	s_or_b64 s[2:3], vcc, s[2:3]
	global_store_byte v[6:7], v8, off
	s_andn2_b64 exec, exec, s[2:3]
	s_cbranch_execnz .LBB15_35
.LBB15_36:
	s_or_b64 exec, exec, s[14:15]
                                        ; implicit-def: $vgpr10
                                        ; implicit-def: $vgpr0
                                        ; implicit-def: $vgpr11
                                        ; implicit-def: $vgpr2_vgpr3
.LBB15_37:
	s_andn2_saveexec_b64 s[0:1], s[12:13]
	s_cbranch_execz .LBB15_41
; %bb.38:
	s_ashr_i32 s16, s20, 3
	v_cmp_gt_i32_e32 vcc, s16, v10
	s_and_saveexec_b64 s[0:1], vcc
	s_cbranch_execz .LBB15_41
; %bb.39:
	v_lshlrev_b32_e32 v1, 1, v11
	v_lshlrev_b32_e32 v4, 4, v10
	v_add3_u32 v1, v1, v4, 0
	v_lshlrev_b32_e32 v4, 3, v10
	v_add_co_u32_e32 v2, vcc, v2, v4
	v_addc_co_u32_e32 v3, vcc, 0, v3, vcc
	v_mov_b32_e32 v4, s9
	v_add_co_u32_e32 v6, vcc, s8, v2
	v_addc_co_u32_e32 v7, vcc, v4, v3, vcc
	s_mov_b64 s[14:15], 0
	v_max_f32_e64 v8, s10, s10
	v_max_f32_e64 v9, s11, s11
	v_mov_b32_e32 v11, 8
.LBB15_40:                              ; =>This Inner Loop Header: Depth=1
	ds_read_b128 v[2:5], v1
	v_add_u32_e32 v10, 16, v10
	v_cmp_le_i32_e32 vcc, s16, v10
	s_or_b64 s[14:15], vcc, s[14:15]
	v_add_u32_e32 v1, 0x100, v1
	s_waitcnt lgkmcnt(0)
	v_cvt_f32_f16_e32 v12, v2
	v_cvt_f32_f16_sdwa v2, v2 dst_sel:DWORD dst_unused:UNUSED_PAD src0_sel:WORD_1
	v_cvt_f32_f16_e32 v13, v3
	v_cvt_f32_f16_sdwa v3, v3 dst_sel:DWORD dst_unused:UNUSED_PAD src0_sel:WORD_1
	v_cvt_f32_f16_e32 v14, v4
	v_div_scale_f32 v16, s[0:1], v0, v0, v12
	v_cvt_f32_f16_sdwa v4, v4 dst_sel:DWORD dst_unused:UNUSED_PAD src0_sel:WORD_1
	v_div_scale_f32 v18, s[0:1], v0, v0, v2
	v_rcp_f32_e32 v32, v16
	v_cvt_f32_f16_e32 v15, v5
	v_div_scale_f32 v20, s[2:3], v0, v0, v13
	v_rcp_f32_e32 v33, v18
	v_div_scale_f32 v22, s[4:5], v0, v0, v3
	v_rcp_f32_e32 v34, v20
	v_cvt_f32_f16_sdwa v5, v5 dst_sel:DWORD dst_unused:UNUSED_PAD src0_sel:WORD_1
	v_div_scale_f32 v24, s[6:7], v0, v0, v14
	v_rcp_f32_e32 v35, v22
	v_div_scale_f32 v26, s[8:9], v0, v0, v4
	v_rcp_f32_e32 v36, v24
	v_fma_f32 v40, -v16, v32, 1.0
	v_div_scale_f32 v17, vcc, v12, v0, v12
	v_div_scale_f32 v28, s[10:11], v0, v0, v15
	v_rcp_f32_e32 v37, v26
	v_fma_f32 v41, -v18, v33, 1.0
	v_fmac_f32_e32 v32, v40, v32
	v_div_scale_f32 v19, s[0:1], v2, v0, v2
	v_rcp_f32_e32 v38, v28
	v_fma_f32 v42, -v20, v34, 1.0
	v_fmac_f32_e32 v33, v41, v33
	v_mul_f32_e32 v40, v17, v32
	v_div_scale_f32 v21, s[2:3], v13, v0, v13
	v_div_scale_f32 v30, s[12:13], v0, v0, v5
	v_fma_f32 v43, -v22, v35, 1.0
	v_fmac_f32_e32 v34, v42, v34
	v_mul_f32_e32 v41, v19, v33
	v_fma_f32 v48, -v16, v40, v17
	v_div_scale_f32 v23, s[4:5], v3, v0, v3
	v_rcp_f32_e32 v39, v30
	v_fma_f32 v44, -v24, v36, 1.0
	v_fmac_f32_e32 v35, v43, v35
	v_mul_f32_e32 v42, v21, v34
	v_fma_f32 v49, -v18, v41, v19
	v_fmac_f32_e32 v40, v48, v32
	v_div_scale_f32 v25, s[6:7], v14, v0, v14
	v_fma_f32 v45, -v26, v37, 1.0
	v_fmac_f32_e32 v36, v44, v36
	v_mul_f32_e32 v43, v23, v35
	v_fma_f32 v50, -v20, v42, v21
	v_fmac_f32_e32 v41, v49, v33
	v_fma_f32 v16, -v16, v40, v17
	v_div_scale_f32 v27, s[8:9], v4, v0, v4
	v_fma_f32 v46, -v28, v38, 1.0
	v_fmac_f32_e32 v37, v45, v37
	v_mul_f32_e32 v44, v25, v36
	v_fma_f32 v51, -v22, v43, v23
	v_fmac_f32_e32 v42, v50, v34
	v_fma_f32 v17, -v18, v41, v19
	v_div_fmas_f32 v16, v16, v32, v40
	s_mov_b64 vcc, s[0:1]
	v_div_scale_f32 v29, s[10:11], v15, v0, v15
	v_fmac_f32_e32 v38, v46, v38
	v_mul_f32_e32 v45, v27, v37
	v_fma_f32 v52, -v24, v44, v25
	v_fmac_f32_e32 v43, v51, v35
	v_fma_f32 v18, -v20, v42, v21
	v_div_fixup_f32 v12, v16, v0, v12
	v_div_fmas_f32 v16, v17, v33, v41
	s_mov_b64 vcc, s[2:3]
	v_fma_f32 v47, -v30, v39, 1.0
	v_mul_f32_e32 v46, v29, v38
	v_fma_f32 v53, -v26, v45, v27
	v_fmac_f32_e32 v44, v52, v36
	v_fma_f32 v19, -v22, v43, v23
	v_div_fixup_f32 v2, v16, v0, v2
	v_div_fmas_f32 v16, v18, v34, v42
	s_mov_b64 vcc, s[4:5]
	v_div_scale_f32 v31, s[12:13], v5, v0, v5
	v_fmac_f32_e32 v39, v47, v39
	v_fma_f32 v54, -v28, v46, v29
	v_fmac_f32_e32 v45, v53, v37
	v_fma_f32 v20, -v24, v44, v25
	v_div_fixup_f32 v13, v16, v0, v13
	v_div_fmas_f32 v16, v19, v35, v43
	s_mov_b64 vcc, s[6:7]
	v_mul_f32_e32 v47, v31, v39
	v_fmac_f32_e32 v46, v54, v38
	v_fma_f32 v21, -v26, v45, v27
	v_div_fixup_f32 v3, v16, v0, v3
	v_div_fmas_f32 v16, v20, v36, v44
	s_mov_b64 vcc, s[8:9]
	v_fma_f32 v55, -v30, v47, v31
	v_fma_f32 v22, -v28, v46, v29
	v_div_fixup_f32 v14, v16, v0, v14
	v_div_fmas_f32 v16, v21, v37, v45
	s_mov_b64 vcc, s[10:11]
	v_fmac_f32_e32 v47, v55, v39
	v_max_f32_e32 v13, v13, v8
	v_div_fixup_f32 v4, v16, v0, v4
	v_div_fmas_f32 v16, v22, v38, v46
	v_fma_f32 v23, -v30, v47, v31
	v_max_f32_e32 v2, v2, v8
	v_min_f32_e32 v13, v13, v9
	v_div_fixup_f32 v15, v16, v0, v15
	s_mov_b64 vcc, s[12:13]
	v_min_f32_e32 v2, v2, v9
	v_max_f32_e32 v3, v3, v8
	v_cvt_i32_f32_e32 v13, v13
	v_max_f32_e32 v4, v4, v8
	v_div_fmas_f32 v16, v23, v39, v47
	v_max_f32_e32 v15, v15, v8
	v_cvt_i32_f32_e32 v2, v2
	v_min_f32_e32 v3, v3, v9
	v_min_f32_e32 v4, v4, v9
	v_div_fixup_f32 v5, v16, v0, v5
	v_min_f32_e32 v15, v15, v9
	v_max_f32_e32 v14, v14, v8
	v_cvt_i32_f32_sdwa v3, v3 dst_sel:BYTE_3 dst_unused:UNUSED_PAD src0_sel:DWORD
	v_cvt_i32_f32_e32 v4, v4
	v_max_f32_e32 v5, v5, v8
	v_cvt_i32_f32_e32 v15, v15
	v_max_f32_e32 v12, v12, v8
	v_min_f32_e32 v14, v14, v9
	v_min_f32_e32 v5, v5, v9
	;; [unrolled: 1-line block ×3, first 2 shown]
	v_cvt_i32_f32_e32 v14, v14
	v_and_b32_e32 v13, 0xff, v13
	v_cvt_i32_f32_sdwa v5, v5 dst_sel:BYTE_3 dst_unused:UNUSED_PAD src0_sel:DWORD
	v_cvt_i32_f32_e32 v12, v12
	v_lshlrev_b32_sdwa v2, v11, v2 dst_sel:DWORD dst_unused:UNUSED_PAD src0_sel:DWORD src1_sel:BYTE_0
	v_lshlrev_b32_e32 v13, 16, v13
	v_or3_b32 v2, v3, v13, v2
	v_lshlrev_b32_sdwa v3, v11, v4 dst_sel:DWORD dst_unused:UNUSED_PAD src0_sel:DWORD src1_sel:BYTE_0
	v_and_b32_e32 v4, 0xff, v15
	v_lshlrev_b32_e32 v4, 16, v4
	v_and_b32_e32 v14, 0xff, v14
	v_or_b32_e32 v4, v5, v4
	v_or_b32_sdwa v2, v2, v12 dst_sel:DWORD dst_unused:UNUSED_PAD src0_sel:DWORD src1_sel:BYTE_0
	v_or3_b32 v3, v4, v3, v14
	global_store_dwordx2 v[6:7], v[2:3], off
	v_add_co_u32_e32 v6, vcc, 0x80, v6
	v_addc_co_u32_e32 v7, vcc, 0, v7, vcc
	s_andn2_b64 exec, exec, s[14:15]
	s_cbranch_execnz .LBB15_40
.LBB15_41:
	s_endpgm
	.section	.rodata,"a",@progbits
	.p2align	6, 0x0
	.amdhsa_kernel _Z33per_token_group_quant_8bit_kernelIN3c104HalfEaLb0ELb0EfEvPKT_PvPT3_iiifffii
		.amdhsa_group_segment_fixed_size 0
		.amdhsa_private_segment_fixed_size 0
		.amdhsa_kernarg_size 56
		.amdhsa_user_sgpr_count 6
		.amdhsa_user_sgpr_private_segment_buffer 1
		.amdhsa_user_sgpr_dispatch_ptr 0
		.amdhsa_user_sgpr_queue_ptr 0
		.amdhsa_user_sgpr_kernarg_segment_ptr 1
		.amdhsa_user_sgpr_dispatch_id 0
		.amdhsa_user_sgpr_flat_scratch_init 0
		.amdhsa_user_sgpr_kernarg_preload_length 0
		.amdhsa_user_sgpr_kernarg_preload_offset 0
		.amdhsa_user_sgpr_private_segment_size 0
		.amdhsa_uses_dynamic_stack 0
		.amdhsa_system_sgpr_private_segment_wavefront_offset 0
		.amdhsa_system_sgpr_workgroup_id_x 1
		.amdhsa_system_sgpr_workgroup_id_y 0
		.amdhsa_system_sgpr_workgroup_id_z 0
		.amdhsa_system_sgpr_workgroup_info 0
		.amdhsa_system_vgpr_workitem_id 0
		.amdhsa_next_free_vgpr 56
		.amdhsa_next_free_sgpr 21
		.amdhsa_accum_offset 56
		.amdhsa_reserve_vcc 1
		.amdhsa_reserve_flat_scratch 0
		.amdhsa_float_round_mode_32 0
		.amdhsa_float_round_mode_16_64 0
		.amdhsa_float_denorm_mode_32 3
		.amdhsa_float_denorm_mode_16_64 3
		.amdhsa_dx10_clamp 1
		.amdhsa_ieee_mode 1
		.amdhsa_fp16_overflow 0
		.amdhsa_tg_split 0
		.amdhsa_exception_fp_ieee_invalid_op 0
		.amdhsa_exception_fp_denorm_src 0
		.amdhsa_exception_fp_ieee_div_zero 0
		.amdhsa_exception_fp_ieee_overflow 0
		.amdhsa_exception_fp_ieee_underflow 0
		.amdhsa_exception_fp_ieee_inexact 0
		.amdhsa_exception_int_div_zero 0
	.end_amdhsa_kernel
	.section	.text._Z33per_token_group_quant_8bit_kernelIN3c104HalfEaLb0ELb0EfEvPKT_PvPT3_iiifffii,"axG",@progbits,_Z33per_token_group_quant_8bit_kernelIN3c104HalfEaLb0ELb0EfEvPKT_PvPT3_iiifffii,comdat
.Lfunc_end15:
	.size	_Z33per_token_group_quant_8bit_kernelIN3c104HalfEaLb0ELb0EfEvPKT_PvPT3_iiifffii, .Lfunc_end15-_Z33per_token_group_quant_8bit_kernelIN3c104HalfEaLb0ELb0EfEvPKT_PvPT3_iiifffii
                                        ; -- End function
	.section	.AMDGPU.csdata,"",@progbits
; Kernel info:
; codeLenInByte = 4576
; NumSgprs: 25
; NumVgprs: 56
; NumAgprs: 0
; TotalNumVgprs: 56
; ScratchSize: 0
; MemoryBound: 0
; FloatMode: 240
; IeeeMode: 1
; LDSByteSize: 0 bytes/workgroup (compile time only)
; SGPRBlocks: 3
; VGPRBlocks: 6
; NumSGPRsForWavesPerEU: 25
; NumVGPRsForWavesPerEU: 56
; AccumOffset: 56
; Occupancy: 8
; WaveLimiterHint : 0
; COMPUTE_PGM_RSRC2:SCRATCH_EN: 0
; COMPUTE_PGM_RSRC2:USER_SGPR: 6
; COMPUTE_PGM_RSRC2:TRAP_HANDLER: 0
; COMPUTE_PGM_RSRC2:TGID_X_EN: 1
; COMPUTE_PGM_RSRC2:TGID_Y_EN: 0
; COMPUTE_PGM_RSRC2:TGID_Z_EN: 0
; COMPUTE_PGM_RSRC2:TIDIG_COMP_CNT: 0
; COMPUTE_PGM_RSRC3_GFX90A:ACCUM_OFFSET: 13
; COMPUTE_PGM_RSRC3_GFX90A:TG_SPLIT: 0
	.section	.text._Z33per_token_group_quant_8bit_kernelIN3c104HalfENS0_13Float8_e4m3fnELb1ELb1EfEvPKT_PvPT3_iiifffii,"axG",@progbits,_Z33per_token_group_quant_8bit_kernelIN3c104HalfENS0_13Float8_e4m3fnELb1ELb1EfEvPKT_PvPT3_iiifffii,comdat
	.protected	_Z33per_token_group_quant_8bit_kernelIN3c104HalfENS0_13Float8_e4m3fnELb1ELb1EfEvPKT_PvPT3_iiifffii ; -- Begin function _Z33per_token_group_quant_8bit_kernelIN3c104HalfENS0_13Float8_e4m3fnELb1ELb1EfEvPKT_PvPT3_iiifffii
	.globl	_Z33per_token_group_quant_8bit_kernelIN3c104HalfENS0_13Float8_e4m3fnELb1ELb1EfEvPKT_PvPT3_iiifffii
	.p2align	8
	.type	_Z33per_token_group_quant_8bit_kernelIN3c104HalfENS0_13Float8_e4m3fnELb1ELb1EfEvPKT_PvPT3_iiifffii,@function
_Z33per_token_group_quant_8bit_kernelIN3c104HalfENS0_13Float8_e4m3fnELb1ELb1EfEvPKT_PvPT3_iiifffii: ; @_Z33per_token_group_quant_8bit_kernelIN3c104HalfENS0_13Float8_e4m3fnELb1ELb1EfEvPKT_PvPT3_iiifffii
; %bb.0:
	s_load_dword s21, s[4:5], 0x18
	s_load_dwordx2 s[0:1], s[4:5], 0x0
	s_load_dwordx4 s[8:11], s[4:5], 0x20
	s_load_dwordx2 s[2:3], s[4:5], 0x30
	v_lshrrev_b32_e32 v2, 4, v0
	s_waitcnt lgkmcnt(0)
	s_ashr_i32 s12, s21, 31
	v_and_b32_e32 v8, 15, v0
	s_mul_i32 s6, s6, s8
	v_add_co_u32_e32 v7, vcc, s6, v2
	v_addc_co_u32_e64 v10, s[6:7], 0, 0, vcc
	v_mul_lo_u32 v0, v10, s21
	v_mul_lo_u32 v1, v7, s12
	v_mad_u64_u32 v[12:13], s[6:7], v7, s21, 0
	v_add3_u32 v13, v13, v1, v0
	v_lshlrev_b64 v[0:1], 1, v[12:13]
	s_and_b32 s8, s21, 7
	v_mov_b32_e32 v4, s1
	v_add_co_u32_e32 v3, vcc, s0, v0
	s_cmp_eq_u32 s8, 0
	v_addc_co_u32_e32 v4, vcc, v4, v1, vcc
	v_mov_b32_e32 v15, 0
	v_and_b32_e32 v14, 15, v3
	s_cselect_b64 s[6:7], -1, 0
	s_cmp_lg_u32 s8, 0
	v_mul_lo_u32 v9, v2, s21
	v_cmp_ne_u64_e32 vcc, 0, v[14:15]
	s_cselect_b64 s[12:13], -1, 0
	v_lshl_add_u32 v6, v9, 1, 0
	s_or_b64 s[12:13], s[12:13], vcc
                                        ; implicit-def: $vgpr11
	s_and_saveexec_b64 s[14:15], s[12:13]
	s_xor_b64 s[12:13], exec, s[14:15]
	s_cbranch_execz .LBB16_12
; %bb.1:
	v_sub_u32_e32 v2, 0, v3
	v_bfe_u32 v2, v2, 1, 3
	v_min_i32_e32 v2, s21, v2
	v_cmp_gt_i32_e32 vcc, v2, v8
	v_mov_b32_e32 v11, s9
	s_and_saveexec_b64 s[14:15], vcc
	s_cbranch_execz .LBB16_3
; %bb.2:
	v_lshlrev_b32_e32 v5, 1, v8
	v_add_co_u32_e32 v14, vcc, v3, v5
	v_addc_co_u32_e32 v15, vcc, 0, v4, vcc
	global_load_ushort v3, v[14:15], off
	v_max_f32_e64 v11, s9, s9
	v_add_u32_e32 v5, v6, v5
	s_waitcnt vmcnt(0)
	v_cvt_f32_f16_e64 v4, |v3|
	ds_write_b16 v5, v3
	v_max_f32_e32 v11, v11, v4
.LBB16_3:
	s_or_b64 exec, exec, s[14:15]
	v_sub_u32_e32 v14, s21, v2
	v_ashrrev_i32_e32 v4, 31, v14
	v_lshrrev_b32_e32 v4, 29, v4
	v_add_u32_e32 v4, v14, v4
	v_ashrrev_i32_e32 v3, 31, v2
	v_ashrrev_i32_e32 v15, 3, v4
	v_cmp_gt_i32_e32 vcc, v15, v8
	v_lshlrev_b32_e32 v16, 1, v2
	v_lshlrev_b64 v[2:3], 1, v[2:3]
	s_and_saveexec_b64 s[14:15], vcc
	s_cbranch_execz .LBB16_7
; %bb.4:
	v_lshlrev_b32_e32 v4, 4, v8
	v_lshl_add_u32 v5, v9, 1, v4
	v_add_co_u32_e32 v4, vcc, v0, v4
	v_add3_u32 v17, v5, v16, 0
	v_addc_co_u32_e32 v5, vcc, 0, v1, vcc
	v_add_co_u32_e32 v4, vcc, v4, v2
	v_addc_co_u32_e32 v5, vcc, v5, v3, vcc
	v_mov_b32_e32 v18, s1
	v_add_co_u32_e32 v4, vcc, s0, v4
	v_addc_co_u32_e32 v5, vcc, v5, v18, vcc
	v_add_co_u32_e32 v4, vcc, 8, v4
	v_addc_co_u32_e32 v5, vcc, 0, v5, vcc
	s_mov_b64 s[16:17], 0
	v_mov_b32_e32 v18, v8
.LBB16_5:                               ; =>This Inner Loop Header: Depth=1
	global_load_dwordx4 v[20:23], v[4:5], off offset:-8
	v_add_co_u32_e32 v4, vcc, 0x100, v4
	v_add_u32_e32 v18, 16, v18
	v_addc_co_u32_e32 v5, vcc, 0, v5, vcc
	v_cmp_ge_i32_e32 vcc, v18, v15
	s_or_b64 s[16:17], vcc, s[16:17]
	s_waitcnt vmcnt(0)
	v_cvt_f32_f16_e64 v19, |v20|
	v_cvt_f32_f16_sdwa v24, |v20| dst_sel:DWORD dst_unused:UNUSED_PAD src0_sel:WORD_1
	v_cvt_f32_f16_e64 v25, |v21|
	v_cvt_f32_f16_sdwa v26, |v21| dst_sel:DWORD dst_unused:UNUSED_PAD src0_sel:WORD_1
	;; [unrolled: 2-line block ×4, first 2 shown]
	v_max3_f32 v11, v11, v19, v24
	v_max3_f32 v11, v11, v25, v26
	v_max3_f32 v11, v11, v27, v28
	ds_write_b128 v17, v[20:23]
	v_add_u32_e32 v17, 0x100, v17
	v_max3_f32 v11, v11, v29, v30
	s_andn2_b64 exec, exec, s[16:17]
	s_cbranch_execnz .LBB16_5
; %bb.6:
	s_or_b64 exec, exec, s[16:17]
.LBB16_7:
	s_or_b64 exec, exec, s[14:15]
	v_lshl_add_u32 v4, v15, 3, v8
	v_cmp_lt_i32_e32 vcc, v4, v14
	s_and_saveexec_b64 s[14:15], vcc
	s_cbranch_execz .LBB16_11
; %bb.8:
	v_lshlrev_b32_e32 v5, 1, v9
	v_lshlrev_b32_e32 v15, 4, v15
	v_add3_u32 v5, v5, v15, v16
	v_lshlrev_b32_e32 v15, 1, v8
	v_add3_u32 v15, v5, v15, 0
	v_add_co_u32_e32 v2, vcc, v0, v2
	v_ashrrev_i32_e32 v5, 31, v4
	v_addc_co_u32_e32 v3, vcc, v1, v3, vcc
	v_lshlrev_b64 v[0:1], 1, v[4:5]
	v_add_co_u32_e32 v0, vcc, v2, v0
	v_addc_co_u32_e32 v1, vcc, v3, v1, vcc
	v_mov_b32_e32 v2, s1
	v_add_co_u32_e32 v0, vcc, s0, v0
	v_addc_co_u32_e32 v1, vcc, v2, v1, vcc
	s_mov_b64 s[16:17], 0
.LBB16_9:                               ; =>This Inner Loop Header: Depth=1
	global_load_ushort v2, v[0:1], off
	v_add_co_u32_e32 v0, vcc, 32, v0
	v_add_u32_e32 v4, 16, v4
	v_addc_co_u32_e32 v1, vcc, 0, v1, vcc
	v_max_f32_e32 v3, v11, v11
	v_cmp_ge_i32_e32 vcc, v4, v14
	s_or_b64 s[16:17], vcc, s[16:17]
	s_waitcnt vmcnt(0)
	v_cvt_f32_f16_e64 v5, |v2|
	ds_write_b16 v15, v2
	v_add_u32_e32 v15, 32, v15
	v_max_f32_e32 v11, v3, v5
	s_andn2_b64 exec, exec, s[16:17]
	s_cbranch_execnz .LBB16_9
; %bb.10:
	s_or_b64 exec, exec, s[16:17]
.LBB16_11:
	s_or_b64 exec, exec, s[14:15]
                                        ; implicit-def: $vgpr0_vgpr1
.LBB16_12:
	s_andn2_saveexec_b64 s[12:13], s[12:13]
	s_cbranch_execz .LBB16_18
; %bb.13:
	s_ashr_i32 s8, s21, 3
	v_cmp_gt_i32_e32 vcc, s8, v8
	v_mov_b32_e32 v11, s9
	s_and_saveexec_b64 s[14:15], vcc
	s_cbranch_execz .LBB16_17
; %bb.14:
	v_lshlrev_b32_e32 v3, 4, v8
	v_add_co_u32_e32 v0, vcc, v0, v3
	v_lshlrev_b32_e32 v2, 1, v9
	v_addc_co_u32_e32 v1, vcc, 0, v1, vcc
	v_add3_u32 v2, v2, v3, 0
	v_mov_b32_e32 v3, s1
	v_add_co_u32_e32 v0, vcc, s0, v0
	v_addc_co_u32_e32 v1, vcc, v1, v3, vcc
	v_add_co_u32_e32 v0, vcc, 8, v0
	v_addc_co_u32_e32 v1, vcc, 0, v1, vcc
	s_mov_b64 s[0:1], 0
	v_mov_b32_e32 v11, s9
	v_mov_b32_e32 v3, v8
.LBB16_15:                              ; =>This Inner Loop Header: Depth=1
	global_load_dwordx4 v[14:17], v[0:1], off offset:-8
	v_add_co_u32_e32 v0, vcc, 0x100, v0
	v_add_u32_e32 v3, 16, v3
	v_addc_co_u32_e32 v1, vcc, 0, v1, vcc
	v_cmp_le_i32_e32 vcc, s8, v3
	s_or_b64 s[0:1], vcc, s[0:1]
	s_waitcnt vmcnt(0)
	v_cvt_f32_f16_e64 v4, |v14|
	v_cvt_f32_f16_sdwa v5, |v14| dst_sel:DWORD dst_unused:UNUSED_PAD src0_sel:WORD_1
	v_cvt_f32_f16_e64 v18, |v15|
	v_cvt_f32_f16_sdwa v19, |v15| dst_sel:DWORD dst_unused:UNUSED_PAD src0_sel:WORD_1
	v_cvt_f32_f16_e64 v20, |v16|
	v_cvt_f32_f16_sdwa v21, |v16| dst_sel:DWORD dst_unused:UNUSED_PAD src0_sel:WORD_1
	v_cvt_f32_f16_e64 v22, |v17|
	v_cvt_f32_f16_sdwa v23, |v17| dst_sel:DWORD dst_unused:UNUSED_PAD src0_sel:WORD_1
	v_max3_f32 v4, v11, v4, v5
	v_max3_f32 v4, v4, v18, v19
	;; [unrolled: 1-line block ×3, first 2 shown]
	ds_write_b128 v2, v[14:17]
	v_add_u32_e32 v2, 0x100, v2
	v_max3_f32 v11, v4, v22, v23
	s_andn2_b64 exec, exec, s[0:1]
	s_cbranch_execnz .LBB16_15
; %bb.16:
	s_or_b64 exec, exec, s[0:1]
.LBB16_17:
	s_or_b64 exec, exec, s[14:15]
.LBB16_18:
	s_or_b64 exec, exec, s[12:13]
	v_mbcnt_lo_u32_b32 v0, -1, 0
	v_mbcnt_hi_u32_b32 v0, -1, v0
	v_and_b32_e32 v2, 0x70, v0
	v_xor_b32_e32 v1, 8, v0
	v_add_u32_e32 v2, 16, v2
	v_cmp_lt_i32_e32 vcc, v1, v2
	v_cndmask_b32_e32 v1, v0, v1, vcc
	v_lshlrev_b32_e32 v1, 2, v1
	ds_bpermute_b32 v1, v1, v11
	v_xor_b32_e32 v4, 4, v0
	v_max_f32_e32 v3, v11, v11
	v_cmp_lt_i32_e32 vcc, v4, v2
	s_load_dwordx2 s[8:9], s[4:5], 0x8
	s_waitcnt lgkmcnt(0)
	v_max_f32_e32 v1, v1, v1
	v_max_f32_e32 v1, v3, v1
	v_cndmask_b32_e32 v3, v0, v4, vcc
	v_lshlrev_b32_e32 v3, 2, v3
	ds_bpermute_b32 v3, v3, v1
	v_xor_b32_e32 v4, 2, v0
	v_cmp_lt_i32_e32 vcc, v4, v2
	s_waitcnt lgkmcnt(0)
	v_max_f32_e32 v3, v3, v3
	v_max_f32_e32 v1, v1, v3
	v_cndmask_b32_e32 v3, v0, v4, vcc
	v_lshlrev_b32_e32 v3, 2, v3
	ds_bpermute_b32 v3, v3, v1
	v_xor_b32_e32 v4, 1, v0
	v_cmp_lt_i32_e32 vcc, v4, v2
	v_cndmask_b32_e32 v0, v0, v4, vcc
	v_lshlrev_b32_e32 v0, 2, v0
	s_waitcnt lgkmcnt(0)
	v_max_f32_e32 v3, v3, v3
	v_max_f32_e32 v1, v1, v3
	ds_bpermute_b32 v0, v0, v1
	s_waitcnt lgkmcnt(0)
	v_max_f32_e32 v0, v0, v0
	v_max_f32_e32 v0, v1, v0
	v_div_scale_f32 v1, s[0:1], s11, s11, v0
	v_rcp_f32_e32 v2, v1
	v_div_scale_f32 v3, vcc, v0, s11, v0
	s_mov_b32 s0, 0x2edbe6ff
	v_fma_f32 v4, -v1, v2, 1.0
	v_fmac_f32_e32 v2, v4, v2
	v_mul_f32_e32 v4, v3, v2
	v_fma_f32 v5, -v1, v4, v3
	v_fmac_f32_e32 v4, v5, v2
	v_fma_f32 v1, -v1, v4, v3
	v_div_fmas_f32 v1, v1, v2, v4
	v_div_fixup_f32 v0, v1, s11, v0
	v_max_f32_e64 v0, |v0|, s0
	s_mov_b32 s0, 0x800000
	v_mov_b32_e32 v1, 0x4f800000
	v_cmp_gt_f32_e32 vcc, s0, v0
	v_cndmask_b32_e32 v1, 1.0, v1, vcc
	v_mul_f32_e32 v0, v0, v1
	v_log_f32_e32 v0, v0
	v_mov_b32_e32 v1, 0x42000000
	v_cndmask_b32_e32 v1, 0, v1, vcc
	s_mov_b32 s0, 0xc2fc0000
	v_sub_f32_e32 v0, v0, v1
	v_ceil_f32_e32 v0, v0
	v_mov_b32_e32 v1, 0x42800000
	v_cmp_gt_f32_e32 vcc, s0, v0
	v_cndmask_b32_e32 v1, 0, v1, vcc
	v_add_f32_e32 v0, v0, v1
	v_exp_f32_e32 v0, v0
	v_mov_b32_e32 v1, 0x1f800000
	v_cndmask_b32_e32 v1, 1.0, v1, vcc
	v_cmp_eq_u32_e32 vcc, 0, v8
	v_mul_f32_e32 v0, v0, v1
	s_and_saveexec_b64 s[12:13], vcc
	s_cbranch_execz .LBB16_24
; %bb.19:
	s_load_dwordx2 s[4:5], s[4:5], 0x10
	s_ashr_i32 s0, s2, 31
	v_or_b32_e32 v3, s0, v10
	v_mov_b32_e32 v2, 0
	v_cmp_ne_u64_e32 vcc, 0, v[2:3]
                                        ; implicit-def: $vgpr2_vgpr3
	s_and_saveexec_b64 s[14:15], vcc
	s_xor_b64 s[14:15], exec, s[14:15]
	s_cbranch_execz .LBB16_21
; %bb.20:
	s_add_u32 s18, s2, s0
	s_mov_b32 s16, s0
	s_mov_b32 s17, s0
	s_addc_u32 s19, s0, s0
	s_xor_b64 s[18:19], s[18:19], s[16:17]
	v_cvt_f32_u32_e32 v1, s18
	v_cvt_f32_u32_e32 v2, s19
	s_sub_u32 s0, 0, s18
	s_subb_u32 s1, 0, s19
	v_madmk_f32 v1, v2, 0x4f800000, v1
	v_rcp_f32_e32 v1, v1
	v_mul_f32_e32 v1, 0x5f7ffffc, v1
	v_mul_f32_e32 v2, 0x2f800000, v1
	v_trunc_f32_e32 v2, v2
	v_madmk_f32 v1, v2, 0xcf800000, v1
	v_cvt_u32_f32_e32 v2, v2
	v_cvt_u32_f32_e32 v1, v1
	v_mul_lo_u32 v3, s0, v2
	v_mul_hi_u32 v5, s0, v1
	v_mul_lo_u32 v4, s1, v1
	v_add_u32_e32 v3, v5, v3
	v_mul_lo_u32 v11, s0, v1
	v_add_u32_e32 v3, v3, v4
	v_mul_lo_u32 v5, v1, v3
	v_mul_hi_u32 v14, v1, v11
	v_mul_hi_u32 v4, v1, v3
	v_add_co_u32_e32 v5, vcc, v14, v5
	v_addc_co_u32_e32 v4, vcc, 0, v4, vcc
	v_mul_hi_u32 v15, v2, v11
	v_mul_lo_u32 v11, v2, v11
	v_add_co_u32_e32 v5, vcc, v5, v11
	v_mul_hi_u32 v14, v2, v3
	v_addc_co_u32_e32 v4, vcc, v4, v15, vcc
	v_addc_co_u32_e32 v5, vcc, 0, v14, vcc
	v_mul_lo_u32 v3, v2, v3
	v_add_co_u32_e32 v3, vcc, v4, v3
	v_addc_co_u32_e32 v4, vcc, 0, v5, vcc
	v_add_co_u32_e32 v1, vcc, v1, v3
	v_addc_co_u32_e32 v2, vcc, v2, v4, vcc
	v_mul_lo_u32 v3, s0, v2
	v_mul_hi_u32 v4, s0, v1
	v_add_u32_e32 v3, v4, v3
	v_mul_lo_u32 v4, s1, v1
	v_add_u32_e32 v3, v3, v4
	v_mul_lo_u32 v5, s0, v1
	v_mul_hi_u32 v11, v2, v5
	v_mul_lo_u32 v14, v2, v5
	v_mul_lo_u32 v16, v1, v3
	v_mul_hi_u32 v5, v1, v5
	v_mul_hi_u32 v15, v1, v3
	v_add_co_u32_e32 v5, vcc, v5, v16
	v_addc_co_u32_e32 v15, vcc, 0, v15, vcc
	v_add_co_u32_e32 v5, vcc, v5, v14
	v_mul_hi_u32 v4, v2, v3
	v_addc_co_u32_e32 v5, vcc, v15, v11, vcc
	v_addc_co_u32_e32 v4, vcc, 0, v4, vcc
	v_mul_lo_u32 v3, v2, v3
	v_add_co_u32_e32 v3, vcc, v5, v3
	v_addc_co_u32_e32 v4, vcc, 0, v4, vcc
	v_add_co_u32_e32 v1, vcc, v1, v3
	v_addc_co_u32_e32 v4, vcc, v2, v4, vcc
	v_mad_u64_u32 v[2:3], s[0:1], v7, v4, 0
	v_mul_hi_u32 v5, v7, v1
	v_add_co_u32_e32 v11, vcc, v5, v2
	v_addc_co_u32_e32 v14, vcc, 0, v3, vcc
	v_mad_u64_u32 v[2:3], s[0:1], v10, v4, 0
	v_mad_u64_u32 v[4:5], s[0:1], v10, v1, 0
	v_add_co_u32_e32 v1, vcc, v11, v4
	v_addc_co_u32_e32 v1, vcc, v14, v5, vcc
	v_addc_co_u32_e32 v3, vcc, 0, v3, vcc
	v_add_co_u32_e32 v1, vcc, v1, v2
	v_addc_co_u32_e32 v2, vcc, 0, v3, vcc
	v_mul_lo_u32 v4, s19, v1
	v_mul_lo_u32 v5, s18, v2
	v_mad_u64_u32 v[2:3], s[0:1], s18, v1, 0
	v_add3_u32 v3, v3, v5, v4
	v_sub_u32_e32 v4, v10, v3
	v_mov_b32_e32 v5, s19
	v_sub_co_u32_e32 v2, vcc, v7, v2
	v_subb_co_u32_e64 v4, s[0:1], v4, v5, vcc
	v_subrev_co_u32_e64 v5, s[0:1], s18, v2
	v_subbrev_co_u32_e64 v4, s[0:1], 0, v4, s[0:1]
	v_cmp_le_u32_e64 s[0:1], s19, v4
	v_subb_co_u32_e32 v3, vcc, v10, v3, vcc
	v_cndmask_b32_e64 v11, 0, -1, s[0:1]
	v_cmp_le_u32_e64 s[0:1], s18, v5
	v_cmp_le_u32_e32 vcc, s19, v3
	v_cndmask_b32_e64 v5, 0, -1, s[0:1]
	v_cmp_eq_u32_e64 s[0:1], s19, v4
	v_cndmask_b32_e64 v10, 0, -1, vcc
	v_cmp_le_u32_e32 vcc, s18, v2
	v_cndmask_b32_e64 v4, v11, v5, s[0:1]
	v_cndmask_b32_e64 v2, 0, -1, vcc
	v_cmp_eq_u32_e32 vcc, s19, v3
	v_add_co_u32_e64 v5, s[0:1], 2, v1
	v_add_co_u32_e64 v11, s[0:1], 1, v1
	v_cndmask_b32_e32 v2, v10, v2, vcc
	v_cmp_ne_u32_e32 vcc, 0, v4
	v_cndmask_b32_e32 v3, v11, v5, vcc
	v_cmp_ne_u32_e32 vcc, 0, v2
	v_cndmask_b32_e32 v1, v1, v3, vcc
	v_xor_b32_e32 v1, s16, v1
	v_subrev_co_u32_e32 v2, vcc, s16, v1
.LBB16_21:
	s_andn2_saveexec_b64 s[0:1], s[14:15]
	s_cbranch_execz .LBB16_23
; %bb.22:
	v_cvt_f32_u32_e32 v1, s2
	s_sub_i32 s14, 0, s2
	v_rcp_iflag_f32_e32 v1, v1
	v_mul_f32_e32 v1, 0x4f7ffffe, v1
	v_cvt_u32_f32_e32 v1, v1
	v_mul_lo_u32 v2, s14, v1
	v_mul_hi_u32 v2, v1, v2
	v_add_u32_e32 v1, v1, v2
	v_mul_hi_u32 v1, v7, v1
	v_mul_lo_u32 v2, v1, s2
	v_sub_u32_e32 v2, v7, v2
	v_add_u32_e32 v3, 1, v1
	v_subrev_u32_e32 v4, s2, v2
	v_cmp_le_u32_e32 vcc, s2, v2
	v_cndmask_b32_e32 v2, v2, v4, vcc
	v_cndmask_b32_e32 v1, v1, v3, vcc
	v_add_u32_e32 v3, 1, v1
	v_cmp_le_u32_e32 vcc, s2, v2
	v_cndmask_b32_e32 v2, v1, v3, vcc
.LBB16_23:
	s_or_b64 exec, exec, s[0:1]
	v_mul_lo_u32 v1, v2, s2
	v_sub_u32_e32 v1, v7, v1
	v_mad_u64_u32 v[2:3], s[0:1], v1, s3, v[2:3]
	v_ashrrev_i32_e32 v3, 31, v2
	v_lshlrev_b64 v[2:3], 2, v[2:3]
	s_waitcnt lgkmcnt(0)
	v_mov_b32_e32 v1, s5
	v_add_co_u32_e32 v2, vcc, s4, v2
	v_addc_co_u32_e32 v3, vcc, v1, v3, vcc
	global_store_dword v[2:3], v0, off
.LBB16_24:
	s_or_b64 exec, exec, s[12:13]
	v_and_b32_e32 v2, 15, v6
	v_mov_b32_e32 v3, 0
	v_cmp_ne_u64_e32 vcc, 0, v[2:3]
	s_xor_b64 s[0:1], s[6:7], -1
	s_or_b64 s[0:1], s[0:1], vcc
	s_barrier
	s_and_saveexec_b64 s[2:3], s[0:1]
	s_xor_b64 s[12:13], exec, s[2:3]
	s_cbranch_execz .LBB16_101
; %bb.25:
	v_mov_b32_e32 v2, s9
	v_add_co_u32_e32 v1, vcc, s8, v12
	v_addc_co_u32_e32 v10, vcc, v2, v13, vcc
	v_sub_u32_e32 v2, 0, v6
	v_bfe_u32 v2, v2, 1, 3
	v_min_i32_e32 v21, s21, v2
	v_cmp_gt_i32_e32 vcc, v21, v8
	s_and_saveexec_b64 s[0:1], vcc
	s_cbranch_execz .LBB16_33
; %bb.26:
	v_lshl_add_u32 v2, v8, 1, v6
	ds_read_u16 v2, v2
	v_max_f32_e64 v3, s10, s10
	v_max_f32_e64 v4, s11, s11
	s_waitcnt lgkmcnt(0)
	v_cvt_f32_f16_e32 v2, v2
	v_div_scale_f32 v5, s[2:3], v0, v0, v2
	v_rcp_f32_e32 v6, v5
	v_div_scale_f32 v7, vcc, v2, v0, v2
	s_mov_b32 s2, 0x43f00000
	v_fma_f32 v11, -v5, v6, 1.0
	v_fmac_f32_e32 v6, v11, v6
	v_mul_f32_e32 v11, v7, v6
	v_fma_f32 v14, -v5, v11, v7
	v_fmac_f32_e32 v11, v14, v6
	v_fma_f32 v5, -v5, v11, v7
	v_div_fmas_f32 v5, v5, v6, v11
	v_div_fixup_f32 v2, v5, v0, v2
	v_max_f32_e32 v2, v2, v3
	v_min_f32_e32 v2, v2, v4
	v_and_b32_e32 v4, 0x7fffffff, v2
	v_cmp_gt_u32_e32 vcc, s2, v4
	v_mov_b32_e32 v3, 0x7f
	s_and_saveexec_b64 s[2:3], vcc
	s_cbranch_execz .LBB16_32
; %bb.27:
	s_mov_b32 s4, 0x3c7fffff
	v_cmp_lt_u32_e32 vcc, s4, v4
                                        ; implicit-def: $vgpr3
	s_and_saveexec_b64 s[4:5], vcc
	s_xor_b64 s[4:5], exec, s[4:5]
; %bb.28:
	v_bfe_u32 v3, v2, 20, 1
	s_mov_b32 s6, 0x407ffff
	v_add3_u32 v3, v2, v3, s6
	v_lshrrev_b32_e32 v3, 20, v3
; %bb.29:
	s_andn2_saveexec_b64 s[4:5], s[4:5]
; %bb.30:
	s_mov_b32 s6, 0x46800000
	v_add_f32_e64 v3, |v2|, s6
; %bb.31:
	s_or_b64 exec, exec, s[4:5]
.LBB16_32:
	s_or_b64 exec, exec, s[2:3]
	v_add_co_u32_e32 v4, vcc, v1, v8
	v_lshrrev_b32_e32 v2, 24, v2
	s_movk_i32 s2, 0x80
	v_addc_co_u32_e32 v5, vcc, 0, v10, vcc
	v_and_or_b32 v2, v2, s2, v3
	global_store_byte v[4:5], v2, off
.LBB16_33:
	s_or_b64 exec, exec, s[0:1]
	v_sub_u32_e32 v20, s21, v21
	v_ashrrev_i32_e32 v2, 31, v20
	v_lshrrev_b32_e32 v2, 29, v2
	v_add_u32_e32 v2, v20, v2
	v_ashrrev_i32_e32 v11, 3, v2
	v_ashrrev_i32_e32 v22, 31, v21
	v_cmp_gt_i32_e32 vcc, v11, v8
	v_lshlrev_b32_e32 v23, 1, v21
	s_and_saveexec_b64 s[2:3], vcc
	s_cbranch_execz .LBB16_84
; %bb.34:
	v_lshlrev_b32_e32 v2, 4, v8
	v_lshl_add_u32 v2, v9, 1, v2
	v_lshlrev_b32_e32 v3, 1, v21
	v_add3_u32 v14, v2, v3, 0
	v_add_co_u32_e32 v2, vcc, v21, v12
	v_addc_co_u32_e32 v3, vcc, v22, v13, vcc
	v_lshlrev_b32_e32 v4, 3, v8
	v_add_co_u32_e32 v2, vcc, v2, v4
	v_addc_co_u32_e32 v3, vcc, 0, v3, vcc
	v_mov_b32_e32 v4, s9
	v_add_co_u32_e32 v6, vcc, s8, v2
	v_addc_co_u32_e32 v7, vcc, v4, v3, vcc
	s_mov_b64 s[4:5], 0
	v_max_f32_e64 v15, s10, s10
	v_max_f32_e64 v16, s11, s11
	s_mov_b32 s14, 0x43f00000
	s_mov_b32 s15, 0x3c7fffff
	s_mov_b32 s16, 0x407ffff
	s_mov_b32 s17, 0x46800000
	s_movk_i32 s18, 0x80
	s_movk_i32 s19, 0xff
	v_mov_b32_e32 v17, v8
	s_branch .LBB16_37
.LBB16_35:                              ;   in Loop: Header=BB16_37 Depth=1
	s_or_b64 exec, exec, s[6:7]
.LBB16_36:                              ;   in Loop: Header=BB16_37 Depth=1
	s_or_b64 exec, exec, s[0:1]
	v_and_b32_sdwa v32, v32, s18 dst_sel:DWORD dst_unused:UNUSED_PAD src0_sel:BYTE_3 src1_sel:DWORD
	v_lshrrev_b32_e32 v5, 24, v5
	v_and_b32_sdwa v4, v4, s18 dst_sel:DWORD dst_unused:UNUSED_PAD src0_sel:BYTE_3 src1_sel:DWORD
	v_and_or_b32 v5, v5, s18, v31
	v_and_or_b32 v31, v33, s19, v32
	v_and_b32_sdwa v30, v30, s18 dst_sel:DWORD dst_unused:UNUSED_PAD src0_sel:BYTE_3 src1_sel:DWORD
	v_lshlrev_b32_e32 v5, 24, v5
	v_lshlrev_b32_e32 v31, 16, v31
	v_and_or_b32 v4, v28, s19, v4
	v_and_b32_sdwa v27, v27, s18 dst_sel:DWORD dst_unused:UNUSED_PAD src0_sel:BYTE_3 src1_sel:DWORD
	v_or_b32_e32 v5, v5, v31
	v_lshlrev_b32_e32 v4, 8, v4
	v_and_or_b32 v28, v29, s19, v30
	v_and_b32_sdwa v2, v2, s18 dst_sel:DWORD dst_unused:UNUSED_PAD src0_sel:BYTE_3 src1_sel:DWORD
	v_or3_b32 v5, v5, v4, v28
	v_lshlrev_b32_e32 v4, 24, v25
	v_and_or_b32 v25, v26, s19, v27
	v_and_b32_sdwa v24, v24, s18 dst_sel:DWORD dst_unused:UNUSED_PAD src0_sel:BYTE_3 src1_sel:DWORD
	v_and_b32_e32 v3, 0x80000000, v3
	v_lshlrev_b32_e32 v25, 16, v25
	v_and_or_b32 v2, v18, s19, v2
	v_lshlrev_b32_e32 v2, 8, v2
	v_or3_b32 v3, v4, v3, v25
	v_and_or_b32 v4, v19, s19, v24
	v_or3_b32 v4, v3, v2, v4
	v_add_u32_e32 v17, 16, v17
	global_store_dwordx2 v[6:7], v[4:5], off
	v_add_co_u32_e32 v6, vcc, 0x80, v6
	v_cmp_ge_i32_e64 s[0:1], v17, v11
	v_add_u32_e32 v14, 0x100, v14
	s_or_b64 s[4:5], s[0:1], s[4:5]
	v_addc_co_u32_e32 v7, vcc, 0, v7, vcc
	s_andn2_b64 exec, exec, s[4:5]
	s_cbranch_execz .LBB16_84
.LBB16_37:                              ; =>This Inner Loop Header: Depth=1
	ds_read_b128 v[2:5], v14
	v_mov_b32_e32 v18, 0x7f
	s_waitcnt lgkmcnt(0)
	v_cvt_f32_f16_e32 v19, v2
	v_div_scale_f32 v24, s[0:1], v0, v0, v19
	v_rcp_f32_e32 v25, v24
	v_div_scale_f32 v26, vcc, v19, v0, v19
	v_fma_f32 v27, -v24, v25, 1.0
	v_fmac_f32_e32 v25, v27, v25
	v_mul_f32_e32 v27, v26, v25
	v_fma_f32 v28, -v24, v27, v26
	v_fmac_f32_e32 v27, v28, v25
	v_fma_f32 v24, -v24, v27, v26
	v_div_fmas_f32 v24, v24, v25, v27
	v_div_fixup_f32 v19, v24, v0, v19
	v_max_f32_e32 v19, v19, v15
	v_min_f32_e32 v24, v19, v16
	v_and_b32_e32 v25, 0x7fffffff, v24
	v_cmp_gt_u32_e32 vcc, s14, v25
	v_mov_b32_e32 v19, 0x7f
	s_and_saveexec_b64 s[0:1], vcc
	s_cbranch_execz .LBB16_43
; %bb.38:                               ;   in Loop: Header=BB16_37 Depth=1
	v_cmp_lt_u32_e32 vcc, s15, v25
                                        ; implicit-def: $vgpr19
	s_and_saveexec_b64 s[6:7], vcc
	s_xor_b64 s[6:7], exec, s[6:7]
; %bb.39:                               ;   in Loop: Header=BB16_37 Depth=1
	v_bfe_u32 v19, v24, 20, 1
	v_add3_u32 v19, v24, v19, s16
	v_lshrrev_b32_e32 v19, 20, v19
; %bb.40:                               ;   in Loop: Header=BB16_37 Depth=1
	s_andn2_saveexec_b64 s[6:7], s[6:7]
; %bb.41:                               ;   in Loop: Header=BB16_37 Depth=1
	v_add_f32_e64 v19, |v24|, s17
; %bb.42:                               ;   in Loop: Header=BB16_37 Depth=1
	s_or_b64 exec, exec, s[6:7]
.LBB16_43:                              ;   in Loop: Header=BB16_37 Depth=1
	s_or_b64 exec, exec, s[0:1]
	v_cvt_f32_f16_sdwa v2, v2 dst_sel:DWORD dst_unused:UNUSED_PAD src0_sel:WORD_1
	v_div_scale_f32 v25, s[0:1], v0, v0, v2
	v_rcp_f32_e32 v26, v25
	v_div_scale_f32 v27, vcc, v2, v0, v2
	v_fma_f32 v28, -v25, v26, 1.0
	v_fmac_f32_e32 v26, v28, v26
	v_mul_f32_e32 v28, v27, v26
	v_fma_f32 v29, -v25, v28, v27
	v_fmac_f32_e32 v28, v29, v26
	v_fma_f32 v25, -v25, v28, v27
	v_div_fmas_f32 v25, v25, v26, v28
	v_div_fixup_f32 v2, v25, v0, v2
	v_max_f32_e32 v2, v2, v15
	v_min_f32_e32 v2, v2, v16
	v_and_b32_e32 v25, 0x7fffffff, v2
	v_cmp_gt_u32_e32 vcc, s14, v25
	s_and_saveexec_b64 s[0:1], vcc
	s_cbranch_execz .LBB16_49
; %bb.44:                               ;   in Loop: Header=BB16_37 Depth=1
	v_cmp_lt_u32_e32 vcc, s15, v25
                                        ; implicit-def: $vgpr18
	s_and_saveexec_b64 s[6:7], vcc
	s_xor_b64 s[6:7], exec, s[6:7]
; %bb.45:                               ;   in Loop: Header=BB16_37 Depth=1
	v_bfe_u32 v18, v2, 20, 1
	v_add3_u32 v18, v2, v18, s16
	v_lshrrev_b32_e32 v18, 20, v18
; %bb.46:                               ;   in Loop: Header=BB16_37 Depth=1
	s_andn2_saveexec_b64 s[6:7], s[6:7]
; %bb.47:                               ;   in Loop: Header=BB16_37 Depth=1
	v_add_f32_e64 v18, |v2|, s17
; %bb.48:                               ;   in Loop: Header=BB16_37 Depth=1
	s_or_b64 exec, exec, s[6:7]
.LBB16_49:                              ;   in Loop: Header=BB16_37 Depth=1
	s_or_b64 exec, exec, s[0:1]
	v_cvt_f32_f16_e32 v26, v3
	v_mov_b32_e32 v25, 0x7f
	v_div_scale_f32 v27, s[0:1], v0, v0, v26
	v_rcp_f32_e32 v28, v27
	v_div_scale_f32 v29, vcc, v26, v0, v26
	v_fma_f32 v30, -v27, v28, 1.0
	v_fmac_f32_e32 v28, v30, v28
	v_mul_f32_e32 v30, v29, v28
	v_fma_f32 v31, -v27, v30, v29
	v_fmac_f32_e32 v30, v31, v28
	v_fma_f32 v27, -v27, v30, v29
	v_div_fmas_f32 v27, v27, v28, v30
	v_div_fixup_f32 v26, v27, v0, v26
	v_max_f32_e32 v26, v26, v15
	v_min_f32_e32 v27, v26, v16
	v_and_b32_e32 v28, 0x7fffffff, v27
	v_cmp_gt_u32_e32 vcc, s14, v28
	v_mov_b32_e32 v26, 0x7f
	s_and_saveexec_b64 s[0:1], vcc
	s_cbranch_execz .LBB16_55
; %bb.50:                               ;   in Loop: Header=BB16_37 Depth=1
	v_cmp_lt_u32_e32 vcc, s15, v28
                                        ; implicit-def: $vgpr26
	s_and_saveexec_b64 s[6:7], vcc
	s_xor_b64 s[6:7], exec, s[6:7]
; %bb.51:                               ;   in Loop: Header=BB16_37 Depth=1
	v_bfe_u32 v26, v27, 20, 1
	v_add3_u32 v26, v27, v26, s16
	v_lshrrev_b32_e32 v26, 20, v26
; %bb.52:                               ;   in Loop: Header=BB16_37 Depth=1
	s_andn2_saveexec_b64 s[6:7], s[6:7]
; %bb.53:                               ;   in Loop: Header=BB16_37 Depth=1
	v_add_f32_e64 v26, |v27|, s17
; %bb.54:                               ;   in Loop: Header=BB16_37 Depth=1
	s_or_b64 exec, exec, s[6:7]
.LBB16_55:                              ;   in Loop: Header=BB16_37 Depth=1
	s_or_b64 exec, exec, s[0:1]
	v_cvt_f32_f16_sdwa v3, v3 dst_sel:DWORD dst_unused:UNUSED_PAD src0_sel:WORD_1
	v_div_scale_f32 v28, s[0:1], v0, v0, v3
	v_rcp_f32_e32 v29, v28
	v_div_scale_f32 v30, vcc, v3, v0, v3
	v_fma_f32 v31, -v28, v29, 1.0
	v_fmac_f32_e32 v29, v31, v29
	v_mul_f32_e32 v31, v30, v29
	v_fma_f32 v32, -v28, v31, v30
	v_fmac_f32_e32 v31, v32, v29
	v_fma_f32 v28, -v28, v31, v30
	v_div_fmas_f32 v28, v28, v29, v31
	v_div_fixup_f32 v3, v28, v0, v3
	v_max_f32_e32 v3, v3, v15
	v_min_f32_e32 v3, v3, v16
	v_and_b32_e32 v28, 0x7fffffff, v3
	v_cmp_gt_u32_e32 vcc, s14, v28
	s_and_saveexec_b64 s[0:1], vcc
	s_cbranch_execz .LBB16_61
; %bb.56:                               ;   in Loop: Header=BB16_37 Depth=1
	v_cmp_lt_u32_e32 vcc, s15, v28
                                        ; implicit-def: $vgpr25
	s_and_saveexec_b64 s[6:7], vcc
	s_xor_b64 s[6:7], exec, s[6:7]
; %bb.57:                               ;   in Loop: Header=BB16_37 Depth=1
	v_bfe_u32 v25, v3, 20, 1
	v_add3_u32 v25, v3, v25, s16
	v_lshrrev_b32_e32 v25, 20, v25
; %bb.58:                               ;   in Loop: Header=BB16_37 Depth=1
	s_andn2_saveexec_b64 s[6:7], s[6:7]
; %bb.59:                               ;   in Loop: Header=BB16_37 Depth=1
	v_add_f32_e64 v25, |v3|, s17
; %bb.60:                               ;   in Loop: Header=BB16_37 Depth=1
	s_or_b64 exec, exec, s[6:7]
.LBB16_61:                              ;   in Loop: Header=BB16_37 Depth=1
	s_or_b64 exec, exec, s[0:1]
	v_cvt_f32_f16_e32 v29, v4
	v_mov_b32_e32 v28, 0x7f
	v_div_scale_f32 v30, s[0:1], v0, v0, v29
	v_rcp_f32_e32 v31, v30
	v_div_scale_f32 v32, vcc, v29, v0, v29
	v_fma_f32 v33, -v30, v31, 1.0
	v_fmac_f32_e32 v31, v33, v31
	v_mul_f32_e32 v33, v32, v31
	v_fma_f32 v34, -v30, v33, v32
	v_fmac_f32_e32 v33, v34, v31
	v_fma_f32 v30, -v30, v33, v32
	v_div_fmas_f32 v30, v30, v31, v33
	v_div_fixup_f32 v29, v30, v0, v29
	v_max_f32_e32 v29, v29, v15
	v_min_f32_e32 v30, v29, v16
	v_and_b32_e32 v31, 0x7fffffff, v30
	v_cmp_gt_u32_e32 vcc, s14, v31
	v_mov_b32_e32 v29, 0x7f
	s_and_saveexec_b64 s[0:1], vcc
	s_cbranch_execz .LBB16_67
; %bb.62:                               ;   in Loop: Header=BB16_37 Depth=1
	v_cmp_lt_u32_e32 vcc, s15, v31
                                        ; implicit-def: $vgpr29
	s_and_saveexec_b64 s[6:7], vcc
	s_xor_b64 s[6:7], exec, s[6:7]
; %bb.63:                               ;   in Loop: Header=BB16_37 Depth=1
	v_bfe_u32 v29, v30, 20, 1
	v_add3_u32 v29, v30, v29, s16
	v_lshrrev_b32_e32 v29, 20, v29
; %bb.64:                               ;   in Loop: Header=BB16_37 Depth=1
	s_andn2_saveexec_b64 s[6:7], s[6:7]
; %bb.65:                               ;   in Loop: Header=BB16_37 Depth=1
	v_add_f32_e64 v29, |v30|, s17
; %bb.66:                               ;   in Loop: Header=BB16_37 Depth=1
	s_or_b64 exec, exec, s[6:7]
.LBB16_67:                              ;   in Loop: Header=BB16_37 Depth=1
	s_or_b64 exec, exec, s[0:1]
	v_cvt_f32_f16_sdwa v4, v4 dst_sel:DWORD dst_unused:UNUSED_PAD src0_sel:WORD_1
	v_div_scale_f32 v31, s[0:1], v0, v0, v4
	v_rcp_f32_e32 v32, v31
	v_div_scale_f32 v33, vcc, v4, v0, v4
	v_fma_f32 v34, -v31, v32, 1.0
	v_fmac_f32_e32 v32, v34, v32
	v_mul_f32_e32 v34, v33, v32
	v_fma_f32 v35, -v31, v34, v33
	v_fmac_f32_e32 v34, v35, v32
	v_fma_f32 v31, -v31, v34, v33
	v_div_fmas_f32 v31, v31, v32, v34
	v_div_fixup_f32 v4, v31, v0, v4
	v_max_f32_e32 v4, v4, v15
	v_min_f32_e32 v4, v4, v16
	v_and_b32_e32 v31, 0x7fffffff, v4
	v_cmp_gt_u32_e32 vcc, s14, v31
	s_and_saveexec_b64 s[0:1], vcc
	s_cbranch_execz .LBB16_73
; %bb.68:                               ;   in Loop: Header=BB16_37 Depth=1
	v_cmp_lt_u32_e32 vcc, s15, v31
                                        ; implicit-def: $vgpr28
	s_and_saveexec_b64 s[6:7], vcc
	s_xor_b64 s[6:7], exec, s[6:7]
; %bb.69:                               ;   in Loop: Header=BB16_37 Depth=1
	v_bfe_u32 v28, v4, 20, 1
	v_add3_u32 v28, v4, v28, s16
	v_lshrrev_b32_e32 v28, 20, v28
; %bb.70:                               ;   in Loop: Header=BB16_37 Depth=1
	s_andn2_saveexec_b64 s[6:7], s[6:7]
; %bb.71:                               ;   in Loop: Header=BB16_37 Depth=1
	v_add_f32_e64 v28, |v4|, s17
; %bb.72:                               ;   in Loop: Header=BB16_37 Depth=1
	s_or_b64 exec, exec, s[6:7]
.LBB16_73:                              ;   in Loop: Header=BB16_37 Depth=1
	s_or_b64 exec, exec, s[0:1]
	v_cvt_f32_f16_e32 v32, v5
	v_mov_b32_e32 v31, 0x7f
	v_div_scale_f32 v33, s[0:1], v0, v0, v32
	v_rcp_f32_e32 v34, v33
	v_div_scale_f32 v35, vcc, v32, v0, v32
	v_fma_f32 v36, -v33, v34, 1.0
	v_fmac_f32_e32 v34, v36, v34
	v_mul_f32_e32 v36, v35, v34
	v_fma_f32 v37, -v33, v36, v35
	v_fmac_f32_e32 v36, v37, v34
	v_fma_f32 v33, -v33, v36, v35
	v_div_fmas_f32 v33, v33, v34, v36
	v_div_fixup_f32 v32, v33, v0, v32
	v_max_f32_e32 v32, v32, v15
	v_min_f32_e32 v32, v32, v16
	v_and_b32_e32 v34, 0x7fffffff, v32
	v_cmp_gt_u32_e32 vcc, s14, v34
	v_mov_b32_e32 v33, 0x7f
	s_and_saveexec_b64 s[0:1], vcc
	s_cbranch_execz .LBB16_79
; %bb.74:                               ;   in Loop: Header=BB16_37 Depth=1
	v_cmp_lt_u32_e32 vcc, s15, v34
                                        ; implicit-def: $vgpr33
	s_and_saveexec_b64 s[6:7], vcc
	s_xor_b64 s[6:7], exec, s[6:7]
; %bb.75:                               ;   in Loop: Header=BB16_37 Depth=1
	v_bfe_u32 v33, v32, 20, 1
	v_add3_u32 v33, v32, v33, s16
	v_lshrrev_b32_e32 v33, 20, v33
; %bb.76:                               ;   in Loop: Header=BB16_37 Depth=1
	s_andn2_saveexec_b64 s[6:7], s[6:7]
; %bb.77:                               ;   in Loop: Header=BB16_37 Depth=1
	v_add_f32_e64 v33, |v32|, s17
; %bb.78:                               ;   in Loop: Header=BB16_37 Depth=1
	s_or_b64 exec, exec, s[6:7]
.LBB16_79:                              ;   in Loop: Header=BB16_37 Depth=1
	s_or_b64 exec, exec, s[0:1]
	v_cvt_f32_f16_sdwa v5, v5 dst_sel:DWORD dst_unused:UNUSED_PAD src0_sel:WORD_1
	v_div_scale_f32 v34, s[0:1], v0, v0, v5
	v_rcp_f32_e32 v35, v34
	v_div_scale_f32 v36, vcc, v5, v0, v5
	v_fma_f32 v37, -v34, v35, 1.0
	v_fmac_f32_e32 v35, v37, v35
	v_mul_f32_e32 v37, v36, v35
	v_fma_f32 v38, -v34, v37, v36
	v_fmac_f32_e32 v37, v38, v35
	v_fma_f32 v34, -v34, v37, v36
	v_div_fmas_f32 v34, v34, v35, v37
	v_div_fixup_f32 v5, v34, v0, v5
	v_max_f32_e32 v5, v5, v15
	v_min_f32_e32 v5, v5, v16
	v_and_b32_e32 v34, 0x7fffffff, v5
	v_cmp_gt_u32_e32 vcc, s14, v34
	s_and_saveexec_b64 s[0:1], vcc
	s_cbranch_execz .LBB16_36
; %bb.80:                               ;   in Loop: Header=BB16_37 Depth=1
	v_cmp_lt_u32_e32 vcc, s15, v34
                                        ; implicit-def: $vgpr31
	s_and_saveexec_b64 s[6:7], vcc
	s_xor_b64 s[6:7], exec, s[6:7]
; %bb.81:                               ;   in Loop: Header=BB16_37 Depth=1
	v_bfe_u32 v31, v5, 20, 1
	v_add3_u32 v31, v5, v31, s16
	v_lshrrev_b32_e32 v31, 20, v31
; %bb.82:                               ;   in Loop: Header=BB16_37 Depth=1
	s_andn2_saveexec_b64 s[6:7], s[6:7]
	s_cbranch_execz .LBB16_35
; %bb.83:                               ;   in Loop: Header=BB16_37 Depth=1
	v_add_f32_e64 v31, |v5|, s17
	s_branch .LBB16_35
.LBB16_84:
	s_or_b64 exec, exec, s[2:3]
	v_lshlrev_b32_e32 v4, 3, v11
	v_add_u32_e32 v2, v4, v8
	v_cmp_lt_i32_e32 vcc, v2, v20
	s_and_saveexec_b64 s[14:15], vcc
	s_cbranch_execz .LBB16_100
; %bb.85:
	v_add_u32_e32 v3, 16, v2
	v_max_i32_e32 v5, v3, v20
	v_xad_u32 v5, v8, -1, v5
	v_sub_u32_e32 v4, v5, v4
	v_cmp_lt_u32_e32 vcc, 47, v4
	s_mov_b64 s[0:1], 0
                                        ; implicit-def: $vgpr24
	s_and_saveexec_b64 s[2:3], vcc
	s_xor_b64 s[16:17], exec, s[2:3]
	s_cbranch_execnz .LBB16_88
; %bb.86:
	s_andn2_saveexec_b64 s[2:3], s[16:17]
	s_cbranch_execnz .LBB16_91
.LBB16_87:
	s_or_b64 exec, exec, s[2:3]
	s_and_b64 exec, exec, s[0:1]
	s_cbranch_execnz .LBB16_92
	s_branch .LBB16_100
.LBB16_88:
	v_lshrrev_b32_e32 v4, 4, v4
	v_lshlrev_b32_e32 v24, 1, v9
	v_lshlrev_b32_e32 v9, 4, v11
	;; [unrolled: 1-line block ×3, first 2 shown]
	v_add_u32_e32 v25, 1, v4
	v_add_co_u32_e32 v27, vcc, v1, v21
	v_add_u32_e32 v5, 48, v2
	v_add_u32_e32 v4, 32, v2
	v_add3_u32 v9, v24, v9, v23
	v_lshlrev_b32_e32 v8, 1, v8
	v_addc_co_u32_e32 v28, vcc, v10, v22, vcc
	v_and_b32_e32 v26, 0x1ffffffc, v25
	s_mov_b32 s0, s10
	s_mov_b32 s1, s10
	;; [unrolled: 1-line block ×8, first 2 shown]
	v_add3_u32 v29, v9, v8, 0
	v_pk_mov_b32 v[10:11], v[4:5], v[4:5] op_sel:[0,1]
	v_mov_b32_e32 v1, v0
	v_mov_b32_e32 v6, v0
	;; [unrolled: 1-line block ×3, first 2 shown]
	s_mov_b64 s[18:19], 0
	v_max_f32_e64 v30, s3, s3
	v_max_f32_e64 v31, s2, s2
	;; [unrolled: 1-line block ×8, first 2 shown]
	s_mov_b32 s22, 0x43f00000
	s_mov_b32 s23, 0x7700000
	;; [unrolled: 1-line block ×4, first 2 shown]
	v_mov_b32_e32 v38, 0x7f
	s_movk_i32 s25, 0x80
	v_mov_b32_e32 v39, v26
	v_pk_mov_b32 v[8:9], v[2:3], v[2:3] op_sel:[0,1]
.LBB16_89:                              ; =>This Inner Loop Header: Depth=1
	ds_read_u16 v40, v29
	ds_read_u16 v41, v29 offset:32
	ds_read_u16 v42, v29 offset:64
	ds_read_u16 v43, v29 offset:96
	v_ashrrev_i32_e32 v3, 31, v11
	s_waitcnt lgkmcnt(3)
	v_cvt_f32_f16_e32 v40, v40
	v_ashrrev_i32_e32 v5, 31, v9
	v_ashrrev_i32_e32 v17, 31, v8
	v_add_co_u32_e32 v4, vcc, v27, v9
	v_add_co_u32_e64 v16, s[2:3], v27, v11
	v_add_co_u32_e64 v18, s[4:5], v27, v8
	s_waitcnt lgkmcnt(2)
	v_cvt_f32_f16_e32 v41, v41
	v_addc_co_u32_e64 v19, s[4:5], v28, v17, s[4:5]
	v_addc_co_u32_e32 v5, vcc, v28, v5, vcc
	v_addc_co_u32_e64 v17, vcc, v28, v3, s[2:3]
	s_waitcnt lgkmcnt(0)
	v_cvt_f32_f16_e32 v3, v43
	v_cvt_f32_f16_e32 v42, v42
	v_ashrrev_i32_e32 v15, 31, v10
	v_add_co_u32_e64 v14, s[0:1], v27, v10
	v_addc_co_u32_e64 v15, vcc, v28, v15, s[0:1]
	v_div_scale_f32 v43, s[0:1], v0, v0, v40
	v_div_scale_f32 v45, s[0:1], v1, v1, v41
	v_rcp_f32_e32 v50, v43
	v_div_scale_f32 v47, s[2:3], v6, v6, v42
	v_div_scale_f32 v49, s[4:5], v7, v7, v3
	v_rcp_f32_e32 v51, v45
	v_rcp_f32_e32 v52, v47
	;; [unrolled: 1-line block ×3, first 2 shown]
	v_fma_f32 v54, -v43, v50, 1.0
	v_div_scale_f32 v44, vcc, v40, v0, v40
	v_fma_f32 v55, -v45, v51, 1.0
	v_fmac_f32_e32 v50, v54, v50
	v_div_scale_f32 v46, s[0:1], v41, v1, v41
	v_fma_f32 v56, -v47, v52, 1.0
	v_fma_f32 v57, -v49, v53, 1.0
	v_fmac_f32_e32 v51, v55, v51
	v_mul_f32_e32 v54, v44, v50
	v_div_scale_f32 v48, s[2:3], v42, v6, v42
	v_fmac_f32_e32 v52, v56, v52
	v_fmac_f32_e32 v53, v57, v53
	v_mul_f32_e32 v55, v46, v51
	v_fma_f32 v57, -v43, v54, v44
	v_mul_f32_e32 v56, v48, v52
	v_fmac_f32_e32 v54, v57, v50
	v_fma_f32 v57, -v45, v55, v46
	v_fmac_f32_e32 v55, v57, v51
	v_fma_f32 v57, -v47, v56, v48
	v_fmac_f32_e32 v56, v57, v52
	v_div_scale_f32 v57, s[4:5], v3, v7, v3
	v_mul_f32_e32 v58, v57, v53
	v_fma_f32 v43, -v43, v54, v44
	v_fma_f32 v59, -v49, v58, v57
	;; [unrolled: 1-line block ×3, first 2 shown]
	v_div_fmas_f32 v43, v43, v50, v54
	s_mov_b64 vcc, s[0:1]
	v_fmac_f32_e32 v58, v59, v53
	v_fma_f32 v45, -v47, v56, v48
	v_div_fixup_f32 v40, v43, v0, v40
	v_div_fmas_f32 v43, v44, v51, v55
	s_mov_b64 vcc, s[2:3]
	v_fma_f32 v46, -v49, v58, v57
	v_div_fixup_f32 v41, v43, v1, v41
	v_div_fmas_f32 v43, v45, v52, v56
	v_max_f32_e32 v40, v40, v33
	s_mov_b64 vcc, s[4:5]
	v_div_fixup_f32 v42, v43, v6, v42
	v_div_fmas_f32 v43, v46, v53, v58
	v_max_f32_e32 v41, v41, v32
	v_min_f32_e32 v44, v40, v34
	v_div_fixup_f32 v3, v43, v7, v3
	v_max_f32_e32 v42, v42, v31
	v_min_f32_e32 v43, v41, v35
	v_and_b32_e32 v40, 0x7fffffff, v44
	v_bfe_u32 v45, v44, 20, 1
	v_lshrrev_b32_e32 v46, 24, v44
	v_max_f32_e32 v3, v3, v30
	v_min_f32_e32 v47, v42, v36
	v_and_b32_e32 v41, 0x7fffffff, v43
	v_add_u32_e32 v48, 0xc3800000, v40
	v_bfe_u32 v49, v43, 20, 1
	v_add3_u32 v44, v44, v45, s24
	v_min_f32_e32 v3, v3, v37
	v_and_b32_e32 v42, 0x7fffffff, v47
	v_add_u32_e32 v51, 0xc3800000, v41
	v_bfe_u32 v52, v47, 20, 1
	v_add3_u32 v49, v43, v49, s24
	v_lshrrev_b32_e32 v53, 20, v44
	v_pk_add_f32 v[44:45], v[40:41], s[20:21] op_sel_hi:[1,0]
	v_cmp_gt_u32_e32 vcc, s23, v48
	v_lshrrev_b32_e32 v50, 24, v43
	v_lshrrev_b32_e32 v54, 24, v47
	v_and_b32_e32 v43, 0x7fffffff, v3
	v_cndmask_b32_e32 v44, v44, v53, vcc
	v_cmp_gt_u32_e32 vcc, s22, v40
	v_add_u32_e32 v48, 0xc3800000, v42
	v_bfe_u32 v40, v3, 20, 1
	v_add3_u32 v47, v47, v52, s24
	v_lshrrev_b32_e32 v49, 20, v49
	v_cmp_gt_u32_e64 s[0:1], s23, v51
	v_lshrrev_b32_e32 v52, 24, v3
	v_cndmask_b32_e64 v45, v45, v49, s[0:1]
	v_cmp_gt_u32_e64 s[0:1], s22, v41
	v_add_u32_e32 v49, 0xc3800000, v43
	v_add3_u32 v3, v3, v40, s24
	v_lshrrev_b32_e32 v47, 20, v47
	v_pk_add_f32 v[40:41], v[42:43], s[20:21] op_sel_hi:[1,0]
	v_cndmask_b32_e32 v44, v38, v44, vcc
	v_cmp_gt_u32_e32 vcc, s23, v48
	v_cndmask_b32_e32 v40, v40, v47, vcc
	v_cmp_gt_u32_e32 vcc, s22, v42
	v_lshrrev_b32_e32 v3, 20, v3
	v_cndmask_b32_e64 v42, v38, v45, s[0:1]
	v_cmp_gt_u32_e64 s[0:1], s23, v49
	v_cndmask_b32_e64 v3, v41, v3, s[0:1]
	v_cndmask_b32_e32 v40, v38, v40, vcc
	v_cmp_gt_u32_e32 vcc, s22, v43
	v_cndmask_b32_e32 v3, v38, v3, vcc
	v_and_or_b32 v44, v46, s25, v44
	v_and_or_b32 v41, v50, s25, v42
	;; [unrolled: 1-line block ×3, first 2 shown]
	v_add_u32_e32 v39, -4, v39
	global_store_byte v[18:19], v44, off
	v_and_or_b32 v18, v54, s25, v40
	v_lshlrev_b16_e32 v19, 8, v41
	v_lshlrev_b16_e32 v3, 8, v3
	v_cmp_eq_u32_e64 s[6:7], 0, v39
	v_lshrrev_b32_e32 v19, 8, v19
	v_or_b32_sdwa v3, v18, v3 dst_sel:DWORD dst_unused:UNUSED_PAD src0_sel:BYTE_0 src1_sel:DWORD
	v_add_u32_e32 v11, 64, v11
	v_add_u32_e32 v10, 64, v10
	;; [unrolled: 1-line block ×5, first 2 shown]
	s_or_b64 s[18:19], s[6:7], s[18:19]
	global_store_byte v[4:5], v19, off
	global_store_byte v[14:15], v3, off
	v_lshrrev_b32_e32 v3, 8, v3
	global_store_byte v[16:17], v3, off
	s_andn2_b64 exec, exec, s[18:19]
	s_cbranch_execnz .LBB16_89
; %bb.90:
	s_or_b64 exec, exec, s[18:19]
	v_cmp_ne_u32_e32 vcc, v25, v26
	v_lshl_add_u32 v2, v26, 4, v2
	s_and_b64 s[0:1], vcc, exec
                                        ; implicit-def: $vgpr9
	s_andn2_saveexec_b64 s[2:3], s[16:17]
	s_cbranch_execz .LBB16_87
.LBB16_91:
	v_lshlrev_b32_e32 v24, 1, v9
	s_or_b64 s[0:1], s[0:1], exec
	s_or_b64 exec, exec, s[2:3]
	s_and_b64 exec, exec, s[0:1]
	s_cbranch_execz .LBB16_100
.LBB16_92:
	v_add_co_u32_e32 v3, vcc, v21, v12
	v_addc_co_u32_e32 v4, vcc, v22, v13, vcc
	v_ashrrev_i32_e32 v5, 31, v2
	v_add_co_u32_e32 v3, vcc, v3, v2
	v_addc_co_u32_e32 v5, vcc, v4, v5, vcc
	v_lshl_add_u32 v1, v2, 1, v24
	v_mov_b32_e32 v6, s9
	v_add_co_u32_e32 v4, vcc, s8, v3
	v_add3_u32 v1, v1, v23, 0
	v_addc_co_u32_e32 v5, vcc, v6, v5, vcc
	s_mov_b64 s[0:1], 0
	v_max_f32_e64 v3, s10, s10
	v_max_f32_e64 v6, s11, s11
	s_mov_b32 s6, 0x43f00000
	s_mov_b32 s7, 0x3c7fffff
	s_mov_b32 s16, 0x407ffff
	s_mov_b32 s17, 0x46800000
	s_movk_i32 s18, 0x80
	s_branch .LBB16_95
.LBB16_93:                              ;   in Loop: Header=BB16_95 Depth=1
	s_or_b64 exec, exec, s[4:5]
.LBB16_94:                              ;   in Loop: Header=BB16_95 Depth=1
	s_or_b64 exec, exec, s[2:3]
	v_lshrrev_b32_e32 v7, 24, v7
	v_add_u32_e32 v2, 16, v2
	v_and_or_b32 v7, v7, s18, v8
	v_cmp_ge_i32_e32 vcc, v2, v20
	global_store_byte v[4:5], v7, off
	s_or_b64 s[0:1], vcc, s[0:1]
	v_add_co_u32_e32 v4, vcc, 16, v4
	v_add_u32_e32 v1, 32, v1
	v_addc_co_u32_e32 v5, vcc, 0, v5, vcc
	s_andn2_b64 exec, exec, s[0:1]
	s_cbranch_execz .LBB16_100
.LBB16_95:                              ; =>This Inner Loop Header: Depth=1
	ds_read_u16 v7, v1
	s_waitcnt lgkmcnt(0)
	v_cvt_f32_f16_e32 v7, v7
	v_div_scale_f32 v8, s[2:3], v0, v0, v7
	v_rcp_f32_e32 v9, v8
	v_div_scale_f32 v10, vcc, v7, v0, v7
	v_fma_f32 v11, -v8, v9, 1.0
	v_fmac_f32_e32 v9, v11, v9
	v_mul_f32_e32 v11, v10, v9
	v_fma_f32 v12, -v8, v11, v10
	v_fmac_f32_e32 v11, v12, v9
	v_fma_f32 v8, -v8, v11, v10
	v_div_fmas_f32 v8, v8, v9, v11
	v_div_fixup_f32 v7, v8, v0, v7
	v_max_f32_e32 v7, v7, v3
	v_min_f32_e32 v7, v7, v6
	v_and_b32_e32 v9, 0x7fffffff, v7
	v_cmp_gt_u32_e32 vcc, s6, v9
	v_mov_b32_e32 v8, 0x7f
	s_and_saveexec_b64 s[2:3], vcc
	s_cbranch_execz .LBB16_94
; %bb.96:                               ;   in Loop: Header=BB16_95 Depth=1
	v_cmp_lt_u32_e32 vcc, s7, v9
                                        ; implicit-def: $vgpr8
	s_and_saveexec_b64 s[4:5], vcc
	s_xor_b64 s[4:5], exec, s[4:5]
; %bb.97:                               ;   in Loop: Header=BB16_95 Depth=1
	v_bfe_u32 v8, v7, 20, 1
	v_add3_u32 v8, v7, v8, s16
	v_lshrrev_b32_e32 v8, 20, v8
; %bb.98:                               ;   in Loop: Header=BB16_95 Depth=1
	s_andn2_saveexec_b64 s[4:5], s[4:5]
	s_cbranch_execz .LBB16_93
; %bb.99:                               ;   in Loop: Header=BB16_95 Depth=1
	v_add_f32_e64 v8, |v7|, s17
	s_branch .LBB16_93
.LBB16_100:
	s_or_b64 exec, exec, s[14:15]
                                        ; implicit-def: $vgpr8
                                        ; implicit-def: $vgpr0
                                        ; implicit-def: $vgpr9
                                        ; implicit-def: $vgpr12_vgpr13
.LBB16_101:
	s_andn2_saveexec_b64 s[0:1], s[12:13]
	s_cbranch_execz .LBB16_153
; %bb.102:
	s_ashr_i32 s6, s21, 3
	v_cmp_gt_i32_e32 vcc, s6, v8
	s_and_saveexec_b64 s[0:1], vcc
	s_cbranch_execz .LBB16_153
; %bb.103:
	v_lshlrev_b32_e32 v1, 1, v9
	v_lshlrev_b32_e32 v2, 4, v8
	v_add3_u32 v1, v1, v2, 0
	v_lshlrev_b32_e32 v2, 3, v8
	v_add_co_u32_e32 v2, vcc, v12, v2
	v_addc_co_u32_e32 v3, vcc, 0, v13, vcc
	v_mov_b32_e32 v4, s9
	v_add_co_u32_e32 v6, vcc, s8, v2
	v_addc_co_u32_e32 v7, vcc, v4, v3, vcc
	s_mov_b64 s[2:3], 0
	v_max_f32_e64 v9, s10, s10
	v_max_f32_e64 v10, s11, s11
	s_mov_b32 s7, 0x43f00000
	s_mov_b32 s8, 0x3c7fffff
	;; [unrolled: 1-line block ×4, first 2 shown]
	s_movk_i32 s11, 0x80
	s_movk_i32 s12, 0xff
	s_branch .LBB16_106
.LBB16_104:                             ;   in Loop: Header=BB16_106 Depth=1
	s_or_b64 exec, exec, s[4:5]
.LBB16_105:                             ;   in Loop: Header=BB16_106 Depth=1
	s_or_b64 exec, exec, s[0:1]
	v_and_b32_sdwa v21, v21, s11 dst_sel:DWORD dst_unused:UNUSED_PAD src0_sel:BYTE_3 src1_sel:DWORD
	v_lshrrev_b32_e32 v5, 24, v5
	v_and_b32_sdwa v4, v4, s11 dst_sel:DWORD dst_unused:UNUSED_PAD src0_sel:BYTE_3 src1_sel:DWORD
	v_and_or_b32 v5, v5, s11, v20
	v_and_or_b32 v20, v22, s12, v21
	v_and_b32_sdwa v19, v19, s11 dst_sel:DWORD dst_unused:UNUSED_PAD src0_sel:BYTE_3 src1_sel:DWORD
	v_lshlrev_b32_e32 v5, 24, v5
	v_lshlrev_b32_e32 v20, 16, v20
	v_and_or_b32 v4, v17, s12, v4
	v_and_b32_sdwa v16, v16, s11 dst_sel:DWORD dst_unused:UNUSED_PAD src0_sel:BYTE_3 src1_sel:DWORD
	v_or_b32_e32 v5, v5, v20
	v_lshlrev_b32_e32 v4, 8, v4
	v_and_or_b32 v17, v18, s12, v19
	v_and_b32_sdwa v2, v2, s11 dst_sel:DWORD dst_unused:UNUSED_PAD src0_sel:BYTE_3 src1_sel:DWORD
	v_or3_b32 v5, v5, v4, v17
	v_lshlrev_b32_e32 v4, 24, v14
	v_and_or_b32 v14, v15, s12, v16
	v_and_b32_sdwa v13, v13, s11 dst_sel:DWORD dst_unused:UNUSED_PAD src0_sel:BYTE_3 src1_sel:DWORD
	v_and_b32_e32 v3, 0x80000000, v3
	v_lshlrev_b32_e32 v14, 16, v14
	v_and_or_b32 v2, v11, s12, v2
	v_lshlrev_b32_e32 v2, 8, v2
	v_or3_b32 v3, v4, v3, v14
	v_and_or_b32 v4, v12, s12, v13
	v_or3_b32 v4, v3, v2, v4
	v_add_u32_e32 v8, 16, v8
	global_store_dwordx2 v[6:7], v[4:5], off
	v_add_co_u32_e32 v6, vcc, 0x80, v6
	v_cmp_le_i32_e64 s[0:1], s6, v8
	v_add_u32_e32 v1, 0x100, v1
	s_or_b64 s[2:3], s[0:1], s[2:3]
	v_addc_co_u32_e32 v7, vcc, 0, v7, vcc
	s_andn2_b64 exec, exec, s[2:3]
	s_cbranch_execz .LBB16_153
.LBB16_106:                             ; =>This Inner Loop Header: Depth=1
	ds_read_b128 v[2:5], v1
	v_mov_b32_e32 v11, 0x7f
	s_waitcnt lgkmcnt(0)
	v_cvt_f32_f16_e32 v12, v2
	v_div_scale_f32 v13, s[0:1], v0, v0, v12
	v_rcp_f32_e32 v14, v13
	v_div_scale_f32 v15, vcc, v12, v0, v12
	v_fma_f32 v16, -v13, v14, 1.0
	v_fmac_f32_e32 v14, v16, v14
	v_mul_f32_e32 v16, v15, v14
	v_fma_f32 v17, -v13, v16, v15
	v_fmac_f32_e32 v16, v17, v14
	v_fma_f32 v13, -v13, v16, v15
	v_div_fmas_f32 v13, v13, v14, v16
	v_div_fixup_f32 v12, v13, v0, v12
	v_max_f32_e32 v12, v12, v9
	v_min_f32_e32 v13, v12, v10
	v_and_b32_e32 v14, 0x7fffffff, v13
	v_cmp_gt_u32_e32 vcc, s7, v14
	v_mov_b32_e32 v12, 0x7f
	s_and_saveexec_b64 s[0:1], vcc
	s_cbranch_execz .LBB16_112
; %bb.107:                              ;   in Loop: Header=BB16_106 Depth=1
	v_cmp_lt_u32_e32 vcc, s8, v14
                                        ; implicit-def: $vgpr12
	s_and_saveexec_b64 s[4:5], vcc
	s_xor_b64 s[4:5], exec, s[4:5]
; %bb.108:                              ;   in Loop: Header=BB16_106 Depth=1
	v_bfe_u32 v12, v13, 20, 1
	v_add3_u32 v12, v13, v12, s9
	v_lshrrev_b32_e32 v12, 20, v12
; %bb.109:                              ;   in Loop: Header=BB16_106 Depth=1
	s_andn2_saveexec_b64 s[4:5], s[4:5]
; %bb.110:                              ;   in Loop: Header=BB16_106 Depth=1
	v_add_f32_e64 v12, |v13|, s10
; %bb.111:                              ;   in Loop: Header=BB16_106 Depth=1
	s_or_b64 exec, exec, s[4:5]
.LBB16_112:                             ;   in Loop: Header=BB16_106 Depth=1
	s_or_b64 exec, exec, s[0:1]
	v_cvt_f32_f16_sdwa v2, v2 dst_sel:DWORD dst_unused:UNUSED_PAD src0_sel:WORD_1
	v_div_scale_f32 v14, s[0:1], v0, v0, v2
	v_rcp_f32_e32 v15, v14
	v_div_scale_f32 v16, vcc, v2, v0, v2
	v_fma_f32 v17, -v14, v15, 1.0
	v_fmac_f32_e32 v15, v17, v15
	v_mul_f32_e32 v17, v16, v15
	v_fma_f32 v18, -v14, v17, v16
	v_fmac_f32_e32 v17, v18, v15
	v_fma_f32 v14, -v14, v17, v16
	v_div_fmas_f32 v14, v14, v15, v17
	v_div_fixup_f32 v2, v14, v0, v2
	v_max_f32_e32 v2, v2, v9
	v_min_f32_e32 v2, v2, v10
	v_and_b32_e32 v14, 0x7fffffff, v2
	v_cmp_gt_u32_e32 vcc, s7, v14
	s_and_saveexec_b64 s[0:1], vcc
	s_cbranch_execz .LBB16_118
; %bb.113:                              ;   in Loop: Header=BB16_106 Depth=1
	v_cmp_lt_u32_e32 vcc, s8, v14
                                        ; implicit-def: $vgpr11
	s_and_saveexec_b64 s[4:5], vcc
	s_xor_b64 s[4:5], exec, s[4:5]
; %bb.114:                              ;   in Loop: Header=BB16_106 Depth=1
	v_bfe_u32 v11, v2, 20, 1
	v_add3_u32 v11, v2, v11, s9
	v_lshrrev_b32_e32 v11, 20, v11
; %bb.115:                              ;   in Loop: Header=BB16_106 Depth=1
	s_andn2_saveexec_b64 s[4:5], s[4:5]
; %bb.116:                              ;   in Loop: Header=BB16_106 Depth=1
	v_add_f32_e64 v11, |v2|, s10
; %bb.117:                              ;   in Loop: Header=BB16_106 Depth=1
	s_or_b64 exec, exec, s[4:5]
.LBB16_118:                             ;   in Loop: Header=BB16_106 Depth=1
	s_or_b64 exec, exec, s[0:1]
	v_cvt_f32_f16_e32 v15, v3
	v_mov_b32_e32 v14, 0x7f
	v_div_scale_f32 v16, s[0:1], v0, v0, v15
	v_rcp_f32_e32 v17, v16
	v_div_scale_f32 v18, vcc, v15, v0, v15
	v_fma_f32 v19, -v16, v17, 1.0
	v_fmac_f32_e32 v17, v19, v17
	v_mul_f32_e32 v19, v18, v17
	v_fma_f32 v20, -v16, v19, v18
	v_fmac_f32_e32 v19, v20, v17
	v_fma_f32 v16, -v16, v19, v18
	v_div_fmas_f32 v16, v16, v17, v19
	v_div_fixup_f32 v15, v16, v0, v15
	v_max_f32_e32 v15, v15, v9
	v_min_f32_e32 v16, v15, v10
	v_and_b32_e32 v17, 0x7fffffff, v16
	v_cmp_gt_u32_e32 vcc, s7, v17
	v_mov_b32_e32 v15, 0x7f
	s_and_saveexec_b64 s[0:1], vcc
	s_cbranch_execz .LBB16_124
; %bb.119:                              ;   in Loop: Header=BB16_106 Depth=1
	v_cmp_lt_u32_e32 vcc, s8, v17
                                        ; implicit-def: $vgpr15
	s_and_saveexec_b64 s[4:5], vcc
	s_xor_b64 s[4:5], exec, s[4:5]
; %bb.120:                              ;   in Loop: Header=BB16_106 Depth=1
	v_bfe_u32 v15, v16, 20, 1
	v_add3_u32 v15, v16, v15, s9
	v_lshrrev_b32_e32 v15, 20, v15
; %bb.121:                              ;   in Loop: Header=BB16_106 Depth=1
	s_andn2_saveexec_b64 s[4:5], s[4:5]
; %bb.122:                              ;   in Loop: Header=BB16_106 Depth=1
	v_add_f32_e64 v15, |v16|, s10
; %bb.123:                              ;   in Loop: Header=BB16_106 Depth=1
	s_or_b64 exec, exec, s[4:5]
.LBB16_124:                             ;   in Loop: Header=BB16_106 Depth=1
	s_or_b64 exec, exec, s[0:1]
	v_cvt_f32_f16_sdwa v3, v3 dst_sel:DWORD dst_unused:UNUSED_PAD src0_sel:WORD_1
	v_div_scale_f32 v17, s[0:1], v0, v0, v3
	v_rcp_f32_e32 v18, v17
	v_div_scale_f32 v19, vcc, v3, v0, v3
	v_fma_f32 v20, -v17, v18, 1.0
	v_fmac_f32_e32 v18, v20, v18
	v_mul_f32_e32 v20, v19, v18
	v_fma_f32 v21, -v17, v20, v19
	v_fmac_f32_e32 v20, v21, v18
	v_fma_f32 v17, -v17, v20, v19
	v_div_fmas_f32 v17, v17, v18, v20
	v_div_fixup_f32 v3, v17, v0, v3
	v_max_f32_e32 v3, v3, v9
	v_min_f32_e32 v3, v3, v10
	v_and_b32_e32 v17, 0x7fffffff, v3
	v_cmp_gt_u32_e32 vcc, s7, v17
	s_and_saveexec_b64 s[0:1], vcc
	s_cbranch_execz .LBB16_130
; %bb.125:                              ;   in Loop: Header=BB16_106 Depth=1
	v_cmp_lt_u32_e32 vcc, s8, v17
                                        ; implicit-def: $vgpr14
	s_and_saveexec_b64 s[4:5], vcc
	s_xor_b64 s[4:5], exec, s[4:5]
; %bb.126:                              ;   in Loop: Header=BB16_106 Depth=1
	v_bfe_u32 v14, v3, 20, 1
	v_add3_u32 v14, v3, v14, s9
	v_lshrrev_b32_e32 v14, 20, v14
; %bb.127:                              ;   in Loop: Header=BB16_106 Depth=1
	s_andn2_saveexec_b64 s[4:5], s[4:5]
; %bb.128:                              ;   in Loop: Header=BB16_106 Depth=1
	v_add_f32_e64 v14, |v3|, s10
; %bb.129:                              ;   in Loop: Header=BB16_106 Depth=1
	s_or_b64 exec, exec, s[4:5]
.LBB16_130:                             ;   in Loop: Header=BB16_106 Depth=1
	s_or_b64 exec, exec, s[0:1]
	v_cvt_f32_f16_e32 v18, v4
	v_mov_b32_e32 v17, 0x7f
	v_div_scale_f32 v19, s[0:1], v0, v0, v18
	v_rcp_f32_e32 v20, v19
	v_div_scale_f32 v21, vcc, v18, v0, v18
	v_fma_f32 v22, -v19, v20, 1.0
	v_fmac_f32_e32 v20, v22, v20
	v_mul_f32_e32 v22, v21, v20
	v_fma_f32 v23, -v19, v22, v21
	v_fmac_f32_e32 v22, v23, v20
	v_fma_f32 v19, -v19, v22, v21
	v_div_fmas_f32 v19, v19, v20, v22
	v_div_fixup_f32 v18, v19, v0, v18
	v_max_f32_e32 v18, v18, v9
	v_min_f32_e32 v19, v18, v10
	v_and_b32_e32 v20, 0x7fffffff, v19
	v_cmp_gt_u32_e32 vcc, s7, v20
	v_mov_b32_e32 v18, 0x7f
	s_and_saveexec_b64 s[0:1], vcc
	s_cbranch_execz .LBB16_136
; %bb.131:                              ;   in Loop: Header=BB16_106 Depth=1
	v_cmp_lt_u32_e32 vcc, s8, v20
                                        ; implicit-def: $vgpr18
	s_and_saveexec_b64 s[4:5], vcc
	s_xor_b64 s[4:5], exec, s[4:5]
; %bb.132:                              ;   in Loop: Header=BB16_106 Depth=1
	v_bfe_u32 v18, v19, 20, 1
	v_add3_u32 v18, v19, v18, s9
	v_lshrrev_b32_e32 v18, 20, v18
; %bb.133:                              ;   in Loop: Header=BB16_106 Depth=1
	s_andn2_saveexec_b64 s[4:5], s[4:5]
; %bb.134:                              ;   in Loop: Header=BB16_106 Depth=1
	v_add_f32_e64 v18, |v19|, s10
; %bb.135:                              ;   in Loop: Header=BB16_106 Depth=1
	s_or_b64 exec, exec, s[4:5]
.LBB16_136:                             ;   in Loop: Header=BB16_106 Depth=1
	s_or_b64 exec, exec, s[0:1]
	v_cvt_f32_f16_sdwa v4, v4 dst_sel:DWORD dst_unused:UNUSED_PAD src0_sel:WORD_1
	v_div_scale_f32 v20, s[0:1], v0, v0, v4
	v_rcp_f32_e32 v21, v20
	v_div_scale_f32 v22, vcc, v4, v0, v4
	v_fma_f32 v23, -v20, v21, 1.0
	v_fmac_f32_e32 v21, v23, v21
	v_mul_f32_e32 v23, v22, v21
	v_fma_f32 v24, -v20, v23, v22
	v_fmac_f32_e32 v23, v24, v21
	v_fma_f32 v20, -v20, v23, v22
	v_div_fmas_f32 v20, v20, v21, v23
	v_div_fixup_f32 v4, v20, v0, v4
	v_max_f32_e32 v4, v4, v9
	v_min_f32_e32 v4, v4, v10
	v_and_b32_e32 v20, 0x7fffffff, v4
	v_cmp_gt_u32_e32 vcc, s7, v20
	s_and_saveexec_b64 s[0:1], vcc
	s_cbranch_execz .LBB16_142
; %bb.137:                              ;   in Loop: Header=BB16_106 Depth=1
	v_cmp_lt_u32_e32 vcc, s8, v20
                                        ; implicit-def: $vgpr17
	s_and_saveexec_b64 s[4:5], vcc
	s_xor_b64 s[4:5], exec, s[4:5]
; %bb.138:                              ;   in Loop: Header=BB16_106 Depth=1
	v_bfe_u32 v17, v4, 20, 1
	v_add3_u32 v17, v4, v17, s9
	v_lshrrev_b32_e32 v17, 20, v17
; %bb.139:                              ;   in Loop: Header=BB16_106 Depth=1
	s_andn2_saveexec_b64 s[4:5], s[4:5]
; %bb.140:                              ;   in Loop: Header=BB16_106 Depth=1
	v_add_f32_e64 v17, |v4|, s10
; %bb.141:                              ;   in Loop: Header=BB16_106 Depth=1
	s_or_b64 exec, exec, s[4:5]
.LBB16_142:                             ;   in Loop: Header=BB16_106 Depth=1
	s_or_b64 exec, exec, s[0:1]
	v_cvt_f32_f16_e32 v21, v5
	v_mov_b32_e32 v20, 0x7f
	v_div_scale_f32 v22, s[0:1], v0, v0, v21
	v_rcp_f32_e32 v23, v22
	v_div_scale_f32 v24, vcc, v21, v0, v21
	v_fma_f32 v25, -v22, v23, 1.0
	v_fmac_f32_e32 v23, v25, v23
	v_mul_f32_e32 v25, v24, v23
	v_fma_f32 v26, -v22, v25, v24
	v_fmac_f32_e32 v25, v26, v23
	v_fma_f32 v22, -v22, v25, v24
	v_div_fmas_f32 v22, v22, v23, v25
	v_div_fixup_f32 v21, v22, v0, v21
	v_max_f32_e32 v21, v21, v9
	v_min_f32_e32 v21, v21, v10
	v_and_b32_e32 v23, 0x7fffffff, v21
	v_cmp_gt_u32_e32 vcc, s7, v23
	v_mov_b32_e32 v22, 0x7f
	s_and_saveexec_b64 s[0:1], vcc
	s_cbranch_execz .LBB16_148
; %bb.143:                              ;   in Loop: Header=BB16_106 Depth=1
	v_cmp_lt_u32_e32 vcc, s8, v23
                                        ; implicit-def: $vgpr22
	s_and_saveexec_b64 s[4:5], vcc
	s_xor_b64 s[4:5], exec, s[4:5]
; %bb.144:                              ;   in Loop: Header=BB16_106 Depth=1
	v_bfe_u32 v22, v21, 20, 1
	v_add3_u32 v22, v21, v22, s9
	v_lshrrev_b32_e32 v22, 20, v22
; %bb.145:                              ;   in Loop: Header=BB16_106 Depth=1
	s_andn2_saveexec_b64 s[4:5], s[4:5]
; %bb.146:                              ;   in Loop: Header=BB16_106 Depth=1
	v_add_f32_e64 v22, |v21|, s10
; %bb.147:                              ;   in Loop: Header=BB16_106 Depth=1
	s_or_b64 exec, exec, s[4:5]
.LBB16_148:                             ;   in Loop: Header=BB16_106 Depth=1
	s_or_b64 exec, exec, s[0:1]
	v_cvt_f32_f16_sdwa v5, v5 dst_sel:DWORD dst_unused:UNUSED_PAD src0_sel:WORD_1
	v_div_scale_f32 v23, s[0:1], v0, v0, v5
	v_rcp_f32_e32 v24, v23
	v_div_scale_f32 v25, vcc, v5, v0, v5
	v_fma_f32 v26, -v23, v24, 1.0
	v_fmac_f32_e32 v24, v26, v24
	v_mul_f32_e32 v26, v25, v24
	v_fma_f32 v27, -v23, v26, v25
	v_fmac_f32_e32 v26, v27, v24
	v_fma_f32 v23, -v23, v26, v25
	v_div_fmas_f32 v23, v23, v24, v26
	v_div_fixup_f32 v5, v23, v0, v5
	v_max_f32_e32 v5, v5, v9
	v_min_f32_e32 v5, v5, v10
	v_and_b32_e32 v23, 0x7fffffff, v5
	v_cmp_gt_u32_e32 vcc, s7, v23
	s_and_saveexec_b64 s[0:1], vcc
	s_cbranch_execz .LBB16_105
; %bb.149:                              ;   in Loop: Header=BB16_106 Depth=1
	v_cmp_lt_u32_e32 vcc, s8, v23
                                        ; implicit-def: $vgpr20
	s_and_saveexec_b64 s[4:5], vcc
	s_xor_b64 s[4:5], exec, s[4:5]
; %bb.150:                              ;   in Loop: Header=BB16_106 Depth=1
	v_bfe_u32 v20, v5, 20, 1
	v_add3_u32 v20, v5, v20, s9
	v_lshrrev_b32_e32 v20, 20, v20
; %bb.151:                              ;   in Loop: Header=BB16_106 Depth=1
	s_andn2_saveexec_b64 s[4:5], s[4:5]
	s_cbranch_execz .LBB16_104
; %bb.152:                              ;   in Loop: Header=BB16_106 Depth=1
	v_add_f32_e64 v20, |v5|, s10
	s_branch .LBB16_104
.LBB16_153:
	s_endpgm
	.section	.rodata,"a",@progbits
	.p2align	6, 0x0
	.amdhsa_kernel _Z33per_token_group_quant_8bit_kernelIN3c104HalfENS0_13Float8_e4m3fnELb1ELb1EfEvPKT_PvPT3_iiifffii
		.amdhsa_group_segment_fixed_size 0
		.amdhsa_private_segment_fixed_size 0
		.amdhsa_kernarg_size 56
		.amdhsa_user_sgpr_count 6
		.amdhsa_user_sgpr_private_segment_buffer 1
		.amdhsa_user_sgpr_dispatch_ptr 0
		.amdhsa_user_sgpr_queue_ptr 0
		.amdhsa_user_sgpr_kernarg_segment_ptr 1
		.amdhsa_user_sgpr_dispatch_id 0
		.amdhsa_user_sgpr_flat_scratch_init 0
		.amdhsa_user_sgpr_kernarg_preload_length 0
		.amdhsa_user_sgpr_kernarg_preload_offset 0
		.amdhsa_user_sgpr_private_segment_size 0
		.amdhsa_uses_dynamic_stack 0
		.amdhsa_system_sgpr_private_segment_wavefront_offset 0
		.amdhsa_system_sgpr_workgroup_id_x 1
		.amdhsa_system_sgpr_workgroup_id_y 0
		.amdhsa_system_sgpr_workgroup_id_z 0
		.amdhsa_system_sgpr_workgroup_info 0
		.amdhsa_system_vgpr_workitem_id 0
		.amdhsa_next_free_vgpr 60
		.amdhsa_next_free_sgpr 26
		.amdhsa_accum_offset 60
		.amdhsa_reserve_vcc 1
		.amdhsa_reserve_flat_scratch 0
		.amdhsa_float_round_mode_32 0
		.amdhsa_float_round_mode_16_64 0
		.amdhsa_float_denorm_mode_32 3
		.amdhsa_float_denorm_mode_16_64 3
		.amdhsa_dx10_clamp 1
		.amdhsa_ieee_mode 1
		.amdhsa_fp16_overflow 0
		.amdhsa_tg_split 0
		.amdhsa_exception_fp_ieee_invalid_op 0
		.amdhsa_exception_fp_denorm_src 0
		.amdhsa_exception_fp_ieee_div_zero 0
		.amdhsa_exception_fp_ieee_overflow 0
		.amdhsa_exception_fp_ieee_underflow 0
		.amdhsa_exception_fp_ieee_inexact 0
		.amdhsa_exception_int_div_zero 0
	.end_amdhsa_kernel
	.section	.text._Z33per_token_group_quant_8bit_kernelIN3c104HalfENS0_13Float8_e4m3fnELb1ELb1EfEvPKT_PvPT3_iiifffii,"axG",@progbits,_Z33per_token_group_quant_8bit_kernelIN3c104HalfENS0_13Float8_e4m3fnELb1ELb1EfEvPKT_PvPT3_iiifffii,comdat
.Lfunc_end16:
	.size	_Z33per_token_group_quant_8bit_kernelIN3c104HalfENS0_13Float8_e4m3fnELb1ELb1EfEvPKT_PvPT3_iiifffii, .Lfunc_end16-_Z33per_token_group_quant_8bit_kernelIN3c104HalfENS0_13Float8_e4m3fnELb1ELb1EfEvPKT_PvPT3_iiifffii
                                        ; -- End function
	.section	.AMDGPU.csdata,"",@progbits
; Kernel info:
; codeLenInByte = 7528
; NumSgprs: 30
; NumVgprs: 60
; NumAgprs: 0
; TotalNumVgprs: 60
; ScratchSize: 0
; MemoryBound: 0
; FloatMode: 240
; IeeeMode: 1
; LDSByteSize: 0 bytes/workgroup (compile time only)
; SGPRBlocks: 3
; VGPRBlocks: 7
; NumSGPRsForWavesPerEU: 30
; NumVGPRsForWavesPerEU: 60
; AccumOffset: 60
; Occupancy: 8
; WaveLimiterHint : 0
; COMPUTE_PGM_RSRC2:SCRATCH_EN: 0
; COMPUTE_PGM_RSRC2:USER_SGPR: 6
; COMPUTE_PGM_RSRC2:TRAP_HANDLER: 0
; COMPUTE_PGM_RSRC2:TGID_X_EN: 1
; COMPUTE_PGM_RSRC2:TGID_Y_EN: 0
; COMPUTE_PGM_RSRC2:TGID_Z_EN: 0
; COMPUTE_PGM_RSRC2:TIDIG_COMP_CNT: 0
; COMPUTE_PGM_RSRC3_GFX90A:ACCUM_OFFSET: 14
; COMPUTE_PGM_RSRC3_GFX90A:TG_SPLIT: 0
	.section	.text._Z33per_token_group_quant_8bit_kernelIN3c104HalfENS0_13Float8_e4m3fnELb1ELb0EfEvPKT_PvPT3_iiifffii,"axG",@progbits,_Z33per_token_group_quant_8bit_kernelIN3c104HalfENS0_13Float8_e4m3fnELb1ELb0EfEvPKT_PvPT3_iiifffii,comdat
	.protected	_Z33per_token_group_quant_8bit_kernelIN3c104HalfENS0_13Float8_e4m3fnELb1ELb0EfEvPKT_PvPT3_iiifffii ; -- Begin function _Z33per_token_group_quant_8bit_kernelIN3c104HalfENS0_13Float8_e4m3fnELb1ELb0EfEvPKT_PvPT3_iiifffii
	.globl	_Z33per_token_group_quant_8bit_kernelIN3c104HalfENS0_13Float8_e4m3fnELb1ELb0EfEvPKT_PvPT3_iiifffii
	.p2align	8
	.type	_Z33per_token_group_quant_8bit_kernelIN3c104HalfENS0_13Float8_e4m3fnELb1ELb0EfEvPKT_PvPT3_iiifffii,@function
_Z33per_token_group_quant_8bit_kernelIN3c104HalfENS0_13Float8_e4m3fnELb1ELb0EfEvPKT_PvPT3_iiifffii: ; @_Z33per_token_group_quant_8bit_kernelIN3c104HalfENS0_13Float8_e4m3fnELb1ELb0EfEvPKT_PvPT3_iiifffii
; %bb.0:
	s_load_dword s21, s[4:5], 0x18
	s_load_dwordx2 s[0:1], s[4:5], 0x0
	s_load_dwordx4 s[8:11], s[4:5], 0x20
	s_load_dwordx2 s[2:3], s[4:5], 0x30
	v_lshrrev_b32_e32 v2, 4, v0
	s_waitcnt lgkmcnt(0)
	s_ashr_i32 s12, s21, 31
	v_and_b32_e32 v8, 15, v0
	s_mul_i32 s6, s6, s8
	v_add_co_u32_e32 v7, vcc, s6, v2
	v_addc_co_u32_e64 v10, s[6:7], 0, 0, vcc
	v_mul_lo_u32 v0, v10, s21
	v_mul_lo_u32 v1, v7, s12
	v_mad_u64_u32 v[12:13], s[6:7], v7, s21, 0
	v_add3_u32 v13, v13, v1, v0
	v_lshlrev_b64 v[0:1], 1, v[12:13]
	s_and_b32 s8, s21, 7
	v_mov_b32_e32 v4, s1
	v_add_co_u32_e32 v3, vcc, s0, v0
	s_cmp_eq_u32 s8, 0
	v_addc_co_u32_e32 v4, vcc, v4, v1, vcc
	v_mov_b32_e32 v15, 0
	v_and_b32_e32 v14, 15, v3
	s_cselect_b64 s[6:7], -1, 0
	s_cmp_lg_u32 s8, 0
	v_mul_lo_u32 v9, v2, s21
	v_cmp_ne_u64_e32 vcc, 0, v[14:15]
	s_cselect_b64 s[12:13], -1, 0
	v_lshl_add_u32 v6, v9, 1, 0
	s_or_b64 s[12:13], s[12:13], vcc
                                        ; implicit-def: $vgpr11
	s_and_saveexec_b64 s[14:15], s[12:13]
	s_xor_b64 s[12:13], exec, s[14:15]
	s_cbranch_execz .LBB17_12
; %bb.1:
	v_sub_u32_e32 v2, 0, v3
	v_bfe_u32 v2, v2, 1, 3
	v_min_i32_e32 v2, s21, v2
	v_cmp_gt_i32_e32 vcc, v2, v8
	v_mov_b32_e32 v11, s9
	s_and_saveexec_b64 s[14:15], vcc
	s_cbranch_execz .LBB17_3
; %bb.2:
	v_lshlrev_b32_e32 v5, 1, v8
	v_add_co_u32_e32 v14, vcc, v3, v5
	v_addc_co_u32_e32 v15, vcc, 0, v4, vcc
	global_load_ushort v3, v[14:15], off
	v_max_f32_e64 v11, s9, s9
	v_add_u32_e32 v5, v6, v5
	s_waitcnt vmcnt(0)
	v_cvt_f32_f16_e64 v4, |v3|
	ds_write_b16 v5, v3
	v_max_f32_e32 v11, v11, v4
.LBB17_3:
	s_or_b64 exec, exec, s[14:15]
	v_sub_u32_e32 v14, s21, v2
	v_ashrrev_i32_e32 v4, 31, v14
	v_lshrrev_b32_e32 v4, 29, v4
	v_add_u32_e32 v4, v14, v4
	v_ashrrev_i32_e32 v3, 31, v2
	v_ashrrev_i32_e32 v15, 3, v4
	v_cmp_gt_i32_e32 vcc, v15, v8
	v_lshlrev_b32_e32 v16, 1, v2
	v_lshlrev_b64 v[2:3], 1, v[2:3]
	s_and_saveexec_b64 s[14:15], vcc
	s_cbranch_execz .LBB17_7
; %bb.4:
	v_lshlrev_b32_e32 v4, 4, v8
	v_lshl_add_u32 v5, v9, 1, v4
	v_add_co_u32_e32 v4, vcc, v0, v4
	v_add3_u32 v17, v5, v16, 0
	v_addc_co_u32_e32 v5, vcc, 0, v1, vcc
	v_add_co_u32_e32 v4, vcc, v4, v2
	v_addc_co_u32_e32 v5, vcc, v5, v3, vcc
	v_mov_b32_e32 v18, s1
	v_add_co_u32_e32 v4, vcc, s0, v4
	v_addc_co_u32_e32 v5, vcc, v5, v18, vcc
	v_add_co_u32_e32 v4, vcc, 8, v4
	v_addc_co_u32_e32 v5, vcc, 0, v5, vcc
	s_mov_b64 s[16:17], 0
	v_mov_b32_e32 v18, v8
.LBB17_5:                               ; =>This Inner Loop Header: Depth=1
	global_load_dwordx4 v[20:23], v[4:5], off offset:-8
	v_add_co_u32_e32 v4, vcc, 0x100, v4
	v_add_u32_e32 v18, 16, v18
	v_addc_co_u32_e32 v5, vcc, 0, v5, vcc
	v_cmp_ge_i32_e32 vcc, v18, v15
	s_or_b64 s[16:17], vcc, s[16:17]
	s_waitcnt vmcnt(0)
	v_cvt_f32_f16_e64 v19, |v20|
	v_cvt_f32_f16_sdwa v24, |v20| dst_sel:DWORD dst_unused:UNUSED_PAD src0_sel:WORD_1
	v_cvt_f32_f16_e64 v25, |v21|
	v_cvt_f32_f16_sdwa v26, |v21| dst_sel:DWORD dst_unused:UNUSED_PAD src0_sel:WORD_1
	;; [unrolled: 2-line block ×4, first 2 shown]
	v_max3_f32 v11, v11, v19, v24
	v_max3_f32 v11, v11, v25, v26
	;; [unrolled: 1-line block ×3, first 2 shown]
	ds_write_b128 v17, v[20:23]
	v_add_u32_e32 v17, 0x100, v17
	v_max3_f32 v11, v11, v29, v30
	s_andn2_b64 exec, exec, s[16:17]
	s_cbranch_execnz .LBB17_5
; %bb.6:
	s_or_b64 exec, exec, s[16:17]
.LBB17_7:
	s_or_b64 exec, exec, s[14:15]
	v_lshl_add_u32 v4, v15, 3, v8
	v_cmp_lt_i32_e32 vcc, v4, v14
	s_and_saveexec_b64 s[14:15], vcc
	s_cbranch_execz .LBB17_11
; %bb.8:
	v_lshlrev_b32_e32 v5, 1, v9
	v_lshlrev_b32_e32 v15, 4, v15
	v_add3_u32 v5, v5, v15, v16
	v_lshlrev_b32_e32 v15, 1, v8
	v_add3_u32 v15, v5, v15, 0
	v_add_co_u32_e32 v2, vcc, v0, v2
	v_ashrrev_i32_e32 v5, 31, v4
	v_addc_co_u32_e32 v3, vcc, v1, v3, vcc
	v_lshlrev_b64 v[0:1], 1, v[4:5]
	v_add_co_u32_e32 v0, vcc, v2, v0
	v_addc_co_u32_e32 v1, vcc, v3, v1, vcc
	v_mov_b32_e32 v2, s1
	v_add_co_u32_e32 v0, vcc, s0, v0
	v_addc_co_u32_e32 v1, vcc, v2, v1, vcc
	s_mov_b64 s[16:17], 0
.LBB17_9:                               ; =>This Inner Loop Header: Depth=1
	global_load_ushort v2, v[0:1], off
	v_add_co_u32_e32 v0, vcc, 32, v0
	v_add_u32_e32 v4, 16, v4
	v_addc_co_u32_e32 v1, vcc, 0, v1, vcc
	v_max_f32_e32 v3, v11, v11
	v_cmp_ge_i32_e32 vcc, v4, v14
	s_or_b64 s[16:17], vcc, s[16:17]
	s_waitcnt vmcnt(0)
	v_cvt_f32_f16_e64 v5, |v2|
	ds_write_b16 v15, v2
	v_add_u32_e32 v15, 32, v15
	v_max_f32_e32 v11, v3, v5
	s_andn2_b64 exec, exec, s[16:17]
	s_cbranch_execnz .LBB17_9
; %bb.10:
	s_or_b64 exec, exec, s[16:17]
.LBB17_11:
	s_or_b64 exec, exec, s[14:15]
                                        ; implicit-def: $vgpr0_vgpr1
.LBB17_12:
	s_andn2_saveexec_b64 s[12:13], s[12:13]
	s_cbranch_execz .LBB17_18
; %bb.13:
	s_ashr_i32 s8, s21, 3
	v_cmp_gt_i32_e32 vcc, s8, v8
	v_mov_b32_e32 v11, s9
	s_and_saveexec_b64 s[14:15], vcc
	s_cbranch_execz .LBB17_17
; %bb.14:
	v_lshlrev_b32_e32 v3, 4, v8
	v_add_co_u32_e32 v0, vcc, v0, v3
	v_lshlrev_b32_e32 v2, 1, v9
	v_addc_co_u32_e32 v1, vcc, 0, v1, vcc
	v_add3_u32 v2, v2, v3, 0
	v_mov_b32_e32 v3, s1
	v_add_co_u32_e32 v0, vcc, s0, v0
	v_addc_co_u32_e32 v1, vcc, v1, v3, vcc
	v_add_co_u32_e32 v0, vcc, 8, v0
	v_addc_co_u32_e32 v1, vcc, 0, v1, vcc
	s_mov_b64 s[0:1], 0
	v_mov_b32_e32 v11, s9
	v_mov_b32_e32 v3, v8
.LBB17_15:                              ; =>This Inner Loop Header: Depth=1
	global_load_dwordx4 v[14:17], v[0:1], off offset:-8
	v_add_co_u32_e32 v0, vcc, 0x100, v0
	v_add_u32_e32 v3, 16, v3
	v_addc_co_u32_e32 v1, vcc, 0, v1, vcc
	v_cmp_le_i32_e32 vcc, s8, v3
	s_or_b64 s[0:1], vcc, s[0:1]
	s_waitcnt vmcnt(0)
	v_cvt_f32_f16_e64 v4, |v14|
	v_cvt_f32_f16_sdwa v5, |v14| dst_sel:DWORD dst_unused:UNUSED_PAD src0_sel:WORD_1
	v_cvt_f32_f16_e64 v18, |v15|
	v_cvt_f32_f16_sdwa v19, |v15| dst_sel:DWORD dst_unused:UNUSED_PAD src0_sel:WORD_1
	;; [unrolled: 2-line block ×4, first 2 shown]
	v_max3_f32 v4, v11, v4, v5
	v_max3_f32 v4, v4, v18, v19
	;; [unrolled: 1-line block ×3, first 2 shown]
	ds_write_b128 v2, v[14:17]
	v_add_u32_e32 v2, 0x100, v2
	v_max3_f32 v11, v4, v22, v23
	s_andn2_b64 exec, exec, s[0:1]
	s_cbranch_execnz .LBB17_15
; %bb.16:
	s_or_b64 exec, exec, s[0:1]
.LBB17_17:
	s_or_b64 exec, exec, s[14:15]
.LBB17_18:
	s_or_b64 exec, exec, s[12:13]
	v_mbcnt_lo_u32_b32 v0, -1, 0
	v_mbcnt_hi_u32_b32 v0, -1, v0
	v_and_b32_e32 v2, 0x70, v0
	v_xor_b32_e32 v1, 8, v0
	v_add_u32_e32 v2, 16, v2
	v_cmp_lt_i32_e32 vcc, v1, v2
	v_cndmask_b32_e32 v1, v0, v1, vcc
	v_lshlrev_b32_e32 v1, 2, v1
	ds_bpermute_b32 v1, v1, v11
	v_xor_b32_e32 v4, 4, v0
	v_max_f32_e32 v3, v11, v11
	v_cmp_lt_i32_e32 vcc, v4, v2
	s_load_dwordx2 s[8:9], s[4:5], 0x8
	s_waitcnt lgkmcnt(0)
	v_max_f32_e32 v1, v1, v1
	v_max_f32_e32 v1, v3, v1
	v_cndmask_b32_e32 v3, v0, v4, vcc
	v_lshlrev_b32_e32 v3, 2, v3
	ds_bpermute_b32 v3, v3, v1
	v_xor_b32_e32 v4, 2, v0
	v_cmp_lt_i32_e32 vcc, v4, v2
	s_waitcnt lgkmcnt(0)
	v_max_f32_e32 v3, v3, v3
	v_max_f32_e32 v1, v1, v3
	v_cndmask_b32_e32 v3, v0, v4, vcc
	v_lshlrev_b32_e32 v3, 2, v3
	ds_bpermute_b32 v3, v3, v1
	v_xor_b32_e32 v4, 1, v0
	v_cmp_lt_i32_e32 vcc, v4, v2
	v_cndmask_b32_e32 v0, v0, v4, vcc
	v_lshlrev_b32_e32 v0, 2, v0
	s_waitcnt lgkmcnt(0)
	v_max_f32_e32 v3, v3, v3
	v_max_f32_e32 v1, v1, v3
	ds_bpermute_b32 v0, v0, v1
	s_waitcnt lgkmcnt(0)
	v_max_f32_e32 v0, v0, v0
	v_max_f32_e32 v0, v1, v0
	v_div_scale_f32 v1, s[0:1], s11, s11, v0
	v_rcp_f32_e32 v2, v1
	v_div_scale_f32 v3, vcc, v0, s11, v0
	v_fma_f32 v4, -v1, v2, 1.0
	v_fmac_f32_e32 v2, v4, v2
	v_mul_f32_e32 v4, v3, v2
	v_fma_f32 v5, -v1, v4, v3
	v_fmac_f32_e32 v4, v5, v2
	v_fma_f32 v1, -v1, v4, v3
	v_div_fmas_f32 v1, v1, v2, v4
	v_div_fixup_f32 v0, v1, s11, v0
	v_cmp_eq_u32_e32 vcc, 0, v8
	s_and_saveexec_b64 s[12:13], vcc
	s_cbranch_execz .LBB17_24
; %bb.19:
	s_load_dwordx2 s[4:5], s[4:5], 0x10
	s_ashr_i32 s0, s2, 31
	v_or_b32_e32 v3, s0, v10
	v_mov_b32_e32 v2, 0
	v_cmp_ne_u64_e32 vcc, 0, v[2:3]
                                        ; implicit-def: $vgpr2_vgpr3
	s_and_saveexec_b64 s[14:15], vcc
	s_xor_b64 s[14:15], exec, s[14:15]
	s_cbranch_execz .LBB17_21
; %bb.20:
	s_add_u32 s18, s2, s0
	s_mov_b32 s16, s0
	s_mov_b32 s17, s0
	s_addc_u32 s19, s0, s0
	s_xor_b64 s[18:19], s[18:19], s[16:17]
	v_cvt_f32_u32_e32 v1, s18
	v_cvt_f32_u32_e32 v2, s19
	s_sub_u32 s0, 0, s18
	s_subb_u32 s1, 0, s19
	v_madmk_f32 v1, v2, 0x4f800000, v1
	v_rcp_f32_e32 v1, v1
	v_mul_f32_e32 v1, 0x5f7ffffc, v1
	v_mul_f32_e32 v2, 0x2f800000, v1
	v_trunc_f32_e32 v2, v2
	v_madmk_f32 v1, v2, 0xcf800000, v1
	v_cvt_u32_f32_e32 v2, v2
	v_cvt_u32_f32_e32 v1, v1
	v_mul_lo_u32 v3, s0, v2
	v_mul_hi_u32 v5, s0, v1
	v_mul_lo_u32 v4, s1, v1
	v_add_u32_e32 v3, v5, v3
	v_mul_lo_u32 v11, s0, v1
	v_add_u32_e32 v3, v3, v4
	v_mul_lo_u32 v5, v1, v3
	v_mul_hi_u32 v14, v1, v11
	v_mul_hi_u32 v4, v1, v3
	v_add_co_u32_e32 v5, vcc, v14, v5
	v_addc_co_u32_e32 v4, vcc, 0, v4, vcc
	v_mul_hi_u32 v15, v2, v11
	v_mul_lo_u32 v11, v2, v11
	v_add_co_u32_e32 v5, vcc, v5, v11
	v_mul_hi_u32 v14, v2, v3
	v_addc_co_u32_e32 v4, vcc, v4, v15, vcc
	v_addc_co_u32_e32 v5, vcc, 0, v14, vcc
	v_mul_lo_u32 v3, v2, v3
	v_add_co_u32_e32 v3, vcc, v4, v3
	v_addc_co_u32_e32 v4, vcc, 0, v5, vcc
	v_add_co_u32_e32 v1, vcc, v1, v3
	v_addc_co_u32_e32 v2, vcc, v2, v4, vcc
	v_mul_lo_u32 v3, s0, v2
	v_mul_hi_u32 v4, s0, v1
	v_add_u32_e32 v3, v4, v3
	v_mul_lo_u32 v4, s1, v1
	v_add_u32_e32 v3, v3, v4
	v_mul_lo_u32 v5, s0, v1
	v_mul_hi_u32 v11, v2, v5
	v_mul_lo_u32 v14, v2, v5
	v_mul_lo_u32 v16, v1, v3
	v_mul_hi_u32 v5, v1, v5
	v_mul_hi_u32 v15, v1, v3
	v_add_co_u32_e32 v5, vcc, v5, v16
	v_addc_co_u32_e32 v15, vcc, 0, v15, vcc
	v_add_co_u32_e32 v5, vcc, v5, v14
	v_mul_hi_u32 v4, v2, v3
	v_addc_co_u32_e32 v5, vcc, v15, v11, vcc
	v_addc_co_u32_e32 v4, vcc, 0, v4, vcc
	v_mul_lo_u32 v3, v2, v3
	v_add_co_u32_e32 v3, vcc, v5, v3
	v_addc_co_u32_e32 v4, vcc, 0, v4, vcc
	v_add_co_u32_e32 v1, vcc, v1, v3
	v_addc_co_u32_e32 v4, vcc, v2, v4, vcc
	v_mad_u64_u32 v[2:3], s[0:1], v7, v4, 0
	v_mul_hi_u32 v5, v7, v1
	v_add_co_u32_e32 v11, vcc, v5, v2
	v_addc_co_u32_e32 v14, vcc, 0, v3, vcc
	v_mad_u64_u32 v[2:3], s[0:1], v10, v4, 0
	v_mad_u64_u32 v[4:5], s[0:1], v10, v1, 0
	v_add_co_u32_e32 v1, vcc, v11, v4
	v_addc_co_u32_e32 v1, vcc, v14, v5, vcc
	v_addc_co_u32_e32 v3, vcc, 0, v3, vcc
	v_add_co_u32_e32 v1, vcc, v1, v2
	v_addc_co_u32_e32 v2, vcc, 0, v3, vcc
	v_mul_lo_u32 v4, s19, v1
	v_mul_lo_u32 v5, s18, v2
	v_mad_u64_u32 v[2:3], s[0:1], s18, v1, 0
	v_add3_u32 v3, v3, v5, v4
	v_sub_u32_e32 v4, v10, v3
	v_mov_b32_e32 v5, s19
	v_sub_co_u32_e32 v2, vcc, v7, v2
	v_subb_co_u32_e64 v4, s[0:1], v4, v5, vcc
	v_subrev_co_u32_e64 v5, s[0:1], s18, v2
	v_subbrev_co_u32_e64 v4, s[0:1], 0, v4, s[0:1]
	v_cmp_le_u32_e64 s[0:1], s19, v4
	v_subb_co_u32_e32 v3, vcc, v10, v3, vcc
	v_cndmask_b32_e64 v11, 0, -1, s[0:1]
	v_cmp_le_u32_e64 s[0:1], s18, v5
	v_cmp_le_u32_e32 vcc, s19, v3
	v_cndmask_b32_e64 v5, 0, -1, s[0:1]
	v_cmp_eq_u32_e64 s[0:1], s19, v4
	v_cndmask_b32_e64 v10, 0, -1, vcc
	v_cmp_le_u32_e32 vcc, s18, v2
	v_cndmask_b32_e64 v4, v11, v5, s[0:1]
	v_cndmask_b32_e64 v2, 0, -1, vcc
	v_cmp_eq_u32_e32 vcc, s19, v3
	v_add_co_u32_e64 v5, s[0:1], 2, v1
	v_add_co_u32_e64 v11, s[0:1], 1, v1
	v_cndmask_b32_e32 v2, v10, v2, vcc
	v_cmp_ne_u32_e32 vcc, 0, v4
	v_cndmask_b32_e32 v3, v11, v5, vcc
	v_cmp_ne_u32_e32 vcc, 0, v2
	v_cndmask_b32_e32 v1, v1, v3, vcc
	v_xor_b32_e32 v1, s16, v1
	v_subrev_co_u32_e32 v2, vcc, s16, v1
.LBB17_21:
	s_andn2_saveexec_b64 s[0:1], s[14:15]
	s_cbranch_execz .LBB17_23
; %bb.22:
	v_cvt_f32_u32_e32 v1, s2
	s_sub_i32 s14, 0, s2
	v_rcp_iflag_f32_e32 v1, v1
	v_mul_f32_e32 v1, 0x4f7ffffe, v1
	v_cvt_u32_f32_e32 v1, v1
	v_mul_lo_u32 v2, s14, v1
	v_mul_hi_u32 v2, v1, v2
	v_add_u32_e32 v1, v1, v2
	v_mul_hi_u32 v1, v7, v1
	v_mul_lo_u32 v2, v1, s2
	v_sub_u32_e32 v2, v7, v2
	v_add_u32_e32 v3, 1, v1
	v_subrev_u32_e32 v4, s2, v2
	v_cmp_le_u32_e32 vcc, s2, v2
	v_cndmask_b32_e32 v2, v2, v4, vcc
	v_cndmask_b32_e32 v1, v1, v3, vcc
	v_add_u32_e32 v3, 1, v1
	v_cmp_le_u32_e32 vcc, s2, v2
	v_cndmask_b32_e32 v2, v1, v3, vcc
.LBB17_23:
	s_or_b64 exec, exec, s[0:1]
	v_mul_lo_u32 v1, v2, s2
	v_sub_u32_e32 v1, v7, v1
	v_mad_u64_u32 v[2:3], s[0:1], v1, s3, v[2:3]
	v_ashrrev_i32_e32 v3, 31, v2
	v_lshlrev_b64 v[2:3], 2, v[2:3]
	s_waitcnt lgkmcnt(0)
	v_mov_b32_e32 v1, s5
	v_add_co_u32_e32 v2, vcc, s4, v2
	v_addc_co_u32_e32 v3, vcc, v1, v3, vcc
	global_store_dword v[2:3], v0, off
.LBB17_24:
	s_or_b64 exec, exec, s[12:13]
	v_and_b32_e32 v2, 15, v6
	v_mov_b32_e32 v3, 0
	v_cmp_ne_u64_e32 vcc, 0, v[2:3]
	s_xor_b64 s[0:1], s[6:7], -1
	s_or_b64 s[0:1], s[0:1], vcc
	s_barrier
	s_and_saveexec_b64 s[2:3], s[0:1]
	s_xor_b64 s[12:13], exec, s[2:3]
	s_cbranch_execz .LBB17_101
; %bb.25:
	v_mov_b32_e32 v2, s9
	v_add_co_u32_e32 v1, vcc, s8, v12
	v_addc_co_u32_e32 v10, vcc, v2, v13, vcc
	v_sub_u32_e32 v2, 0, v6
	v_bfe_u32 v2, v2, 1, 3
	v_min_i32_e32 v21, s21, v2
	v_cmp_gt_i32_e32 vcc, v21, v8
	s_and_saveexec_b64 s[0:1], vcc
	s_cbranch_execz .LBB17_33
; %bb.26:
	v_lshl_add_u32 v2, v8, 1, v6
	ds_read_u16 v2, v2
	v_max_f32_e64 v3, s10, s10
	v_max_f32_e64 v4, s11, s11
	s_waitcnt lgkmcnt(0)
	v_cvt_f32_f16_e32 v2, v2
	v_div_scale_f32 v5, s[2:3], v0, v0, v2
	v_rcp_f32_e32 v6, v5
	v_div_scale_f32 v7, vcc, v2, v0, v2
	s_mov_b32 s2, 0x43f00000
	v_fma_f32 v11, -v5, v6, 1.0
	v_fmac_f32_e32 v6, v11, v6
	v_mul_f32_e32 v11, v7, v6
	v_fma_f32 v14, -v5, v11, v7
	v_fmac_f32_e32 v11, v14, v6
	v_fma_f32 v5, -v5, v11, v7
	v_div_fmas_f32 v5, v5, v6, v11
	v_div_fixup_f32 v2, v5, v0, v2
	v_max_f32_e32 v2, v2, v3
	v_min_f32_e32 v2, v2, v4
	v_and_b32_e32 v4, 0x7fffffff, v2
	v_cmp_gt_u32_e32 vcc, s2, v4
	v_mov_b32_e32 v3, 0x7f
	s_and_saveexec_b64 s[2:3], vcc
	s_cbranch_execz .LBB17_32
; %bb.27:
	s_mov_b32 s4, 0x3c7fffff
	v_cmp_lt_u32_e32 vcc, s4, v4
                                        ; implicit-def: $vgpr3
	s_and_saveexec_b64 s[4:5], vcc
	s_xor_b64 s[4:5], exec, s[4:5]
; %bb.28:
	v_bfe_u32 v3, v2, 20, 1
	s_mov_b32 s6, 0x407ffff
	v_add3_u32 v3, v2, v3, s6
	v_lshrrev_b32_e32 v3, 20, v3
; %bb.29:
	s_andn2_saveexec_b64 s[4:5], s[4:5]
; %bb.30:
	s_mov_b32 s6, 0x46800000
	v_add_f32_e64 v3, |v2|, s6
; %bb.31:
	s_or_b64 exec, exec, s[4:5]
.LBB17_32:
	s_or_b64 exec, exec, s[2:3]
	v_add_co_u32_e32 v4, vcc, v1, v8
	v_lshrrev_b32_e32 v2, 24, v2
	s_movk_i32 s2, 0x80
	v_addc_co_u32_e32 v5, vcc, 0, v10, vcc
	v_and_or_b32 v2, v2, s2, v3
	global_store_byte v[4:5], v2, off
.LBB17_33:
	s_or_b64 exec, exec, s[0:1]
	v_sub_u32_e32 v20, s21, v21
	v_ashrrev_i32_e32 v2, 31, v20
	v_lshrrev_b32_e32 v2, 29, v2
	v_add_u32_e32 v2, v20, v2
	v_ashrrev_i32_e32 v11, 3, v2
	v_ashrrev_i32_e32 v22, 31, v21
	v_cmp_gt_i32_e32 vcc, v11, v8
	v_lshlrev_b32_e32 v23, 1, v21
	s_and_saveexec_b64 s[2:3], vcc
	s_cbranch_execz .LBB17_84
; %bb.34:
	v_lshlrev_b32_e32 v2, 4, v8
	v_lshl_add_u32 v2, v9, 1, v2
	v_lshlrev_b32_e32 v3, 1, v21
	v_add3_u32 v14, v2, v3, 0
	v_add_co_u32_e32 v2, vcc, v21, v12
	v_addc_co_u32_e32 v3, vcc, v22, v13, vcc
	v_lshlrev_b32_e32 v4, 3, v8
	v_add_co_u32_e32 v2, vcc, v2, v4
	v_addc_co_u32_e32 v3, vcc, 0, v3, vcc
	v_mov_b32_e32 v4, s9
	v_add_co_u32_e32 v6, vcc, s8, v2
	v_addc_co_u32_e32 v7, vcc, v4, v3, vcc
	s_mov_b64 s[4:5], 0
	v_max_f32_e64 v15, s10, s10
	v_max_f32_e64 v16, s11, s11
	s_mov_b32 s14, 0x43f00000
	s_mov_b32 s15, 0x3c7fffff
	;; [unrolled: 1-line block ×4, first 2 shown]
	s_movk_i32 s18, 0x80
	s_movk_i32 s19, 0xff
	v_mov_b32_e32 v17, v8
	s_branch .LBB17_37
.LBB17_35:                              ;   in Loop: Header=BB17_37 Depth=1
	s_or_b64 exec, exec, s[6:7]
.LBB17_36:                              ;   in Loop: Header=BB17_37 Depth=1
	s_or_b64 exec, exec, s[0:1]
	v_and_b32_sdwa v32, v32, s18 dst_sel:DWORD dst_unused:UNUSED_PAD src0_sel:BYTE_3 src1_sel:DWORD
	v_lshrrev_b32_e32 v5, 24, v5
	v_and_b32_sdwa v4, v4, s18 dst_sel:DWORD dst_unused:UNUSED_PAD src0_sel:BYTE_3 src1_sel:DWORD
	v_and_or_b32 v5, v5, s18, v31
	v_and_or_b32 v31, v33, s19, v32
	v_and_b32_sdwa v30, v30, s18 dst_sel:DWORD dst_unused:UNUSED_PAD src0_sel:BYTE_3 src1_sel:DWORD
	v_lshlrev_b32_e32 v5, 24, v5
	v_lshlrev_b32_e32 v31, 16, v31
	v_and_or_b32 v4, v28, s19, v4
	v_and_b32_sdwa v27, v27, s18 dst_sel:DWORD dst_unused:UNUSED_PAD src0_sel:BYTE_3 src1_sel:DWORD
	v_or_b32_e32 v5, v5, v31
	v_lshlrev_b32_e32 v4, 8, v4
	v_and_or_b32 v28, v29, s19, v30
	v_and_b32_sdwa v2, v2, s18 dst_sel:DWORD dst_unused:UNUSED_PAD src0_sel:BYTE_3 src1_sel:DWORD
	v_or3_b32 v5, v5, v4, v28
	v_lshlrev_b32_e32 v4, 24, v25
	v_and_or_b32 v25, v26, s19, v27
	v_and_b32_sdwa v24, v24, s18 dst_sel:DWORD dst_unused:UNUSED_PAD src0_sel:BYTE_3 src1_sel:DWORD
	v_and_b32_e32 v3, 0x80000000, v3
	v_lshlrev_b32_e32 v25, 16, v25
	v_and_or_b32 v2, v18, s19, v2
	v_lshlrev_b32_e32 v2, 8, v2
	v_or3_b32 v3, v4, v3, v25
	v_and_or_b32 v4, v19, s19, v24
	v_or3_b32 v4, v3, v2, v4
	v_add_u32_e32 v17, 16, v17
	global_store_dwordx2 v[6:7], v[4:5], off
	v_add_co_u32_e32 v6, vcc, 0x80, v6
	v_cmp_ge_i32_e64 s[0:1], v17, v11
	v_add_u32_e32 v14, 0x100, v14
	s_or_b64 s[4:5], s[0:1], s[4:5]
	v_addc_co_u32_e32 v7, vcc, 0, v7, vcc
	s_andn2_b64 exec, exec, s[4:5]
	s_cbranch_execz .LBB17_84
.LBB17_37:                              ; =>This Inner Loop Header: Depth=1
	ds_read_b128 v[2:5], v14
	v_mov_b32_e32 v18, 0x7f
	s_waitcnt lgkmcnt(0)
	v_cvt_f32_f16_e32 v19, v2
	v_div_scale_f32 v24, s[0:1], v0, v0, v19
	v_rcp_f32_e32 v25, v24
	v_div_scale_f32 v26, vcc, v19, v0, v19
	v_fma_f32 v27, -v24, v25, 1.0
	v_fmac_f32_e32 v25, v27, v25
	v_mul_f32_e32 v27, v26, v25
	v_fma_f32 v28, -v24, v27, v26
	v_fmac_f32_e32 v27, v28, v25
	v_fma_f32 v24, -v24, v27, v26
	v_div_fmas_f32 v24, v24, v25, v27
	v_div_fixup_f32 v19, v24, v0, v19
	v_max_f32_e32 v19, v19, v15
	v_min_f32_e32 v24, v19, v16
	v_and_b32_e32 v25, 0x7fffffff, v24
	v_cmp_gt_u32_e32 vcc, s14, v25
	v_mov_b32_e32 v19, 0x7f
	s_and_saveexec_b64 s[0:1], vcc
	s_cbranch_execz .LBB17_43
; %bb.38:                               ;   in Loop: Header=BB17_37 Depth=1
	v_cmp_lt_u32_e32 vcc, s15, v25
                                        ; implicit-def: $vgpr19
	s_and_saveexec_b64 s[6:7], vcc
	s_xor_b64 s[6:7], exec, s[6:7]
; %bb.39:                               ;   in Loop: Header=BB17_37 Depth=1
	v_bfe_u32 v19, v24, 20, 1
	v_add3_u32 v19, v24, v19, s16
	v_lshrrev_b32_e32 v19, 20, v19
; %bb.40:                               ;   in Loop: Header=BB17_37 Depth=1
	s_andn2_saveexec_b64 s[6:7], s[6:7]
; %bb.41:                               ;   in Loop: Header=BB17_37 Depth=1
	v_add_f32_e64 v19, |v24|, s17
; %bb.42:                               ;   in Loop: Header=BB17_37 Depth=1
	s_or_b64 exec, exec, s[6:7]
.LBB17_43:                              ;   in Loop: Header=BB17_37 Depth=1
	s_or_b64 exec, exec, s[0:1]
	v_cvt_f32_f16_sdwa v2, v2 dst_sel:DWORD dst_unused:UNUSED_PAD src0_sel:WORD_1
	v_div_scale_f32 v25, s[0:1], v0, v0, v2
	v_rcp_f32_e32 v26, v25
	v_div_scale_f32 v27, vcc, v2, v0, v2
	v_fma_f32 v28, -v25, v26, 1.0
	v_fmac_f32_e32 v26, v28, v26
	v_mul_f32_e32 v28, v27, v26
	v_fma_f32 v29, -v25, v28, v27
	v_fmac_f32_e32 v28, v29, v26
	v_fma_f32 v25, -v25, v28, v27
	v_div_fmas_f32 v25, v25, v26, v28
	v_div_fixup_f32 v2, v25, v0, v2
	v_max_f32_e32 v2, v2, v15
	v_min_f32_e32 v2, v2, v16
	v_and_b32_e32 v25, 0x7fffffff, v2
	v_cmp_gt_u32_e32 vcc, s14, v25
	s_and_saveexec_b64 s[0:1], vcc
	s_cbranch_execz .LBB17_49
; %bb.44:                               ;   in Loop: Header=BB17_37 Depth=1
	v_cmp_lt_u32_e32 vcc, s15, v25
                                        ; implicit-def: $vgpr18
	s_and_saveexec_b64 s[6:7], vcc
	s_xor_b64 s[6:7], exec, s[6:7]
; %bb.45:                               ;   in Loop: Header=BB17_37 Depth=1
	v_bfe_u32 v18, v2, 20, 1
	v_add3_u32 v18, v2, v18, s16
	v_lshrrev_b32_e32 v18, 20, v18
; %bb.46:                               ;   in Loop: Header=BB17_37 Depth=1
	s_andn2_saveexec_b64 s[6:7], s[6:7]
; %bb.47:                               ;   in Loop: Header=BB17_37 Depth=1
	v_add_f32_e64 v18, |v2|, s17
; %bb.48:                               ;   in Loop: Header=BB17_37 Depth=1
	s_or_b64 exec, exec, s[6:7]
.LBB17_49:                              ;   in Loop: Header=BB17_37 Depth=1
	s_or_b64 exec, exec, s[0:1]
	v_cvt_f32_f16_e32 v26, v3
	v_mov_b32_e32 v25, 0x7f
	v_div_scale_f32 v27, s[0:1], v0, v0, v26
	v_rcp_f32_e32 v28, v27
	v_div_scale_f32 v29, vcc, v26, v0, v26
	v_fma_f32 v30, -v27, v28, 1.0
	v_fmac_f32_e32 v28, v30, v28
	v_mul_f32_e32 v30, v29, v28
	v_fma_f32 v31, -v27, v30, v29
	v_fmac_f32_e32 v30, v31, v28
	v_fma_f32 v27, -v27, v30, v29
	v_div_fmas_f32 v27, v27, v28, v30
	v_div_fixup_f32 v26, v27, v0, v26
	v_max_f32_e32 v26, v26, v15
	v_min_f32_e32 v27, v26, v16
	v_and_b32_e32 v28, 0x7fffffff, v27
	v_cmp_gt_u32_e32 vcc, s14, v28
	v_mov_b32_e32 v26, 0x7f
	s_and_saveexec_b64 s[0:1], vcc
	s_cbranch_execz .LBB17_55
; %bb.50:                               ;   in Loop: Header=BB17_37 Depth=1
	v_cmp_lt_u32_e32 vcc, s15, v28
                                        ; implicit-def: $vgpr26
	s_and_saveexec_b64 s[6:7], vcc
	s_xor_b64 s[6:7], exec, s[6:7]
; %bb.51:                               ;   in Loop: Header=BB17_37 Depth=1
	v_bfe_u32 v26, v27, 20, 1
	v_add3_u32 v26, v27, v26, s16
	v_lshrrev_b32_e32 v26, 20, v26
; %bb.52:                               ;   in Loop: Header=BB17_37 Depth=1
	s_andn2_saveexec_b64 s[6:7], s[6:7]
; %bb.53:                               ;   in Loop: Header=BB17_37 Depth=1
	v_add_f32_e64 v26, |v27|, s17
; %bb.54:                               ;   in Loop: Header=BB17_37 Depth=1
	s_or_b64 exec, exec, s[6:7]
.LBB17_55:                              ;   in Loop: Header=BB17_37 Depth=1
	s_or_b64 exec, exec, s[0:1]
	v_cvt_f32_f16_sdwa v3, v3 dst_sel:DWORD dst_unused:UNUSED_PAD src0_sel:WORD_1
	v_div_scale_f32 v28, s[0:1], v0, v0, v3
	v_rcp_f32_e32 v29, v28
	v_div_scale_f32 v30, vcc, v3, v0, v3
	v_fma_f32 v31, -v28, v29, 1.0
	v_fmac_f32_e32 v29, v31, v29
	v_mul_f32_e32 v31, v30, v29
	v_fma_f32 v32, -v28, v31, v30
	v_fmac_f32_e32 v31, v32, v29
	v_fma_f32 v28, -v28, v31, v30
	v_div_fmas_f32 v28, v28, v29, v31
	v_div_fixup_f32 v3, v28, v0, v3
	v_max_f32_e32 v3, v3, v15
	v_min_f32_e32 v3, v3, v16
	v_and_b32_e32 v28, 0x7fffffff, v3
	v_cmp_gt_u32_e32 vcc, s14, v28
	s_and_saveexec_b64 s[0:1], vcc
	s_cbranch_execz .LBB17_61
; %bb.56:                               ;   in Loop: Header=BB17_37 Depth=1
	v_cmp_lt_u32_e32 vcc, s15, v28
                                        ; implicit-def: $vgpr25
	s_and_saveexec_b64 s[6:7], vcc
	s_xor_b64 s[6:7], exec, s[6:7]
; %bb.57:                               ;   in Loop: Header=BB17_37 Depth=1
	v_bfe_u32 v25, v3, 20, 1
	v_add3_u32 v25, v3, v25, s16
	v_lshrrev_b32_e32 v25, 20, v25
; %bb.58:                               ;   in Loop: Header=BB17_37 Depth=1
	s_andn2_saveexec_b64 s[6:7], s[6:7]
; %bb.59:                               ;   in Loop: Header=BB17_37 Depth=1
	v_add_f32_e64 v25, |v3|, s17
; %bb.60:                               ;   in Loop: Header=BB17_37 Depth=1
	s_or_b64 exec, exec, s[6:7]
.LBB17_61:                              ;   in Loop: Header=BB17_37 Depth=1
	s_or_b64 exec, exec, s[0:1]
	v_cvt_f32_f16_e32 v29, v4
	v_mov_b32_e32 v28, 0x7f
	v_div_scale_f32 v30, s[0:1], v0, v0, v29
	v_rcp_f32_e32 v31, v30
	v_div_scale_f32 v32, vcc, v29, v0, v29
	v_fma_f32 v33, -v30, v31, 1.0
	v_fmac_f32_e32 v31, v33, v31
	v_mul_f32_e32 v33, v32, v31
	v_fma_f32 v34, -v30, v33, v32
	v_fmac_f32_e32 v33, v34, v31
	v_fma_f32 v30, -v30, v33, v32
	v_div_fmas_f32 v30, v30, v31, v33
	v_div_fixup_f32 v29, v30, v0, v29
	v_max_f32_e32 v29, v29, v15
	v_min_f32_e32 v30, v29, v16
	v_and_b32_e32 v31, 0x7fffffff, v30
	v_cmp_gt_u32_e32 vcc, s14, v31
	v_mov_b32_e32 v29, 0x7f
	s_and_saveexec_b64 s[0:1], vcc
	s_cbranch_execz .LBB17_67
; %bb.62:                               ;   in Loop: Header=BB17_37 Depth=1
	v_cmp_lt_u32_e32 vcc, s15, v31
                                        ; implicit-def: $vgpr29
	s_and_saveexec_b64 s[6:7], vcc
	s_xor_b64 s[6:7], exec, s[6:7]
; %bb.63:                               ;   in Loop: Header=BB17_37 Depth=1
	v_bfe_u32 v29, v30, 20, 1
	v_add3_u32 v29, v30, v29, s16
	v_lshrrev_b32_e32 v29, 20, v29
; %bb.64:                               ;   in Loop: Header=BB17_37 Depth=1
	s_andn2_saveexec_b64 s[6:7], s[6:7]
; %bb.65:                               ;   in Loop: Header=BB17_37 Depth=1
	v_add_f32_e64 v29, |v30|, s17
; %bb.66:                               ;   in Loop: Header=BB17_37 Depth=1
	s_or_b64 exec, exec, s[6:7]
.LBB17_67:                              ;   in Loop: Header=BB17_37 Depth=1
	s_or_b64 exec, exec, s[0:1]
	v_cvt_f32_f16_sdwa v4, v4 dst_sel:DWORD dst_unused:UNUSED_PAD src0_sel:WORD_1
	v_div_scale_f32 v31, s[0:1], v0, v0, v4
	v_rcp_f32_e32 v32, v31
	v_div_scale_f32 v33, vcc, v4, v0, v4
	v_fma_f32 v34, -v31, v32, 1.0
	v_fmac_f32_e32 v32, v34, v32
	v_mul_f32_e32 v34, v33, v32
	v_fma_f32 v35, -v31, v34, v33
	v_fmac_f32_e32 v34, v35, v32
	v_fma_f32 v31, -v31, v34, v33
	v_div_fmas_f32 v31, v31, v32, v34
	v_div_fixup_f32 v4, v31, v0, v4
	v_max_f32_e32 v4, v4, v15
	v_min_f32_e32 v4, v4, v16
	v_and_b32_e32 v31, 0x7fffffff, v4
	v_cmp_gt_u32_e32 vcc, s14, v31
	s_and_saveexec_b64 s[0:1], vcc
	s_cbranch_execz .LBB17_73
; %bb.68:                               ;   in Loop: Header=BB17_37 Depth=1
	v_cmp_lt_u32_e32 vcc, s15, v31
                                        ; implicit-def: $vgpr28
	s_and_saveexec_b64 s[6:7], vcc
	s_xor_b64 s[6:7], exec, s[6:7]
; %bb.69:                               ;   in Loop: Header=BB17_37 Depth=1
	v_bfe_u32 v28, v4, 20, 1
	v_add3_u32 v28, v4, v28, s16
	v_lshrrev_b32_e32 v28, 20, v28
; %bb.70:                               ;   in Loop: Header=BB17_37 Depth=1
	s_andn2_saveexec_b64 s[6:7], s[6:7]
; %bb.71:                               ;   in Loop: Header=BB17_37 Depth=1
	v_add_f32_e64 v28, |v4|, s17
; %bb.72:                               ;   in Loop: Header=BB17_37 Depth=1
	s_or_b64 exec, exec, s[6:7]
.LBB17_73:                              ;   in Loop: Header=BB17_37 Depth=1
	s_or_b64 exec, exec, s[0:1]
	v_cvt_f32_f16_e32 v32, v5
	v_mov_b32_e32 v31, 0x7f
	v_div_scale_f32 v33, s[0:1], v0, v0, v32
	v_rcp_f32_e32 v34, v33
	v_div_scale_f32 v35, vcc, v32, v0, v32
	v_fma_f32 v36, -v33, v34, 1.0
	v_fmac_f32_e32 v34, v36, v34
	v_mul_f32_e32 v36, v35, v34
	v_fma_f32 v37, -v33, v36, v35
	v_fmac_f32_e32 v36, v37, v34
	v_fma_f32 v33, -v33, v36, v35
	v_div_fmas_f32 v33, v33, v34, v36
	v_div_fixup_f32 v32, v33, v0, v32
	v_max_f32_e32 v32, v32, v15
	v_min_f32_e32 v32, v32, v16
	v_and_b32_e32 v34, 0x7fffffff, v32
	v_cmp_gt_u32_e32 vcc, s14, v34
	v_mov_b32_e32 v33, 0x7f
	s_and_saveexec_b64 s[0:1], vcc
	s_cbranch_execz .LBB17_79
; %bb.74:                               ;   in Loop: Header=BB17_37 Depth=1
	v_cmp_lt_u32_e32 vcc, s15, v34
                                        ; implicit-def: $vgpr33
	s_and_saveexec_b64 s[6:7], vcc
	s_xor_b64 s[6:7], exec, s[6:7]
; %bb.75:                               ;   in Loop: Header=BB17_37 Depth=1
	v_bfe_u32 v33, v32, 20, 1
	v_add3_u32 v33, v32, v33, s16
	v_lshrrev_b32_e32 v33, 20, v33
; %bb.76:                               ;   in Loop: Header=BB17_37 Depth=1
	s_andn2_saveexec_b64 s[6:7], s[6:7]
; %bb.77:                               ;   in Loop: Header=BB17_37 Depth=1
	v_add_f32_e64 v33, |v32|, s17
; %bb.78:                               ;   in Loop: Header=BB17_37 Depth=1
	s_or_b64 exec, exec, s[6:7]
.LBB17_79:                              ;   in Loop: Header=BB17_37 Depth=1
	s_or_b64 exec, exec, s[0:1]
	v_cvt_f32_f16_sdwa v5, v5 dst_sel:DWORD dst_unused:UNUSED_PAD src0_sel:WORD_1
	v_div_scale_f32 v34, s[0:1], v0, v0, v5
	v_rcp_f32_e32 v35, v34
	v_div_scale_f32 v36, vcc, v5, v0, v5
	v_fma_f32 v37, -v34, v35, 1.0
	v_fmac_f32_e32 v35, v37, v35
	v_mul_f32_e32 v37, v36, v35
	v_fma_f32 v38, -v34, v37, v36
	v_fmac_f32_e32 v37, v38, v35
	v_fma_f32 v34, -v34, v37, v36
	v_div_fmas_f32 v34, v34, v35, v37
	v_div_fixup_f32 v5, v34, v0, v5
	v_max_f32_e32 v5, v5, v15
	v_min_f32_e32 v5, v5, v16
	v_and_b32_e32 v34, 0x7fffffff, v5
	v_cmp_gt_u32_e32 vcc, s14, v34
	s_and_saveexec_b64 s[0:1], vcc
	s_cbranch_execz .LBB17_36
; %bb.80:                               ;   in Loop: Header=BB17_37 Depth=1
	v_cmp_lt_u32_e32 vcc, s15, v34
                                        ; implicit-def: $vgpr31
	s_and_saveexec_b64 s[6:7], vcc
	s_xor_b64 s[6:7], exec, s[6:7]
; %bb.81:                               ;   in Loop: Header=BB17_37 Depth=1
	v_bfe_u32 v31, v5, 20, 1
	v_add3_u32 v31, v5, v31, s16
	v_lshrrev_b32_e32 v31, 20, v31
; %bb.82:                               ;   in Loop: Header=BB17_37 Depth=1
	s_andn2_saveexec_b64 s[6:7], s[6:7]
	s_cbranch_execz .LBB17_35
; %bb.83:                               ;   in Loop: Header=BB17_37 Depth=1
	v_add_f32_e64 v31, |v5|, s17
	s_branch .LBB17_35
.LBB17_84:
	s_or_b64 exec, exec, s[2:3]
	v_lshlrev_b32_e32 v4, 3, v11
	v_add_u32_e32 v2, v4, v8
	v_cmp_lt_i32_e32 vcc, v2, v20
	s_and_saveexec_b64 s[14:15], vcc
	s_cbranch_execz .LBB17_100
; %bb.85:
	v_add_u32_e32 v3, 16, v2
	v_max_i32_e32 v5, v3, v20
	v_xad_u32 v5, v8, -1, v5
	v_sub_u32_e32 v4, v5, v4
	v_cmp_lt_u32_e32 vcc, 47, v4
	s_mov_b64 s[0:1], 0
                                        ; implicit-def: $vgpr24
	s_and_saveexec_b64 s[2:3], vcc
	s_xor_b64 s[16:17], exec, s[2:3]
	s_cbranch_execnz .LBB17_88
; %bb.86:
	s_andn2_saveexec_b64 s[2:3], s[16:17]
	s_cbranch_execnz .LBB17_91
.LBB17_87:
	s_or_b64 exec, exec, s[2:3]
	s_and_b64 exec, exec, s[0:1]
	s_cbranch_execnz .LBB17_92
	s_branch .LBB17_100
.LBB17_88:
	v_lshrrev_b32_e32 v4, 4, v4
	v_lshlrev_b32_e32 v24, 1, v9
	v_lshlrev_b32_e32 v9, 4, v11
	;; [unrolled: 1-line block ×3, first 2 shown]
	v_add_u32_e32 v25, 1, v4
	v_add_co_u32_e32 v27, vcc, v1, v21
	v_add_u32_e32 v5, 48, v2
	v_add_u32_e32 v4, 32, v2
	v_add3_u32 v9, v24, v9, v23
	v_lshlrev_b32_e32 v8, 1, v8
	v_addc_co_u32_e32 v28, vcc, v10, v22, vcc
	v_and_b32_e32 v26, 0x1ffffffc, v25
	s_mov_b32 s0, s10
	s_mov_b32 s1, s10
	;; [unrolled: 1-line block ×8, first 2 shown]
	v_add3_u32 v29, v9, v8, 0
	v_pk_mov_b32 v[10:11], v[4:5], v[4:5] op_sel:[0,1]
	v_mov_b32_e32 v1, v0
	v_mov_b32_e32 v6, v0
	;; [unrolled: 1-line block ×3, first 2 shown]
	s_mov_b64 s[18:19], 0
	v_max_f32_e64 v30, s3, s3
	v_max_f32_e64 v31, s2, s2
	;; [unrolled: 1-line block ×8, first 2 shown]
	s_mov_b32 s22, 0x43f00000
	s_mov_b32 s23, 0x7700000
	;; [unrolled: 1-line block ×4, first 2 shown]
	v_mov_b32_e32 v38, 0x7f
	s_movk_i32 s25, 0x80
	v_mov_b32_e32 v39, v26
	v_pk_mov_b32 v[8:9], v[2:3], v[2:3] op_sel:[0,1]
.LBB17_89:                              ; =>This Inner Loop Header: Depth=1
	ds_read_u16 v40, v29
	ds_read_u16 v41, v29 offset:32
	ds_read_u16 v42, v29 offset:64
	;; [unrolled: 1-line block ×3, first 2 shown]
	v_ashrrev_i32_e32 v3, 31, v11
	s_waitcnt lgkmcnt(3)
	v_cvt_f32_f16_e32 v40, v40
	v_ashrrev_i32_e32 v5, 31, v9
	v_ashrrev_i32_e32 v17, 31, v8
	v_add_co_u32_e32 v4, vcc, v27, v9
	v_add_co_u32_e64 v16, s[2:3], v27, v11
	v_add_co_u32_e64 v18, s[4:5], v27, v8
	s_waitcnt lgkmcnt(2)
	v_cvt_f32_f16_e32 v41, v41
	v_addc_co_u32_e64 v19, s[4:5], v28, v17, s[4:5]
	v_addc_co_u32_e32 v5, vcc, v28, v5, vcc
	v_addc_co_u32_e64 v17, vcc, v28, v3, s[2:3]
	s_waitcnt lgkmcnt(0)
	v_cvt_f32_f16_e32 v3, v43
	v_cvt_f32_f16_e32 v42, v42
	v_ashrrev_i32_e32 v15, 31, v10
	v_add_co_u32_e64 v14, s[0:1], v27, v10
	v_addc_co_u32_e64 v15, vcc, v28, v15, s[0:1]
	v_div_scale_f32 v43, s[0:1], v0, v0, v40
	v_div_scale_f32 v45, s[0:1], v1, v1, v41
	v_rcp_f32_e32 v50, v43
	v_div_scale_f32 v47, s[2:3], v6, v6, v42
	v_div_scale_f32 v49, s[4:5], v7, v7, v3
	v_rcp_f32_e32 v51, v45
	v_rcp_f32_e32 v52, v47
	;; [unrolled: 1-line block ×3, first 2 shown]
	v_fma_f32 v54, -v43, v50, 1.0
	v_div_scale_f32 v44, vcc, v40, v0, v40
	v_fma_f32 v55, -v45, v51, 1.0
	v_fmac_f32_e32 v50, v54, v50
	v_div_scale_f32 v46, s[0:1], v41, v1, v41
	v_fma_f32 v56, -v47, v52, 1.0
	v_fma_f32 v57, -v49, v53, 1.0
	v_fmac_f32_e32 v51, v55, v51
	v_mul_f32_e32 v54, v44, v50
	v_div_scale_f32 v48, s[2:3], v42, v6, v42
	v_fmac_f32_e32 v52, v56, v52
	v_fmac_f32_e32 v53, v57, v53
	v_mul_f32_e32 v55, v46, v51
	v_fma_f32 v57, -v43, v54, v44
	v_mul_f32_e32 v56, v48, v52
	v_fmac_f32_e32 v54, v57, v50
	v_fma_f32 v57, -v45, v55, v46
	v_fmac_f32_e32 v55, v57, v51
	v_fma_f32 v57, -v47, v56, v48
	v_fmac_f32_e32 v56, v57, v52
	v_div_scale_f32 v57, s[4:5], v3, v7, v3
	v_mul_f32_e32 v58, v57, v53
	v_fma_f32 v43, -v43, v54, v44
	v_fma_f32 v59, -v49, v58, v57
	;; [unrolled: 1-line block ×3, first 2 shown]
	v_div_fmas_f32 v43, v43, v50, v54
	s_mov_b64 vcc, s[0:1]
	v_fmac_f32_e32 v58, v59, v53
	v_fma_f32 v45, -v47, v56, v48
	v_div_fixup_f32 v40, v43, v0, v40
	v_div_fmas_f32 v43, v44, v51, v55
	s_mov_b64 vcc, s[2:3]
	v_fma_f32 v46, -v49, v58, v57
	v_div_fixup_f32 v41, v43, v1, v41
	v_div_fmas_f32 v43, v45, v52, v56
	v_max_f32_e32 v40, v40, v33
	s_mov_b64 vcc, s[4:5]
	v_div_fixup_f32 v42, v43, v6, v42
	v_div_fmas_f32 v43, v46, v53, v58
	v_max_f32_e32 v41, v41, v32
	v_min_f32_e32 v44, v40, v34
	v_div_fixup_f32 v3, v43, v7, v3
	v_max_f32_e32 v42, v42, v31
	v_min_f32_e32 v43, v41, v35
	v_and_b32_e32 v40, 0x7fffffff, v44
	v_bfe_u32 v45, v44, 20, 1
	v_lshrrev_b32_e32 v46, 24, v44
	v_max_f32_e32 v3, v3, v30
	v_min_f32_e32 v47, v42, v36
	v_and_b32_e32 v41, 0x7fffffff, v43
	v_add_u32_e32 v48, 0xc3800000, v40
	v_bfe_u32 v49, v43, 20, 1
	v_add3_u32 v44, v44, v45, s24
	v_min_f32_e32 v3, v3, v37
	v_and_b32_e32 v42, 0x7fffffff, v47
	v_add_u32_e32 v51, 0xc3800000, v41
	v_bfe_u32 v52, v47, 20, 1
	v_add3_u32 v49, v43, v49, s24
	v_lshrrev_b32_e32 v53, 20, v44
	v_pk_add_f32 v[44:45], v[40:41], s[20:21] op_sel_hi:[1,0]
	v_cmp_gt_u32_e32 vcc, s23, v48
	v_lshrrev_b32_e32 v50, 24, v43
	v_lshrrev_b32_e32 v54, 24, v47
	v_and_b32_e32 v43, 0x7fffffff, v3
	v_cndmask_b32_e32 v44, v44, v53, vcc
	v_cmp_gt_u32_e32 vcc, s22, v40
	v_add_u32_e32 v48, 0xc3800000, v42
	v_bfe_u32 v40, v3, 20, 1
	v_add3_u32 v47, v47, v52, s24
	v_lshrrev_b32_e32 v49, 20, v49
	v_cmp_gt_u32_e64 s[0:1], s23, v51
	v_lshrrev_b32_e32 v52, 24, v3
	v_cndmask_b32_e64 v45, v45, v49, s[0:1]
	v_cmp_gt_u32_e64 s[0:1], s22, v41
	v_add_u32_e32 v49, 0xc3800000, v43
	v_add3_u32 v3, v3, v40, s24
	v_lshrrev_b32_e32 v47, 20, v47
	v_pk_add_f32 v[40:41], v[42:43], s[20:21] op_sel_hi:[1,0]
	v_cndmask_b32_e32 v44, v38, v44, vcc
	v_cmp_gt_u32_e32 vcc, s23, v48
	v_cndmask_b32_e32 v40, v40, v47, vcc
	v_cmp_gt_u32_e32 vcc, s22, v42
	v_lshrrev_b32_e32 v3, 20, v3
	v_cndmask_b32_e64 v42, v38, v45, s[0:1]
	v_cmp_gt_u32_e64 s[0:1], s23, v49
	v_cndmask_b32_e64 v3, v41, v3, s[0:1]
	v_cndmask_b32_e32 v40, v38, v40, vcc
	v_cmp_gt_u32_e32 vcc, s22, v43
	v_cndmask_b32_e32 v3, v38, v3, vcc
	v_and_or_b32 v44, v46, s25, v44
	v_and_or_b32 v41, v50, s25, v42
	;; [unrolled: 1-line block ×3, first 2 shown]
	v_add_u32_e32 v39, -4, v39
	global_store_byte v[18:19], v44, off
	v_and_or_b32 v18, v54, s25, v40
	v_lshlrev_b16_e32 v19, 8, v41
	v_lshlrev_b16_e32 v3, 8, v3
	v_cmp_eq_u32_e64 s[6:7], 0, v39
	v_lshrrev_b32_e32 v19, 8, v19
	v_or_b32_sdwa v3, v18, v3 dst_sel:DWORD dst_unused:UNUSED_PAD src0_sel:BYTE_0 src1_sel:DWORD
	v_add_u32_e32 v11, 64, v11
	v_add_u32_e32 v10, 64, v10
	;; [unrolled: 1-line block ×5, first 2 shown]
	s_or_b64 s[18:19], s[6:7], s[18:19]
	global_store_byte v[4:5], v19, off
	global_store_byte v[14:15], v3, off
	v_lshrrev_b32_e32 v3, 8, v3
	global_store_byte v[16:17], v3, off
	s_andn2_b64 exec, exec, s[18:19]
	s_cbranch_execnz .LBB17_89
; %bb.90:
	s_or_b64 exec, exec, s[18:19]
	v_cmp_ne_u32_e32 vcc, v25, v26
	v_lshl_add_u32 v2, v26, 4, v2
	s_and_b64 s[0:1], vcc, exec
                                        ; implicit-def: $vgpr9
	s_andn2_saveexec_b64 s[2:3], s[16:17]
	s_cbranch_execz .LBB17_87
.LBB17_91:
	v_lshlrev_b32_e32 v24, 1, v9
	s_or_b64 s[0:1], s[0:1], exec
	s_or_b64 exec, exec, s[2:3]
	s_and_b64 exec, exec, s[0:1]
	s_cbranch_execz .LBB17_100
.LBB17_92:
	v_add_co_u32_e32 v3, vcc, v21, v12
	v_addc_co_u32_e32 v4, vcc, v22, v13, vcc
	v_ashrrev_i32_e32 v5, 31, v2
	v_add_co_u32_e32 v3, vcc, v3, v2
	v_addc_co_u32_e32 v5, vcc, v4, v5, vcc
	v_lshl_add_u32 v1, v2, 1, v24
	v_mov_b32_e32 v6, s9
	v_add_co_u32_e32 v4, vcc, s8, v3
	v_add3_u32 v1, v1, v23, 0
	v_addc_co_u32_e32 v5, vcc, v6, v5, vcc
	s_mov_b64 s[0:1], 0
	v_max_f32_e64 v3, s10, s10
	v_max_f32_e64 v6, s11, s11
	s_mov_b32 s6, 0x43f00000
	s_mov_b32 s7, 0x3c7fffff
	;; [unrolled: 1-line block ×4, first 2 shown]
	s_movk_i32 s18, 0x80
	s_branch .LBB17_95
.LBB17_93:                              ;   in Loop: Header=BB17_95 Depth=1
	s_or_b64 exec, exec, s[4:5]
.LBB17_94:                              ;   in Loop: Header=BB17_95 Depth=1
	s_or_b64 exec, exec, s[2:3]
	v_lshrrev_b32_e32 v7, 24, v7
	v_add_u32_e32 v2, 16, v2
	v_and_or_b32 v7, v7, s18, v8
	v_cmp_ge_i32_e32 vcc, v2, v20
	global_store_byte v[4:5], v7, off
	s_or_b64 s[0:1], vcc, s[0:1]
	v_add_co_u32_e32 v4, vcc, 16, v4
	v_add_u32_e32 v1, 32, v1
	v_addc_co_u32_e32 v5, vcc, 0, v5, vcc
	s_andn2_b64 exec, exec, s[0:1]
	s_cbranch_execz .LBB17_100
.LBB17_95:                              ; =>This Inner Loop Header: Depth=1
	ds_read_u16 v7, v1
	s_waitcnt lgkmcnt(0)
	v_cvt_f32_f16_e32 v7, v7
	v_div_scale_f32 v8, s[2:3], v0, v0, v7
	v_rcp_f32_e32 v9, v8
	v_div_scale_f32 v10, vcc, v7, v0, v7
	v_fma_f32 v11, -v8, v9, 1.0
	v_fmac_f32_e32 v9, v11, v9
	v_mul_f32_e32 v11, v10, v9
	v_fma_f32 v12, -v8, v11, v10
	v_fmac_f32_e32 v11, v12, v9
	v_fma_f32 v8, -v8, v11, v10
	v_div_fmas_f32 v8, v8, v9, v11
	v_div_fixup_f32 v7, v8, v0, v7
	v_max_f32_e32 v7, v7, v3
	v_min_f32_e32 v7, v7, v6
	v_and_b32_e32 v9, 0x7fffffff, v7
	v_cmp_gt_u32_e32 vcc, s6, v9
	v_mov_b32_e32 v8, 0x7f
	s_and_saveexec_b64 s[2:3], vcc
	s_cbranch_execz .LBB17_94
; %bb.96:                               ;   in Loop: Header=BB17_95 Depth=1
	v_cmp_lt_u32_e32 vcc, s7, v9
                                        ; implicit-def: $vgpr8
	s_and_saveexec_b64 s[4:5], vcc
	s_xor_b64 s[4:5], exec, s[4:5]
; %bb.97:                               ;   in Loop: Header=BB17_95 Depth=1
	v_bfe_u32 v8, v7, 20, 1
	v_add3_u32 v8, v7, v8, s16
	v_lshrrev_b32_e32 v8, 20, v8
; %bb.98:                               ;   in Loop: Header=BB17_95 Depth=1
	s_andn2_saveexec_b64 s[4:5], s[4:5]
	s_cbranch_execz .LBB17_93
; %bb.99:                               ;   in Loop: Header=BB17_95 Depth=1
	v_add_f32_e64 v8, |v7|, s17
	s_branch .LBB17_93
.LBB17_100:
	s_or_b64 exec, exec, s[14:15]
                                        ; implicit-def: $vgpr8
                                        ; implicit-def: $vgpr0
                                        ; implicit-def: $vgpr9
                                        ; implicit-def: $vgpr12_vgpr13
.LBB17_101:
	s_andn2_saveexec_b64 s[0:1], s[12:13]
	s_cbranch_execz .LBB17_153
; %bb.102:
	s_ashr_i32 s6, s21, 3
	v_cmp_gt_i32_e32 vcc, s6, v8
	s_and_saveexec_b64 s[0:1], vcc
	s_cbranch_execz .LBB17_153
; %bb.103:
	v_lshlrev_b32_e32 v1, 1, v9
	v_lshlrev_b32_e32 v2, 4, v8
	v_add3_u32 v1, v1, v2, 0
	v_lshlrev_b32_e32 v2, 3, v8
	v_add_co_u32_e32 v2, vcc, v12, v2
	v_addc_co_u32_e32 v3, vcc, 0, v13, vcc
	v_mov_b32_e32 v4, s9
	v_add_co_u32_e32 v6, vcc, s8, v2
	v_addc_co_u32_e32 v7, vcc, v4, v3, vcc
	s_mov_b64 s[2:3], 0
	v_max_f32_e64 v9, s10, s10
	v_max_f32_e64 v10, s11, s11
	s_mov_b32 s7, 0x43f00000
	s_mov_b32 s8, 0x3c7fffff
	;; [unrolled: 1-line block ×4, first 2 shown]
	s_movk_i32 s11, 0x80
	s_movk_i32 s12, 0xff
	s_branch .LBB17_106
.LBB17_104:                             ;   in Loop: Header=BB17_106 Depth=1
	s_or_b64 exec, exec, s[4:5]
.LBB17_105:                             ;   in Loop: Header=BB17_106 Depth=1
	s_or_b64 exec, exec, s[0:1]
	v_and_b32_sdwa v21, v21, s11 dst_sel:DWORD dst_unused:UNUSED_PAD src0_sel:BYTE_3 src1_sel:DWORD
	v_lshrrev_b32_e32 v5, 24, v5
	v_and_b32_sdwa v4, v4, s11 dst_sel:DWORD dst_unused:UNUSED_PAD src0_sel:BYTE_3 src1_sel:DWORD
	v_and_or_b32 v5, v5, s11, v20
	v_and_or_b32 v20, v22, s12, v21
	v_and_b32_sdwa v19, v19, s11 dst_sel:DWORD dst_unused:UNUSED_PAD src0_sel:BYTE_3 src1_sel:DWORD
	v_lshlrev_b32_e32 v5, 24, v5
	v_lshlrev_b32_e32 v20, 16, v20
	v_and_or_b32 v4, v17, s12, v4
	v_and_b32_sdwa v16, v16, s11 dst_sel:DWORD dst_unused:UNUSED_PAD src0_sel:BYTE_3 src1_sel:DWORD
	v_or_b32_e32 v5, v5, v20
	v_lshlrev_b32_e32 v4, 8, v4
	v_and_or_b32 v17, v18, s12, v19
	v_and_b32_sdwa v2, v2, s11 dst_sel:DWORD dst_unused:UNUSED_PAD src0_sel:BYTE_3 src1_sel:DWORD
	v_or3_b32 v5, v5, v4, v17
	v_lshlrev_b32_e32 v4, 24, v14
	v_and_or_b32 v14, v15, s12, v16
	v_and_b32_sdwa v13, v13, s11 dst_sel:DWORD dst_unused:UNUSED_PAD src0_sel:BYTE_3 src1_sel:DWORD
	v_and_b32_e32 v3, 0x80000000, v3
	v_lshlrev_b32_e32 v14, 16, v14
	v_and_or_b32 v2, v11, s12, v2
	v_lshlrev_b32_e32 v2, 8, v2
	v_or3_b32 v3, v4, v3, v14
	v_and_or_b32 v4, v12, s12, v13
	v_or3_b32 v4, v3, v2, v4
	v_add_u32_e32 v8, 16, v8
	global_store_dwordx2 v[6:7], v[4:5], off
	v_add_co_u32_e32 v6, vcc, 0x80, v6
	v_cmp_le_i32_e64 s[0:1], s6, v8
	v_add_u32_e32 v1, 0x100, v1
	s_or_b64 s[2:3], s[0:1], s[2:3]
	v_addc_co_u32_e32 v7, vcc, 0, v7, vcc
	s_andn2_b64 exec, exec, s[2:3]
	s_cbranch_execz .LBB17_153
.LBB17_106:                             ; =>This Inner Loop Header: Depth=1
	ds_read_b128 v[2:5], v1
	v_mov_b32_e32 v11, 0x7f
	s_waitcnt lgkmcnt(0)
	v_cvt_f32_f16_e32 v12, v2
	v_div_scale_f32 v13, s[0:1], v0, v0, v12
	v_rcp_f32_e32 v14, v13
	v_div_scale_f32 v15, vcc, v12, v0, v12
	v_fma_f32 v16, -v13, v14, 1.0
	v_fmac_f32_e32 v14, v16, v14
	v_mul_f32_e32 v16, v15, v14
	v_fma_f32 v17, -v13, v16, v15
	v_fmac_f32_e32 v16, v17, v14
	v_fma_f32 v13, -v13, v16, v15
	v_div_fmas_f32 v13, v13, v14, v16
	v_div_fixup_f32 v12, v13, v0, v12
	v_max_f32_e32 v12, v12, v9
	v_min_f32_e32 v13, v12, v10
	v_and_b32_e32 v14, 0x7fffffff, v13
	v_cmp_gt_u32_e32 vcc, s7, v14
	v_mov_b32_e32 v12, 0x7f
	s_and_saveexec_b64 s[0:1], vcc
	s_cbranch_execz .LBB17_112
; %bb.107:                              ;   in Loop: Header=BB17_106 Depth=1
	v_cmp_lt_u32_e32 vcc, s8, v14
                                        ; implicit-def: $vgpr12
	s_and_saveexec_b64 s[4:5], vcc
	s_xor_b64 s[4:5], exec, s[4:5]
; %bb.108:                              ;   in Loop: Header=BB17_106 Depth=1
	v_bfe_u32 v12, v13, 20, 1
	v_add3_u32 v12, v13, v12, s9
	v_lshrrev_b32_e32 v12, 20, v12
; %bb.109:                              ;   in Loop: Header=BB17_106 Depth=1
	s_andn2_saveexec_b64 s[4:5], s[4:5]
; %bb.110:                              ;   in Loop: Header=BB17_106 Depth=1
	v_add_f32_e64 v12, |v13|, s10
; %bb.111:                              ;   in Loop: Header=BB17_106 Depth=1
	s_or_b64 exec, exec, s[4:5]
.LBB17_112:                             ;   in Loop: Header=BB17_106 Depth=1
	s_or_b64 exec, exec, s[0:1]
	v_cvt_f32_f16_sdwa v2, v2 dst_sel:DWORD dst_unused:UNUSED_PAD src0_sel:WORD_1
	v_div_scale_f32 v14, s[0:1], v0, v0, v2
	v_rcp_f32_e32 v15, v14
	v_div_scale_f32 v16, vcc, v2, v0, v2
	v_fma_f32 v17, -v14, v15, 1.0
	v_fmac_f32_e32 v15, v17, v15
	v_mul_f32_e32 v17, v16, v15
	v_fma_f32 v18, -v14, v17, v16
	v_fmac_f32_e32 v17, v18, v15
	v_fma_f32 v14, -v14, v17, v16
	v_div_fmas_f32 v14, v14, v15, v17
	v_div_fixup_f32 v2, v14, v0, v2
	v_max_f32_e32 v2, v2, v9
	v_min_f32_e32 v2, v2, v10
	v_and_b32_e32 v14, 0x7fffffff, v2
	v_cmp_gt_u32_e32 vcc, s7, v14
	s_and_saveexec_b64 s[0:1], vcc
	s_cbranch_execz .LBB17_118
; %bb.113:                              ;   in Loop: Header=BB17_106 Depth=1
	v_cmp_lt_u32_e32 vcc, s8, v14
                                        ; implicit-def: $vgpr11
	s_and_saveexec_b64 s[4:5], vcc
	s_xor_b64 s[4:5], exec, s[4:5]
; %bb.114:                              ;   in Loop: Header=BB17_106 Depth=1
	v_bfe_u32 v11, v2, 20, 1
	v_add3_u32 v11, v2, v11, s9
	v_lshrrev_b32_e32 v11, 20, v11
; %bb.115:                              ;   in Loop: Header=BB17_106 Depth=1
	s_andn2_saveexec_b64 s[4:5], s[4:5]
; %bb.116:                              ;   in Loop: Header=BB17_106 Depth=1
	v_add_f32_e64 v11, |v2|, s10
; %bb.117:                              ;   in Loop: Header=BB17_106 Depth=1
	s_or_b64 exec, exec, s[4:5]
.LBB17_118:                             ;   in Loop: Header=BB17_106 Depth=1
	s_or_b64 exec, exec, s[0:1]
	v_cvt_f32_f16_e32 v15, v3
	v_mov_b32_e32 v14, 0x7f
	v_div_scale_f32 v16, s[0:1], v0, v0, v15
	v_rcp_f32_e32 v17, v16
	v_div_scale_f32 v18, vcc, v15, v0, v15
	v_fma_f32 v19, -v16, v17, 1.0
	v_fmac_f32_e32 v17, v19, v17
	v_mul_f32_e32 v19, v18, v17
	v_fma_f32 v20, -v16, v19, v18
	v_fmac_f32_e32 v19, v20, v17
	v_fma_f32 v16, -v16, v19, v18
	v_div_fmas_f32 v16, v16, v17, v19
	v_div_fixup_f32 v15, v16, v0, v15
	v_max_f32_e32 v15, v15, v9
	v_min_f32_e32 v16, v15, v10
	v_and_b32_e32 v17, 0x7fffffff, v16
	v_cmp_gt_u32_e32 vcc, s7, v17
	v_mov_b32_e32 v15, 0x7f
	s_and_saveexec_b64 s[0:1], vcc
	s_cbranch_execz .LBB17_124
; %bb.119:                              ;   in Loop: Header=BB17_106 Depth=1
	v_cmp_lt_u32_e32 vcc, s8, v17
                                        ; implicit-def: $vgpr15
	s_and_saveexec_b64 s[4:5], vcc
	s_xor_b64 s[4:5], exec, s[4:5]
; %bb.120:                              ;   in Loop: Header=BB17_106 Depth=1
	v_bfe_u32 v15, v16, 20, 1
	v_add3_u32 v15, v16, v15, s9
	v_lshrrev_b32_e32 v15, 20, v15
; %bb.121:                              ;   in Loop: Header=BB17_106 Depth=1
	s_andn2_saveexec_b64 s[4:5], s[4:5]
; %bb.122:                              ;   in Loop: Header=BB17_106 Depth=1
	v_add_f32_e64 v15, |v16|, s10
; %bb.123:                              ;   in Loop: Header=BB17_106 Depth=1
	s_or_b64 exec, exec, s[4:5]
.LBB17_124:                             ;   in Loop: Header=BB17_106 Depth=1
	s_or_b64 exec, exec, s[0:1]
	v_cvt_f32_f16_sdwa v3, v3 dst_sel:DWORD dst_unused:UNUSED_PAD src0_sel:WORD_1
	v_div_scale_f32 v17, s[0:1], v0, v0, v3
	v_rcp_f32_e32 v18, v17
	v_div_scale_f32 v19, vcc, v3, v0, v3
	v_fma_f32 v20, -v17, v18, 1.0
	v_fmac_f32_e32 v18, v20, v18
	v_mul_f32_e32 v20, v19, v18
	v_fma_f32 v21, -v17, v20, v19
	v_fmac_f32_e32 v20, v21, v18
	v_fma_f32 v17, -v17, v20, v19
	v_div_fmas_f32 v17, v17, v18, v20
	v_div_fixup_f32 v3, v17, v0, v3
	v_max_f32_e32 v3, v3, v9
	v_min_f32_e32 v3, v3, v10
	v_and_b32_e32 v17, 0x7fffffff, v3
	v_cmp_gt_u32_e32 vcc, s7, v17
	s_and_saveexec_b64 s[0:1], vcc
	s_cbranch_execz .LBB17_130
; %bb.125:                              ;   in Loop: Header=BB17_106 Depth=1
	v_cmp_lt_u32_e32 vcc, s8, v17
                                        ; implicit-def: $vgpr14
	s_and_saveexec_b64 s[4:5], vcc
	s_xor_b64 s[4:5], exec, s[4:5]
; %bb.126:                              ;   in Loop: Header=BB17_106 Depth=1
	v_bfe_u32 v14, v3, 20, 1
	v_add3_u32 v14, v3, v14, s9
	v_lshrrev_b32_e32 v14, 20, v14
; %bb.127:                              ;   in Loop: Header=BB17_106 Depth=1
	s_andn2_saveexec_b64 s[4:5], s[4:5]
; %bb.128:                              ;   in Loop: Header=BB17_106 Depth=1
	v_add_f32_e64 v14, |v3|, s10
; %bb.129:                              ;   in Loop: Header=BB17_106 Depth=1
	s_or_b64 exec, exec, s[4:5]
.LBB17_130:                             ;   in Loop: Header=BB17_106 Depth=1
	s_or_b64 exec, exec, s[0:1]
	v_cvt_f32_f16_e32 v18, v4
	v_mov_b32_e32 v17, 0x7f
	v_div_scale_f32 v19, s[0:1], v0, v0, v18
	v_rcp_f32_e32 v20, v19
	v_div_scale_f32 v21, vcc, v18, v0, v18
	v_fma_f32 v22, -v19, v20, 1.0
	v_fmac_f32_e32 v20, v22, v20
	v_mul_f32_e32 v22, v21, v20
	v_fma_f32 v23, -v19, v22, v21
	v_fmac_f32_e32 v22, v23, v20
	v_fma_f32 v19, -v19, v22, v21
	v_div_fmas_f32 v19, v19, v20, v22
	v_div_fixup_f32 v18, v19, v0, v18
	v_max_f32_e32 v18, v18, v9
	v_min_f32_e32 v19, v18, v10
	v_and_b32_e32 v20, 0x7fffffff, v19
	v_cmp_gt_u32_e32 vcc, s7, v20
	v_mov_b32_e32 v18, 0x7f
	s_and_saveexec_b64 s[0:1], vcc
	s_cbranch_execz .LBB17_136
; %bb.131:                              ;   in Loop: Header=BB17_106 Depth=1
	v_cmp_lt_u32_e32 vcc, s8, v20
                                        ; implicit-def: $vgpr18
	s_and_saveexec_b64 s[4:5], vcc
	s_xor_b64 s[4:5], exec, s[4:5]
; %bb.132:                              ;   in Loop: Header=BB17_106 Depth=1
	v_bfe_u32 v18, v19, 20, 1
	v_add3_u32 v18, v19, v18, s9
	v_lshrrev_b32_e32 v18, 20, v18
; %bb.133:                              ;   in Loop: Header=BB17_106 Depth=1
	s_andn2_saveexec_b64 s[4:5], s[4:5]
; %bb.134:                              ;   in Loop: Header=BB17_106 Depth=1
	v_add_f32_e64 v18, |v19|, s10
; %bb.135:                              ;   in Loop: Header=BB17_106 Depth=1
	s_or_b64 exec, exec, s[4:5]
.LBB17_136:                             ;   in Loop: Header=BB17_106 Depth=1
	s_or_b64 exec, exec, s[0:1]
	v_cvt_f32_f16_sdwa v4, v4 dst_sel:DWORD dst_unused:UNUSED_PAD src0_sel:WORD_1
	v_div_scale_f32 v20, s[0:1], v0, v0, v4
	v_rcp_f32_e32 v21, v20
	v_div_scale_f32 v22, vcc, v4, v0, v4
	v_fma_f32 v23, -v20, v21, 1.0
	v_fmac_f32_e32 v21, v23, v21
	v_mul_f32_e32 v23, v22, v21
	v_fma_f32 v24, -v20, v23, v22
	v_fmac_f32_e32 v23, v24, v21
	v_fma_f32 v20, -v20, v23, v22
	v_div_fmas_f32 v20, v20, v21, v23
	v_div_fixup_f32 v4, v20, v0, v4
	v_max_f32_e32 v4, v4, v9
	v_min_f32_e32 v4, v4, v10
	v_and_b32_e32 v20, 0x7fffffff, v4
	v_cmp_gt_u32_e32 vcc, s7, v20
	s_and_saveexec_b64 s[0:1], vcc
	s_cbranch_execz .LBB17_142
; %bb.137:                              ;   in Loop: Header=BB17_106 Depth=1
	v_cmp_lt_u32_e32 vcc, s8, v20
                                        ; implicit-def: $vgpr17
	s_and_saveexec_b64 s[4:5], vcc
	s_xor_b64 s[4:5], exec, s[4:5]
; %bb.138:                              ;   in Loop: Header=BB17_106 Depth=1
	v_bfe_u32 v17, v4, 20, 1
	v_add3_u32 v17, v4, v17, s9
	v_lshrrev_b32_e32 v17, 20, v17
; %bb.139:                              ;   in Loop: Header=BB17_106 Depth=1
	s_andn2_saveexec_b64 s[4:5], s[4:5]
; %bb.140:                              ;   in Loop: Header=BB17_106 Depth=1
	v_add_f32_e64 v17, |v4|, s10
; %bb.141:                              ;   in Loop: Header=BB17_106 Depth=1
	s_or_b64 exec, exec, s[4:5]
.LBB17_142:                             ;   in Loop: Header=BB17_106 Depth=1
	s_or_b64 exec, exec, s[0:1]
	v_cvt_f32_f16_e32 v21, v5
	v_mov_b32_e32 v20, 0x7f
	v_div_scale_f32 v22, s[0:1], v0, v0, v21
	v_rcp_f32_e32 v23, v22
	v_div_scale_f32 v24, vcc, v21, v0, v21
	v_fma_f32 v25, -v22, v23, 1.0
	v_fmac_f32_e32 v23, v25, v23
	v_mul_f32_e32 v25, v24, v23
	v_fma_f32 v26, -v22, v25, v24
	v_fmac_f32_e32 v25, v26, v23
	v_fma_f32 v22, -v22, v25, v24
	v_div_fmas_f32 v22, v22, v23, v25
	v_div_fixup_f32 v21, v22, v0, v21
	v_max_f32_e32 v21, v21, v9
	v_min_f32_e32 v21, v21, v10
	v_and_b32_e32 v23, 0x7fffffff, v21
	v_cmp_gt_u32_e32 vcc, s7, v23
	v_mov_b32_e32 v22, 0x7f
	s_and_saveexec_b64 s[0:1], vcc
	s_cbranch_execz .LBB17_148
; %bb.143:                              ;   in Loop: Header=BB17_106 Depth=1
	v_cmp_lt_u32_e32 vcc, s8, v23
                                        ; implicit-def: $vgpr22
	s_and_saveexec_b64 s[4:5], vcc
	s_xor_b64 s[4:5], exec, s[4:5]
; %bb.144:                              ;   in Loop: Header=BB17_106 Depth=1
	v_bfe_u32 v22, v21, 20, 1
	v_add3_u32 v22, v21, v22, s9
	v_lshrrev_b32_e32 v22, 20, v22
; %bb.145:                              ;   in Loop: Header=BB17_106 Depth=1
	s_andn2_saveexec_b64 s[4:5], s[4:5]
; %bb.146:                              ;   in Loop: Header=BB17_106 Depth=1
	v_add_f32_e64 v22, |v21|, s10
; %bb.147:                              ;   in Loop: Header=BB17_106 Depth=1
	s_or_b64 exec, exec, s[4:5]
.LBB17_148:                             ;   in Loop: Header=BB17_106 Depth=1
	s_or_b64 exec, exec, s[0:1]
	v_cvt_f32_f16_sdwa v5, v5 dst_sel:DWORD dst_unused:UNUSED_PAD src0_sel:WORD_1
	v_div_scale_f32 v23, s[0:1], v0, v0, v5
	v_rcp_f32_e32 v24, v23
	v_div_scale_f32 v25, vcc, v5, v0, v5
	v_fma_f32 v26, -v23, v24, 1.0
	v_fmac_f32_e32 v24, v26, v24
	v_mul_f32_e32 v26, v25, v24
	v_fma_f32 v27, -v23, v26, v25
	v_fmac_f32_e32 v26, v27, v24
	v_fma_f32 v23, -v23, v26, v25
	v_div_fmas_f32 v23, v23, v24, v26
	v_div_fixup_f32 v5, v23, v0, v5
	v_max_f32_e32 v5, v5, v9
	v_min_f32_e32 v5, v5, v10
	v_and_b32_e32 v23, 0x7fffffff, v5
	v_cmp_gt_u32_e32 vcc, s7, v23
	s_and_saveexec_b64 s[0:1], vcc
	s_cbranch_execz .LBB17_105
; %bb.149:                              ;   in Loop: Header=BB17_106 Depth=1
	v_cmp_lt_u32_e32 vcc, s8, v23
                                        ; implicit-def: $vgpr20
	s_and_saveexec_b64 s[4:5], vcc
	s_xor_b64 s[4:5], exec, s[4:5]
; %bb.150:                              ;   in Loop: Header=BB17_106 Depth=1
	v_bfe_u32 v20, v5, 20, 1
	v_add3_u32 v20, v5, v20, s9
	v_lshrrev_b32_e32 v20, 20, v20
; %bb.151:                              ;   in Loop: Header=BB17_106 Depth=1
	s_andn2_saveexec_b64 s[4:5], s[4:5]
	s_cbranch_execz .LBB17_104
; %bb.152:                              ;   in Loop: Header=BB17_106 Depth=1
	v_add_f32_e64 v20, |v5|, s10
	s_branch .LBB17_104
.LBB17_153:
	s_endpgm
	.section	.rodata,"a",@progbits
	.p2align	6, 0x0
	.amdhsa_kernel _Z33per_token_group_quant_8bit_kernelIN3c104HalfENS0_13Float8_e4m3fnELb1ELb0EfEvPKT_PvPT3_iiifffii
		.amdhsa_group_segment_fixed_size 0
		.amdhsa_private_segment_fixed_size 0
		.amdhsa_kernarg_size 56
		.amdhsa_user_sgpr_count 6
		.amdhsa_user_sgpr_private_segment_buffer 1
		.amdhsa_user_sgpr_dispatch_ptr 0
		.amdhsa_user_sgpr_queue_ptr 0
		.amdhsa_user_sgpr_kernarg_segment_ptr 1
		.amdhsa_user_sgpr_dispatch_id 0
		.amdhsa_user_sgpr_flat_scratch_init 0
		.amdhsa_user_sgpr_kernarg_preload_length 0
		.amdhsa_user_sgpr_kernarg_preload_offset 0
		.amdhsa_user_sgpr_private_segment_size 0
		.amdhsa_uses_dynamic_stack 0
		.amdhsa_system_sgpr_private_segment_wavefront_offset 0
		.amdhsa_system_sgpr_workgroup_id_x 1
		.amdhsa_system_sgpr_workgroup_id_y 0
		.amdhsa_system_sgpr_workgroup_id_z 0
		.amdhsa_system_sgpr_workgroup_info 0
		.amdhsa_system_vgpr_workitem_id 0
		.amdhsa_next_free_vgpr 60
		.amdhsa_next_free_sgpr 26
		.amdhsa_accum_offset 60
		.amdhsa_reserve_vcc 1
		.amdhsa_reserve_flat_scratch 0
		.amdhsa_float_round_mode_32 0
		.amdhsa_float_round_mode_16_64 0
		.amdhsa_float_denorm_mode_32 3
		.amdhsa_float_denorm_mode_16_64 3
		.amdhsa_dx10_clamp 1
		.amdhsa_ieee_mode 1
		.amdhsa_fp16_overflow 0
		.amdhsa_tg_split 0
		.amdhsa_exception_fp_ieee_invalid_op 0
		.amdhsa_exception_fp_denorm_src 0
		.amdhsa_exception_fp_ieee_div_zero 0
		.amdhsa_exception_fp_ieee_overflow 0
		.amdhsa_exception_fp_ieee_underflow 0
		.amdhsa_exception_fp_ieee_inexact 0
		.amdhsa_exception_int_div_zero 0
	.end_amdhsa_kernel
	.section	.text._Z33per_token_group_quant_8bit_kernelIN3c104HalfENS0_13Float8_e4m3fnELb1ELb0EfEvPKT_PvPT3_iiifffii,"axG",@progbits,_Z33per_token_group_quant_8bit_kernelIN3c104HalfENS0_13Float8_e4m3fnELb1ELb0EfEvPKT_PvPT3_iiifffii,comdat
.Lfunc_end17:
	.size	_Z33per_token_group_quant_8bit_kernelIN3c104HalfENS0_13Float8_e4m3fnELb1ELb0EfEvPKT_PvPT3_iiifffii, .Lfunc_end17-_Z33per_token_group_quant_8bit_kernelIN3c104HalfENS0_13Float8_e4m3fnELb1ELb0EfEvPKT_PvPT3_iiifffii
                                        ; -- End function
	.section	.AMDGPU.csdata,"",@progbits
; Kernel info:
; codeLenInByte = 7412
; NumSgprs: 30
; NumVgprs: 60
; NumAgprs: 0
; TotalNumVgprs: 60
; ScratchSize: 0
; MemoryBound: 0
; FloatMode: 240
; IeeeMode: 1
; LDSByteSize: 0 bytes/workgroup (compile time only)
; SGPRBlocks: 3
; VGPRBlocks: 7
; NumSGPRsForWavesPerEU: 30
; NumVGPRsForWavesPerEU: 60
; AccumOffset: 60
; Occupancy: 8
; WaveLimiterHint : 0
; COMPUTE_PGM_RSRC2:SCRATCH_EN: 0
; COMPUTE_PGM_RSRC2:USER_SGPR: 6
; COMPUTE_PGM_RSRC2:TRAP_HANDLER: 0
; COMPUTE_PGM_RSRC2:TGID_X_EN: 1
; COMPUTE_PGM_RSRC2:TGID_Y_EN: 0
; COMPUTE_PGM_RSRC2:TGID_Z_EN: 0
; COMPUTE_PGM_RSRC2:TIDIG_COMP_CNT: 0
; COMPUTE_PGM_RSRC3_GFX90A:ACCUM_OFFSET: 14
; COMPUTE_PGM_RSRC3_GFX90A:TG_SPLIT: 0
	.section	.text._Z33per_token_group_quant_8bit_kernelIN3c104HalfENS0_13Float8_e4m3fnELb0ELb1EfEvPKT_PvPT3_iiifffii,"axG",@progbits,_Z33per_token_group_quant_8bit_kernelIN3c104HalfENS0_13Float8_e4m3fnELb0ELb1EfEvPKT_PvPT3_iiifffii,comdat
	.protected	_Z33per_token_group_quant_8bit_kernelIN3c104HalfENS0_13Float8_e4m3fnELb0ELb1EfEvPKT_PvPT3_iiifffii ; -- Begin function _Z33per_token_group_quant_8bit_kernelIN3c104HalfENS0_13Float8_e4m3fnELb0ELb1EfEvPKT_PvPT3_iiifffii
	.globl	_Z33per_token_group_quant_8bit_kernelIN3c104HalfENS0_13Float8_e4m3fnELb0ELb1EfEvPKT_PvPT3_iiifffii
	.p2align	8
	.type	_Z33per_token_group_quant_8bit_kernelIN3c104HalfENS0_13Float8_e4m3fnELb0ELb1EfEvPKT_PvPT3_iiifffii,@function
_Z33per_token_group_quant_8bit_kernelIN3c104HalfENS0_13Float8_e4m3fnELb0ELb1EfEvPKT_PvPT3_iiifffii: ; @_Z33per_token_group_quant_8bit_kernelIN3c104HalfENS0_13Float8_e4m3fnELb0ELb1EfEvPKT_PvPT3_iiifffii
; %bb.0:
	s_load_dword s21, s[4:5], 0x18
	s_load_dwordx4 s[8:11], s[4:5], 0x20
	s_load_dwordx2 s[2:3], s[4:5], 0x0
	v_lshrrev_b32_e32 v4, 4, v0
	v_and_b32_e32 v8, 15, v0
	s_waitcnt lgkmcnt(0)
	s_ashr_i32 s7, s21, 31
	s_mul_i32 s6, s6, s8
	v_add_co_u32_e32 v2, vcc, s6, v4
	v_addc_co_u32_e64 v3, s[0:1], 0, 0, vcc
	v_mul_lo_u32 v0, v3, s21
	v_mul_lo_u32 v1, v2, s7
	v_mad_u64_u32 v[12:13], s[0:1], v2, s21, 0
	v_add3_u32 v13, v13, v1, v0
	v_lshlrev_b64 v[0:1], 1, v[12:13]
	s_and_b32 s6, s21, 7
	v_mov_b32_e32 v6, s3
	v_add_co_u32_e32 v5, vcc, s2, v0
	s_cmp_eq_u32 s6, 0
	v_addc_co_u32_e32 v6, vcc, v6, v1, vcc
	v_mov_b32_e32 v15, 0
	v_and_b32_e32 v14, 15, v5
	s_cselect_b64 s[0:1], -1, 0
	s_cmp_lg_u32 s6, 0
	v_mul_lo_u32 v9, v4, s21
	v_cmp_ne_u64_e32 vcc, 0, v[14:15]
	s_cselect_b64 s[6:7], -1, 0
	v_lshl_add_u32 v11, v9, 1, 0
	s_or_b64 s[6:7], s[6:7], vcc
                                        ; implicit-def: $vgpr10
	s_and_saveexec_b64 s[12:13], s[6:7]
	s_xor_b64 s[6:7], exec, s[12:13]
	s_cbranch_execz .LBB18_12
; %bb.1:
	v_sub_u32_e32 v4, 0, v5
	v_bfe_u32 v4, v4, 1, 3
	v_min_i32_e32 v4, s21, v4
	v_cmp_gt_i32_e32 vcc, v4, v8
	v_mov_b32_e32 v10, s9
	s_and_saveexec_b64 s[12:13], vcc
	s_cbranch_execz .LBB18_3
; %bb.2:
	v_lshlrev_b32_e32 v7, 1, v8
	v_add_co_u32_e32 v14, vcc, v5, v7
	v_addc_co_u32_e32 v15, vcc, 0, v6, vcc
	global_load_ushort v5, v[14:15], off
	v_max_f32_e64 v10, s9, s9
	v_add_u32_e32 v7, v11, v7
	s_waitcnt vmcnt(0)
	v_cvt_f32_f16_e64 v6, |v5|
	ds_write_b16 v7, v5
	v_max_f32_e32 v10, v10, v6
.LBB18_3:
	s_or_b64 exec, exec, s[12:13]
	v_sub_u32_e32 v14, s21, v4
	v_ashrrev_i32_e32 v6, 31, v14
	v_lshrrev_b32_e32 v6, 29, v6
	v_add_u32_e32 v6, v14, v6
	v_ashrrev_i32_e32 v5, 31, v4
	v_ashrrev_i32_e32 v15, 3, v6
	v_cmp_gt_i32_e32 vcc, v15, v8
	v_lshlrev_b32_e32 v16, 1, v4
	v_lshlrev_b64 v[4:5], 1, v[4:5]
	s_and_saveexec_b64 s[12:13], vcc
	s_cbranch_execz .LBB18_7
; %bb.4:
	v_lshlrev_b32_e32 v6, 4, v8
	v_lshl_add_u32 v7, v9, 1, v6
	v_add_co_u32_e32 v6, vcc, v0, v6
	v_add3_u32 v17, v7, v16, 0
	v_addc_co_u32_e32 v7, vcc, 0, v1, vcc
	v_add_co_u32_e32 v6, vcc, v6, v4
	v_addc_co_u32_e32 v7, vcc, v7, v5, vcc
	v_mov_b32_e32 v18, s3
	v_add_co_u32_e32 v6, vcc, s2, v6
	v_addc_co_u32_e32 v7, vcc, v7, v18, vcc
	v_add_co_u32_e32 v6, vcc, 8, v6
	v_addc_co_u32_e32 v7, vcc, 0, v7, vcc
	s_mov_b64 s[14:15], 0
	v_mov_b32_e32 v18, v8
.LBB18_5:                               ; =>This Inner Loop Header: Depth=1
	global_load_dwordx4 v[20:23], v[6:7], off offset:-8
	v_add_co_u32_e32 v6, vcc, 0x100, v6
	v_add_u32_e32 v18, 16, v18
	v_addc_co_u32_e32 v7, vcc, 0, v7, vcc
	v_cmp_ge_i32_e32 vcc, v18, v15
	s_or_b64 s[14:15], vcc, s[14:15]
	s_waitcnt vmcnt(0)
	v_cvt_f32_f16_e64 v19, |v20|
	v_cvt_f32_f16_sdwa v24, |v20| dst_sel:DWORD dst_unused:UNUSED_PAD src0_sel:WORD_1
	v_cvt_f32_f16_e64 v25, |v21|
	v_cvt_f32_f16_sdwa v26, |v21| dst_sel:DWORD dst_unused:UNUSED_PAD src0_sel:WORD_1
	;; [unrolled: 2-line block ×4, first 2 shown]
	v_max3_f32 v10, v10, v19, v24
	v_max3_f32 v10, v10, v25, v26
	;; [unrolled: 1-line block ×3, first 2 shown]
	ds_write_b128 v17, v[20:23]
	v_add_u32_e32 v17, 0x100, v17
	v_max3_f32 v10, v10, v29, v30
	s_andn2_b64 exec, exec, s[14:15]
	s_cbranch_execnz .LBB18_5
; %bb.6:
	s_or_b64 exec, exec, s[14:15]
.LBB18_7:
	s_or_b64 exec, exec, s[12:13]
	v_lshl_add_u32 v6, v15, 3, v8
	v_cmp_lt_i32_e32 vcc, v6, v14
	s_and_saveexec_b64 s[12:13], vcc
	s_cbranch_execz .LBB18_11
; %bb.8:
	v_lshlrev_b32_e32 v7, 1, v9
	v_lshlrev_b32_e32 v15, 4, v15
	v_add3_u32 v7, v7, v15, v16
	v_lshlrev_b32_e32 v15, 1, v8
	v_add3_u32 v15, v7, v15, 0
	v_add_co_u32_e32 v4, vcc, v0, v4
	v_ashrrev_i32_e32 v7, 31, v6
	v_addc_co_u32_e32 v5, vcc, v1, v5, vcc
	v_lshlrev_b64 v[0:1], 1, v[6:7]
	v_add_co_u32_e32 v0, vcc, v4, v0
	v_addc_co_u32_e32 v1, vcc, v5, v1, vcc
	v_mov_b32_e32 v4, s3
	v_add_co_u32_e32 v0, vcc, s2, v0
	v_addc_co_u32_e32 v1, vcc, v4, v1, vcc
	s_mov_b64 s[14:15], 0
.LBB18_9:                               ; =>This Inner Loop Header: Depth=1
	global_load_ushort v4, v[0:1], off
	v_add_co_u32_e32 v0, vcc, 32, v0
	v_add_u32_e32 v6, 16, v6
	v_addc_co_u32_e32 v1, vcc, 0, v1, vcc
	v_max_f32_e32 v5, v10, v10
	v_cmp_ge_i32_e32 vcc, v6, v14
	s_or_b64 s[14:15], vcc, s[14:15]
	s_waitcnt vmcnt(0)
	v_cvt_f32_f16_e64 v7, |v4|
	ds_write_b16 v15, v4
	v_add_u32_e32 v15, 32, v15
	v_max_f32_e32 v10, v5, v7
	s_andn2_b64 exec, exec, s[14:15]
	s_cbranch_execnz .LBB18_9
; %bb.10:
	s_or_b64 exec, exec, s[14:15]
.LBB18_11:
	s_or_b64 exec, exec, s[12:13]
                                        ; implicit-def: $vgpr0_vgpr1
.LBB18_12:
	s_andn2_saveexec_b64 s[6:7], s[6:7]
	s_cbranch_execz .LBB18_18
; %bb.13:
	s_ashr_i32 s8, s21, 3
	v_cmp_gt_i32_e32 vcc, s8, v8
	v_mov_b32_e32 v10, s9
	s_and_saveexec_b64 s[12:13], vcc
	s_cbranch_execz .LBB18_17
; %bb.14:
	v_lshlrev_b32_e32 v5, 4, v8
	v_add_co_u32_e32 v0, vcc, v0, v5
	v_lshlrev_b32_e32 v4, 1, v9
	v_addc_co_u32_e32 v1, vcc, 0, v1, vcc
	v_add3_u32 v4, v4, v5, 0
	v_mov_b32_e32 v5, s3
	v_add_co_u32_e32 v0, vcc, s2, v0
	v_addc_co_u32_e32 v1, vcc, v1, v5, vcc
	v_add_co_u32_e32 v0, vcc, 8, v0
	v_addc_co_u32_e32 v1, vcc, 0, v1, vcc
	s_mov_b64 s[2:3], 0
	v_mov_b32_e32 v10, s9
	v_mov_b32_e32 v5, v8
.LBB18_15:                              ; =>This Inner Loop Header: Depth=1
	global_load_dwordx4 v[14:17], v[0:1], off offset:-8
	v_add_co_u32_e32 v0, vcc, 0x100, v0
	v_add_u32_e32 v5, 16, v5
	v_addc_co_u32_e32 v1, vcc, 0, v1, vcc
	v_cmp_le_i32_e32 vcc, s8, v5
	s_or_b64 s[2:3], vcc, s[2:3]
	s_waitcnt vmcnt(0)
	v_cvt_f32_f16_e64 v6, |v14|
	v_cvt_f32_f16_sdwa v7, |v14| dst_sel:DWORD dst_unused:UNUSED_PAD src0_sel:WORD_1
	v_cvt_f32_f16_e64 v18, |v15|
	v_cvt_f32_f16_sdwa v19, |v15| dst_sel:DWORD dst_unused:UNUSED_PAD src0_sel:WORD_1
	;; [unrolled: 2-line block ×4, first 2 shown]
	v_max3_f32 v6, v10, v6, v7
	v_max3_f32 v6, v6, v18, v19
	;; [unrolled: 1-line block ×3, first 2 shown]
	ds_write_b128 v4, v[14:17]
	v_add_u32_e32 v4, 0x100, v4
	v_max3_f32 v10, v6, v22, v23
	s_andn2_b64 exec, exec, s[2:3]
	s_cbranch_execnz .LBB18_15
; %bb.16:
	s_or_b64 exec, exec, s[2:3]
.LBB18_17:
	s_or_b64 exec, exec, s[12:13]
.LBB18_18:
	s_or_b64 exec, exec, s[6:7]
	v_mbcnt_lo_u32_b32 v0, -1, 0
	v_mbcnt_hi_u32_b32 v0, -1, v0
	v_and_b32_e32 v4, 0x70, v0
	v_xor_b32_e32 v1, 8, v0
	v_add_u32_e32 v4, 16, v4
	v_cmp_lt_i32_e32 vcc, v1, v4
	v_cndmask_b32_e32 v1, v0, v1, vcc
	v_lshlrev_b32_e32 v1, 2, v1
	ds_bpermute_b32 v1, v1, v10
	v_xor_b32_e32 v6, 4, v0
	v_max_f32_e32 v5, v10, v10
	v_cmp_lt_i32_e32 vcc, v6, v4
	s_load_dwordx2 s[8:9], s[4:5], 0x8
	s_waitcnt lgkmcnt(0)
	v_max_f32_e32 v1, v1, v1
	v_max_f32_e32 v1, v5, v1
	v_cndmask_b32_e32 v5, v0, v6, vcc
	v_lshlrev_b32_e32 v5, 2, v5
	ds_bpermute_b32 v5, v5, v1
	v_xor_b32_e32 v6, 2, v0
	v_cmp_lt_i32_e32 vcc, v6, v4
	s_waitcnt lgkmcnt(0)
	v_max_f32_e32 v5, v5, v5
	v_max_f32_e32 v1, v1, v5
	v_cndmask_b32_e32 v5, v0, v6, vcc
	v_lshlrev_b32_e32 v5, 2, v5
	ds_bpermute_b32 v5, v5, v1
	v_xor_b32_e32 v6, 1, v0
	v_cmp_lt_i32_e32 vcc, v6, v4
	v_cndmask_b32_e32 v0, v0, v6, vcc
	v_lshlrev_b32_e32 v0, 2, v0
	s_waitcnt lgkmcnt(0)
	v_max_f32_e32 v5, v5, v5
	v_max_f32_e32 v1, v1, v5
	ds_bpermute_b32 v0, v0, v1
	s_waitcnt lgkmcnt(0)
	v_max_f32_e32 v0, v0, v0
	v_max_f32_e32 v0, v1, v0
	v_div_scale_f32 v1, s[2:3], s11, s11, v0
	v_rcp_f32_e32 v4, v1
	v_div_scale_f32 v5, vcc, v0, s11, v0
	s_mov_b32 s2, 0x2edbe6ff
	v_fma_f32 v6, -v1, v4, 1.0
	v_fmac_f32_e32 v4, v6, v4
	v_mul_f32_e32 v6, v5, v4
	v_fma_f32 v7, -v1, v6, v5
	v_fmac_f32_e32 v6, v7, v4
	v_fma_f32 v1, -v1, v6, v5
	v_div_fmas_f32 v1, v1, v4, v6
	v_div_fixup_f32 v0, v1, s11, v0
	v_max_f32_e64 v0, |v0|, s2
	s_mov_b32 s2, 0x800000
	v_mov_b32_e32 v1, 0x4f800000
	v_cmp_gt_f32_e32 vcc, s2, v0
	v_cndmask_b32_e32 v1, 1.0, v1, vcc
	v_mul_f32_e32 v0, v0, v1
	v_log_f32_e32 v0, v0
	v_mov_b32_e32 v1, 0x42000000
	v_cndmask_b32_e32 v1, 0, v1, vcc
	s_mov_b32 s2, 0xc2fc0000
	v_sub_f32_e32 v0, v0, v1
	v_ceil_f32_e32 v0, v0
	v_mov_b32_e32 v1, 0x42800000
	v_cmp_gt_f32_e32 vcc, s2, v0
	v_cndmask_b32_e32 v1, 0, v1, vcc
	v_add_f32_e32 v0, v0, v1
	v_exp_f32_e32 v0, v0
	v_mov_b32_e32 v1, 0x1f800000
	v_cndmask_b32_e32 v1, 1.0, v1, vcc
	v_cmp_eq_u32_e32 vcc, 0, v8
	v_mul_f32_e32 v0, v0, v1
	s_and_saveexec_b64 s[2:3], vcc
	s_cbranch_execz .LBB18_20
; %bb.19:
	s_load_dwordx2 s[4:5], s[4:5], 0x10
	v_lshlrev_b64 v[2:3], 2, v[2:3]
	s_waitcnt lgkmcnt(0)
	v_mov_b32_e32 v1, s5
	v_add_co_u32_e32 v2, vcc, s4, v2
	v_addc_co_u32_e32 v3, vcc, v1, v3, vcc
	global_store_dword v[2:3], v0, off
.LBB18_20:
	s_or_b64 exec, exec, s[2:3]
	v_and_b32_e32 v2, 15, v11
	v_mov_b32_e32 v3, 0
	v_cmp_ne_u64_e32 vcc, 0, v[2:3]
	s_xor_b64 s[0:1], s[0:1], -1
	s_or_b64 s[0:1], s[0:1], vcc
	s_barrier
	s_and_saveexec_b64 s[2:3], s[0:1]
	s_xor_b64 s[12:13], exec, s[2:3]
	s_cbranch_execz .LBB18_97
; %bb.21:
	v_mov_b32_e32 v2, s9
	v_add_co_u32_e32 v1, vcc, s8, v12
	v_addc_co_u32_e32 v10, vcc, v2, v13, vcc
	v_sub_u32_e32 v2, 0, v11
	v_bfe_u32 v2, v2, 1, 3
	v_min_i32_e32 v21, s21, v2
	v_cmp_gt_i32_e32 vcc, v21, v8
	s_and_saveexec_b64 s[0:1], vcc
	s_cbranch_execz .LBB18_29
; %bb.22:
	v_lshl_add_u32 v2, v8, 1, v11
	ds_read_u16 v2, v2
	v_max_f32_e64 v3, s10, s10
	v_max_f32_e64 v4, s11, s11
	s_waitcnt lgkmcnt(0)
	v_cvt_f32_f16_e32 v2, v2
	v_div_scale_f32 v5, s[2:3], v0, v0, v2
	v_rcp_f32_e32 v6, v5
	v_div_scale_f32 v7, vcc, v2, v0, v2
	s_mov_b32 s2, 0x43f00000
	v_fma_f32 v11, -v5, v6, 1.0
	v_fmac_f32_e32 v6, v11, v6
	v_mul_f32_e32 v11, v7, v6
	v_fma_f32 v14, -v5, v11, v7
	v_fmac_f32_e32 v11, v14, v6
	v_fma_f32 v5, -v5, v11, v7
	v_div_fmas_f32 v5, v5, v6, v11
	v_div_fixup_f32 v2, v5, v0, v2
	v_max_f32_e32 v2, v2, v3
	v_min_f32_e32 v2, v2, v4
	v_and_b32_e32 v4, 0x7fffffff, v2
	v_cmp_gt_u32_e32 vcc, s2, v4
	v_mov_b32_e32 v3, 0x7f
	s_and_saveexec_b64 s[2:3], vcc
	s_cbranch_execz .LBB18_28
; %bb.23:
	s_mov_b32 s4, 0x3c7fffff
	v_cmp_lt_u32_e32 vcc, s4, v4
                                        ; implicit-def: $vgpr3
	s_and_saveexec_b64 s[4:5], vcc
	s_xor_b64 s[4:5], exec, s[4:5]
; %bb.24:
	v_bfe_u32 v3, v2, 20, 1
	s_mov_b32 s6, 0x407ffff
	v_add3_u32 v3, v2, v3, s6
	v_lshrrev_b32_e32 v3, 20, v3
; %bb.25:
	s_andn2_saveexec_b64 s[4:5], s[4:5]
; %bb.26:
	s_mov_b32 s6, 0x46800000
	v_add_f32_e64 v3, |v2|, s6
; %bb.27:
	s_or_b64 exec, exec, s[4:5]
.LBB18_28:
	s_or_b64 exec, exec, s[2:3]
	v_add_co_u32_e32 v4, vcc, v1, v8
	v_lshrrev_b32_e32 v2, 24, v2
	s_movk_i32 s2, 0x80
	v_addc_co_u32_e32 v5, vcc, 0, v10, vcc
	v_and_or_b32 v2, v2, s2, v3
	global_store_byte v[4:5], v2, off
.LBB18_29:
	s_or_b64 exec, exec, s[0:1]
	v_sub_u32_e32 v20, s21, v21
	v_ashrrev_i32_e32 v2, 31, v20
	v_lshrrev_b32_e32 v2, 29, v2
	v_add_u32_e32 v2, v20, v2
	v_ashrrev_i32_e32 v11, 3, v2
	v_ashrrev_i32_e32 v22, 31, v21
	v_cmp_gt_i32_e32 vcc, v11, v8
	v_lshlrev_b32_e32 v23, 1, v21
	s_and_saveexec_b64 s[2:3], vcc
	s_cbranch_execz .LBB18_80
; %bb.30:
	v_lshlrev_b32_e32 v2, 4, v8
	v_lshl_add_u32 v2, v9, 1, v2
	v_lshlrev_b32_e32 v3, 1, v21
	v_add3_u32 v14, v2, v3, 0
	v_add_co_u32_e32 v2, vcc, v21, v12
	v_addc_co_u32_e32 v3, vcc, v22, v13, vcc
	v_lshlrev_b32_e32 v4, 3, v8
	v_add_co_u32_e32 v2, vcc, v2, v4
	v_addc_co_u32_e32 v3, vcc, 0, v3, vcc
	v_mov_b32_e32 v4, s9
	v_add_co_u32_e32 v6, vcc, s8, v2
	v_addc_co_u32_e32 v7, vcc, v4, v3, vcc
	s_mov_b64 s[4:5], 0
	v_max_f32_e64 v15, s10, s10
	v_max_f32_e64 v16, s11, s11
	s_mov_b32 s14, 0x43f00000
	s_mov_b32 s15, 0x3c7fffff
	;; [unrolled: 1-line block ×4, first 2 shown]
	s_movk_i32 s18, 0x80
	s_movk_i32 s19, 0xff
	v_mov_b32_e32 v17, v8
	s_branch .LBB18_33
.LBB18_31:                              ;   in Loop: Header=BB18_33 Depth=1
	s_or_b64 exec, exec, s[6:7]
.LBB18_32:                              ;   in Loop: Header=BB18_33 Depth=1
	s_or_b64 exec, exec, s[0:1]
	v_and_b32_sdwa v32, v32, s18 dst_sel:DWORD dst_unused:UNUSED_PAD src0_sel:BYTE_3 src1_sel:DWORD
	v_lshrrev_b32_e32 v5, 24, v5
	v_and_b32_sdwa v4, v4, s18 dst_sel:DWORD dst_unused:UNUSED_PAD src0_sel:BYTE_3 src1_sel:DWORD
	v_and_or_b32 v5, v5, s18, v31
	v_and_or_b32 v31, v33, s19, v32
	v_and_b32_sdwa v30, v30, s18 dst_sel:DWORD dst_unused:UNUSED_PAD src0_sel:BYTE_3 src1_sel:DWORD
	v_lshlrev_b32_e32 v5, 24, v5
	v_lshlrev_b32_e32 v31, 16, v31
	v_and_or_b32 v4, v28, s19, v4
	v_and_b32_sdwa v27, v27, s18 dst_sel:DWORD dst_unused:UNUSED_PAD src0_sel:BYTE_3 src1_sel:DWORD
	v_or_b32_e32 v5, v5, v31
	v_lshlrev_b32_e32 v4, 8, v4
	v_and_or_b32 v28, v29, s19, v30
	v_and_b32_sdwa v2, v2, s18 dst_sel:DWORD dst_unused:UNUSED_PAD src0_sel:BYTE_3 src1_sel:DWORD
	v_or3_b32 v5, v5, v4, v28
	v_lshlrev_b32_e32 v4, 24, v25
	v_and_or_b32 v25, v26, s19, v27
	v_and_b32_sdwa v24, v24, s18 dst_sel:DWORD dst_unused:UNUSED_PAD src0_sel:BYTE_3 src1_sel:DWORD
	v_and_b32_e32 v3, 0x80000000, v3
	v_lshlrev_b32_e32 v25, 16, v25
	v_and_or_b32 v2, v18, s19, v2
	v_lshlrev_b32_e32 v2, 8, v2
	v_or3_b32 v3, v4, v3, v25
	v_and_or_b32 v4, v19, s19, v24
	v_or3_b32 v4, v3, v2, v4
	v_add_u32_e32 v17, 16, v17
	global_store_dwordx2 v[6:7], v[4:5], off
	v_add_co_u32_e32 v6, vcc, 0x80, v6
	v_cmp_ge_i32_e64 s[0:1], v17, v11
	v_add_u32_e32 v14, 0x100, v14
	s_or_b64 s[4:5], s[0:1], s[4:5]
	v_addc_co_u32_e32 v7, vcc, 0, v7, vcc
	s_andn2_b64 exec, exec, s[4:5]
	s_cbranch_execz .LBB18_80
.LBB18_33:                              ; =>This Inner Loop Header: Depth=1
	ds_read_b128 v[2:5], v14
	v_mov_b32_e32 v18, 0x7f
	s_waitcnt lgkmcnt(0)
	v_cvt_f32_f16_e32 v19, v2
	v_div_scale_f32 v24, s[0:1], v0, v0, v19
	v_rcp_f32_e32 v25, v24
	v_div_scale_f32 v26, vcc, v19, v0, v19
	v_fma_f32 v27, -v24, v25, 1.0
	v_fmac_f32_e32 v25, v27, v25
	v_mul_f32_e32 v27, v26, v25
	v_fma_f32 v28, -v24, v27, v26
	v_fmac_f32_e32 v27, v28, v25
	v_fma_f32 v24, -v24, v27, v26
	v_div_fmas_f32 v24, v24, v25, v27
	v_div_fixup_f32 v19, v24, v0, v19
	v_max_f32_e32 v19, v19, v15
	v_min_f32_e32 v24, v19, v16
	v_and_b32_e32 v25, 0x7fffffff, v24
	v_cmp_gt_u32_e32 vcc, s14, v25
	v_mov_b32_e32 v19, 0x7f
	s_and_saveexec_b64 s[0:1], vcc
	s_cbranch_execz .LBB18_39
; %bb.34:                               ;   in Loop: Header=BB18_33 Depth=1
	v_cmp_lt_u32_e32 vcc, s15, v25
                                        ; implicit-def: $vgpr19
	s_and_saveexec_b64 s[6:7], vcc
	s_xor_b64 s[6:7], exec, s[6:7]
; %bb.35:                               ;   in Loop: Header=BB18_33 Depth=1
	v_bfe_u32 v19, v24, 20, 1
	v_add3_u32 v19, v24, v19, s16
	v_lshrrev_b32_e32 v19, 20, v19
; %bb.36:                               ;   in Loop: Header=BB18_33 Depth=1
	s_andn2_saveexec_b64 s[6:7], s[6:7]
; %bb.37:                               ;   in Loop: Header=BB18_33 Depth=1
	v_add_f32_e64 v19, |v24|, s17
; %bb.38:                               ;   in Loop: Header=BB18_33 Depth=1
	s_or_b64 exec, exec, s[6:7]
.LBB18_39:                              ;   in Loop: Header=BB18_33 Depth=1
	s_or_b64 exec, exec, s[0:1]
	v_cvt_f32_f16_sdwa v2, v2 dst_sel:DWORD dst_unused:UNUSED_PAD src0_sel:WORD_1
	v_div_scale_f32 v25, s[0:1], v0, v0, v2
	v_rcp_f32_e32 v26, v25
	v_div_scale_f32 v27, vcc, v2, v0, v2
	v_fma_f32 v28, -v25, v26, 1.0
	v_fmac_f32_e32 v26, v28, v26
	v_mul_f32_e32 v28, v27, v26
	v_fma_f32 v29, -v25, v28, v27
	v_fmac_f32_e32 v28, v29, v26
	v_fma_f32 v25, -v25, v28, v27
	v_div_fmas_f32 v25, v25, v26, v28
	v_div_fixup_f32 v2, v25, v0, v2
	v_max_f32_e32 v2, v2, v15
	v_min_f32_e32 v2, v2, v16
	v_and_b32_e32 v25, 0x7fffffff, v2
	v_cmp_gt_u32_e32 vcc, s14, v25
	s_and_saveexec_b64 s[0:1], vcc
	s_cbranch_execz .LBB18_45
; %bb.40:                               ;   in Loop: Header=BB18_33 Depth=1
	v_cmp_lt_u32_e32 vcc, s15, v25
                                        ; implicit-def: $vgpr18
	s_and_saveexec_b64 s[6:7], vcc
	s_xor_b64 s[6:7], exec, s[6:7]
; %bb.41:                               ;   in Loop: Header=BB18_33 Depth=1
	v_bfe_u32 v18, v2, 20, 1
	v_add3_u32 v18, v2, v18, s16
	v_lshrrev_b32_e32 v18, 20, v18
; %bb.42:                               ;   in Loop: Header=BB18_33 Depth=1
	s_andn2_saveexec_b64 s[6:7], s[6:7]
; %bb.43:                               ;   in Loop: Header=BB18_33 Depth=1
	v_add_f32_e64 v18, |v2|, s17
; %bb.44:                               ;   in Loop: Header=BB18_33 Depth=1
	s_or_b64 exec, exec, s[6:7]
.LBB18_45:                              ;   in Loop: Header=BB18_33 Depth=1
	s_or_b64 exec, exec, s[0:1]
	v_cvt_f32_f16_e32 v26, v3
	v_mov_b32_e32 v25, 0x7f
	v_div_scale_f32 v27, s[0:1], v0, v0, v26
	v_rcp_f32_e32 v28, v27
	v_div_scale_f32 v29, vcc, v26, v0, v26
	v_fma_f32 v30, -v27, v28, 1.0
	v_fmac_f32_e32 v28, v30, v28
	v_mul_f32_e32 v30, v29, v28
	v_fma_f32 v31, -v27, v30, v29
	v_fmac_f32_e32 v30, v31, v28
	v_fma_f32 v27, -v27, v30, v29
	v_div_fmas_f32 v27, v27, v28, v30
	v_div_fixup_f32 v26, v27, v0, v26
	v_max_f32_e32 v26, v26, v15
	v_min_f32_e32 v27, v26, v16
	v_and_b32_e32 v28, 0x7fffffff, v27
	v_cmp_gt_u32_e32 vcc, s14, v28
	v_mov_b32_e32 v26, 0x7f
	s_and_saveexec_b64 s[0:1], vcc
	s_cbranch_execz .LBB18_51
; %bb.46:                               ;   in Loop: Header=BB18_33 Depth=1
	v_cmp_lt_u32_e32 vcc, s15, v28
                                        ; implicit-def: $vgpr26
	s_and_saveexec_b64 s[6:7], vcc
	s_xor_b64 s[6:7], exec, s[6:7]
; %bb.47:                               ;   in Loop: Header=BB18_33 Depth=1
	v_bfe_u32 v26, v27, 20, 1
	v_add3_u32 v26, v27, v26, s16
	v_lshrrev_b32_e32 v26, 20, v26
; %bb.48:                               ;   in Loop: Header=BB18_33 Depth=1
	s_andn2_saveexec_b64 s[6:7], s[6:7]
; %bb.49:                               ;   in Loop: Header=BB18_33 Depth=1
	v_add_f32_e64 v26, |v27|, s17
; %bb.50:                               ;   in Loop: Header=BB18_33 Depth=1
	s_or_b64 exec, exec, s[6:7]
.LBB18_51:                              ;   in Loop: Header=BB18_33 Depth=1
	s_or_b64 exec, exec, s[0:1]
	v_cvt_f32_f16_sdwa v3, v3 dst_sel:DWORD dst_unused:UNUSED_PAD src0_sel:WORD_1
	v_div_scale_f32 v28, s[0:1], v0, v0, v3
	v_rcp_f32_e32 v29, v28
	v_div_scale_f32 v30, vcc, v3, v0, v3
	v_fma_f32 v31, -v28, v29, 1.0
	v_fmac_f32_e32 v29, v31, v29
	v_mul_f32_e32 v31, v30, v29
	v_fma_f32 v32, -v28, v31, v30
	v_fmac_f32_e32 v31, v32, v29
	v_fma_f32 v28, -v28, v31, v30
	v_div_fmas_f32 v28, v28, v29, v31
	v_div_fixup_f32 v3, v28, v0, v3
	v_max_f32_e32 v3, v3, v15
	v_min_f32_e32 v3, v3, v16
	v_and_b32_e32 v28, 0x7fffffff, v3
	v_cmp_gt_u32_e32 vcc, s14, v28
	s_and_saveexec_b64 s[0:1], vcc
	s_cbranch_execz .LBB18_57
; %bb.52:                               ;   in Loop: Header=BB18_33 Depth=1
	v_cmp_lt_u32_e32 vcc, s15, v28
                                        ; implicit-def: $vgpr25
	s_and_saveexec_b64 s[6:7], vcc
	s_xor_b64 s[6:7], exec, s[6:7]
; %bb.53:                               ;   in Loop: Header=BB18_33 Depth=1
	v_bfe_u32 v25, v3, 20, 1
	v_add3_u32 v25, v3, v25, s16
	v_lshrrev_b32_e32 v25, 20, v25
; %bb.54:                               ;   in Loop: Header=BB18_33 Depth=1
	s_andn2_saveexec_b64 s[6:7], s[6:7]
; %bb.55:                               ;   in Loop: Header=BB18_33 Depth=1
	v_add_f32_e64 v25, |v3|, s17
; %bb.56:                               ;   in Loop: Header=BB18_33 Depth=1
	s_or_b64 exec, exec, s[6:7]
.LBB18_57:                              ;   in Loop: Header=BB18_33 Depth=1
	s_or_b64 exec, exec, s[0:1]
	v_cvt_f32_f16_e32 v29, v4
	v_mov_b32_e32 v28, 0x7f
	v_div_scale_f32 v30, s[0:1], v0, v0, v29
	v_rcp_f32_e32 v31, v30
	v_div_scale_f32 v32, vcc, v29, v0, v29
	v_fma_f32 v33, -v30, v31, 1.0
	v_fmac_f32_e32 v31, v33, v31
	v_mul_f32_e32 v33, v32, v31
	v_fma_f32 v34, -v30, v33, v32
	v_fmac_f32_e32 v33, v34, v31
	v_fma_f32 v30, -v30, v33, v32
	v_div_fmas_f32 v30, v30, v31, v33
	v_div_fixup_f32 v29, v30, v0, v29
	v_max_f32_e32 v29, v29, v15
	v_min_f32_e32 v30, v29, v16
	v_and_b32_e32 v31, 0x7fffffff, v30
	v_cmp_gt_u32_e32 vcc, s14, v31
	v_mov_b32_e32 v29, 0x7f
	s_and_saveexec_b64 s[0:1], vcc
	s_cbranch_execz .LBB18_63
; %bb.58:                               ;   in Loop: Header=BB18_33 Depth=1
	v_cmp_lt_u32_e32 vcc, s15, v31
                                        ; implicit-def: $vgpr29
	s_and_saveexec_b64 s[6:7], vcc
	s_xor_b64 s[6:7], exec, s[6:7]
; %bb.59:                               ;   in Loop: Header=BB18_33 Depth=1
	v_bfe_u32 v29, v30, 20, 1
	v_add3_u32 v29, v30, v29, s16
	v_lshrrev_b32_e32 v29, 20, v29
; %bb.60:                               ;   in Loop: Header=BB18_33 Depth=1
	s_andn2_saveexec_b64 s[6:7], s[6:7]
; %bb.61:                               ;   in Loop: Header=BB18_33 Depth=1
	v_add_f32_e64 v29, |v30|, s17
; %bb.62:                               ;   in Loop: Header=BB18_33 Depth=1
	s_or_b64 exec, exec, s[6:7]
.LBB18_63:                              ;   in Loop: Header=BB18_33 Depth=1
	s_or_b64 exec, exec, s[0:1]
	v_cvt_f32_f16_sdwa v4, v4 dst_sel:DWORD dst_unused:UNUSED_PAD src0_sel:WORD_1
	v_div_scale_f32 v31, s[0:1], v0, v0, v4
	v_rcp_f32_e32 v32, v31
	v_div_scale_f32 v33, vcc, v4, v0, v4
	v_fma_f32 v34, -v31, v32, 1.0
	v_fmac_f32_e32 v32, v34, v32
	v_mul_f32_e32 v34, v33, v32
	v_fma_f32 v35, -v31, v34, v33
	v_fmac_f32_e32 v34, v35, v32
	v_fma_f32 v31, -v31, v34, v33
	v_div_fmas_f32 v31, v31, v32, v34
	v_div_fixup_f32 v4, v31, v0, v4
	v_max_f32_e32 v4, v4, v15
	v_min_f32_e32 v4, v4, v16
	v_and_b32_e32 v31, 0x7fffffff, v4
	v_cmp_gt_u32_e32 vcc, s14, v31
	s_and_saveexec_b64 s[0:1], vcc
	s_cbranch_execz .LBB18_69
; %bb.64:                               ;   in Loop: Header=BB18_33 Depth=1
	v_cmp_lt_u32_e32 vcc, s15, v31
                                        ; implicit-def: $vgpr28
	s_and_saveexec_b64 s[6:7], vcc
	s_xor_b64 s[6:7], exec, s[6:7]
; %bb.65:                               ;   in Loop: Header=BB18_33 Depth=1
	v_bfe_u32 v28, v4, 20, 1
	v_add3_u32 v28, v4, v28, s16
	v_lshrrev_b32_e32 v28, 20, v28
; %bb.66:                               ;   in Loop: Header=BB18_33 Depth=1
	s_andn2_saveexec_b64 s[6:7], s[6:7]
; %bb.67:                               ;   in Loop: Header=BB18_33 Depth=1
	v_add_f32_e64 v28, |v4|, s17
; %bb.68:                               ;   in Loop: Header=BB18_33 Depth=1
	s_or_b64 exec, exec, s[6:7]
.LBB18_69:                              ;   in Loop: Header=BB18_33 Depth=1
	s_or_b64 exec, exec, s[0:1]
	v_cvt_f32_f16_e32 v32, v5
	v_mov_b32_e32 v31, 0x7f
	v_div_scale_f32 v33, s[0:1], v0, v0, v32
	v_rcp_f32_e32 v34, v33
	v_div_scale_f32 v35, vcc, v32, v0, v32
	v_fma_f32 v36, -v33, v34, 1.0
	v_fmac_f32_e32 v34, v36, v34
	v_mul_f32_e32 v36, v35, v34
	v_fma_f32 v37, -v33, v36, v35
	v_fmac_f32_e32 v36, v37, v34
	v_fma_f32 v33, -v33, v36, v35
	v_div_fmas_f32 v33, v33, v34, v36
	v_div_fixup_f32 v32, v33, v0, v32
	v_max_f32_e32 v32, v32, v15
	v_min_f32_e32 v32, v32, v16
	v_and_b32_e32 v34, 0x7fffffff, v32
	v_cmp_gt_u32_e32 vcc, s14, v34
	v_mov_b32_e32 v33, 0x7f
	s_and_saveexec_b64 s[0:1], vcc
	s_cbranch_execz .LBB18_75
; %bb.70:                               ;   in Loop: Header=BB18_33 Depth=1
	v_cmp_lt_u32_e32 vcc, s15, v34
                                        ; implicit-def: $vgpr33
	s_and_saveexec_b64 s[6:7], vcc
	s_xor_b64 s[6:7], exec, s[6:7]
; %bb.71:                               ;   in Loop: Header=BB18_33 Depth=1
	v_bfe_u32 v33, v32, 20, 1
	v_add3_u32 v33, v32, v33, s16
	v_lshrrev_b32_e32 v33, 20, v33
; %bb.72:                               ;   in Loop: Header=BB18_33 Depth=1
	s_andn2_saveexec_b64 s[6:7], s[6:7]
; %bb.73:                               ;   in Loop: Header=BB18_33 Depth=1
	v_add_f32_e64 v33, |v32|, s17
; %bb.74:                               ;   in Loop: Header=BB18_33 Depth=1
	s_or_b64 exec, exec, s[6:7]
.LBB18_75:                              ;   in Loop: Header=BB18_33 Depth=1
	s_or_b64 exec, exec, s[0:1]
	v_cvt_f32_f16_sdwa v5, v5 dst_sel:DWORD dst_unused:UNUSED_PAD src0_sel:WORD_1
	v_div_scale_f32 v34, s[0:1], v0, v0, v5
	v_rcp_f32_e32 v35, v34
	v_div_scale_f32 v36, vcc, v5, v0, v5
	v_fma_f32 v37, -v34, v35, 1.0
	v_fmac_f32_e32 v35, v37, v35
	v_mul_f32_e32 v37, v36, v35
	v_fma_f32 v38, -v34, v37, v36
	v_fmac_f32_e32 v37, v38, v35
	v_fma_f32 v34, -v34, v37, v36
	v_div_fmas_f32 v34, v34, v35, v37
	v_div_fixup_f32 v5, v34, v0, v5
	v_max_f32_e32 v5, v5, v15
	v_min_f32_e32 v5, v5, v16
	v_and_b32_e32 v34, 0x7fffffff, v5
	v_cmp_gt_u32_e32 vcc, s14, v34
	s_and_saveexec_b64 s[0:1], vcc
	s_cbranch_execz .LBB18_32
; %bb.76:                               ;   in Loop: Header=BB18_33 Depth=1
	v_cmp_lt_u32_e32 vcc, s15, v34
                                        ; implicit-def: $vgpr31
	s_and_saveexec_b64 s[6:7], vcc
	s_xor_b64 s[6:7], exec, s[6:7]
; %bb.77:                               ;   in Loop: Header=BB18_33 Depth=1
	v_bfe_u32 v31, v5, 20, 1
	v_add3_u32 v31, v5, v31, s16
	v_lshrrev_b32_e32 v31, 20, v31
; %bb.78:                               ;   in Loop: Header=BB18_33 Depth=1
	s_andn2_saveexec_b64 s[6:7], s[6:7]
	s_cbranch_execz .LBB18_31
; %bb.79:                               ;   in Loop: Header=BB18_33 Depth=1
	v_add_f32_e64 v31, |v5|, s17
	s_branch .LBB18_31
.LBB18_80:
	s_or_b64 exec, exec, s[2:3]
	v_lshlrev_b32_e32 v4, 3, v11
	v_add_u32_e32 v2, v4, v8
	v_cmp_lt_i32_e32 vcc, v2, v20
	s_and_saveexec_b64 s[14:15], vcc
	s_cbranch_execz .LBB18_96
; %bb.81:
	v_add_u32_e32 v3, 16, v2
	v_max_i32_e32 v5, v3, v20
	v_xad_u32 v5, v8, -1, v5
	v_sub_u32_e32 v4, v5, v4
	v_cmp_lt_u32_e32 vcc, 47, v4
	s_mov_b64 s[0:1], 0
                                        ; implicit-def: $vgpr24
	s_and_saveexec_b64 s[2:3], vcc
	s_xor_b64 s[16:17], exec, s[2:3]
	s_cbranch_execnz .LBB18_84
; %bb.82:
	s_andn2_saveexec_b64 s[2:3], s[16:17]
	s_cbranch_execnz .LBB18_87
.LBB18_83:
	s_or_b64 exec, exec, s[2:3]
	s_and_b64 exec, exec, s[0:1]
	s_cbranch_execnz .LBB18_88
	s_branch .LBB18_96
.LBB18_84:
	v_lshrrev_b32_e32 v4, 4, v4
	v_lshlrev_b32_e32 v24, 1, v9
	v_lshlrev_b32_e32 v9, 4, v11
	;; [unrolled: 1-line block ×3, first 2 shown]
	v_add_u32_e32 v25, 1, v4
	v_add_co_u32_e32 v27, vcc, v1, v21
	v_add_u32_e32 v5, 48, v2
	v_add_u32_e32 v4, 32, v2
	v_add3_u32 v9, v24, v9, v23
	v_lshlrev_b32_e32 v8, 1, v8
	v_addc_co_u32_e32 v28, vcc, v10, v22, vcc
	v_and_b32_e32 v26, 0x1ffffffc, v25
	s_mov_b32 s0, s10
	s_mov_b32 s1, s10
	;; [unrolled: 1-line block ×8, first 2 shown]
	v_add3_u32 v29, v9, v8, 0
	v_pk_mov_b32 v[10:11], v[4:5], v[4:5] op_sel:[0,1]
	v_mov_b32_e32 v1, v0
	v_mov_b32_e32 v6, v0
	v_mov_b32_e32 v7, v0
	s_mov_b64 s[18:19], 0
	v_max_f32_e64 v30, s3, s3
	v_max_f32_e64 v31, s2, s2
	;; [unrolled: 1-line block ×8, first 2 shown]
	s_mov_b32 s22, 0x43f00000
	s_mov_b32 s23, 0x7700000
	;; [unrolled: 1-line block ×4, first 2 shown]
	v_mov_b32_e32 v38, 0x7f
	s_movk_i32 s25, 0x80
	v_mov_b32_e32 v39, v26
	v_pk_mov_b32 v[8:9], v[2:3], v[2:3] op_sel:[0,1]
.LBB18_85:                              ; =>This Inner Loop Header: Depth=1
	ds_read_u16 v40, v29
	ds_read_u16 v41, v29 offset:32
	ds_read_u16 v42, v29 offset:64
	;; [unrolled: 1-line block ×3, first 2 shown]
	v_ashrrev_i32_e32 v3, 31, v11
	s_waitcnt lgkmcnt(3)
	v_cvt_f32_f16_e32 v40, v40
	v_ashrrev_i32_e32 v5, 31, v9
	v_ashrrev_i32_e32 v17, 31, v8
	v_add_co_u32_e32 v4, vcc, v27, v9
	v_add_co_u32_e64 v16, s[2:3], v27, v11
	v_add_co_u32_e64 v18, s[4:5], v27, v8
	s_waitcnt lgkmcnt(2)
	v_cvt_f32_f16_e32 v41, v41
	v_addc_co_u32_e64 v19, s[4:5], v28, v17, s[4:5]
	v_addc_co_u32_e32 v5, vcc, v28, v5, vcc
	v_addc_co_u32_e64 v17, vcc, v28, v3, s[2:3]
	s_waitcnt lgkmcnt(0)
	v_cvt_f32_f16_e32 v3, v43
	v_cvt_f32_f16_e32 v42, v42
	v_ashrrev_i32_e32 v15, 31, v10
	v_add_co_u32_e64 v14, s[0:1], v27, v10
	v_addc_co_u32_e64 v15, vcc, v28, v15, s[0:1]
	v_div_scale_f32 v43, s[0:1], v0, v0, v40
	v_div_scale_f32 v45, s[0:1], v1, v1, v41
	v_rcp_f32_e32 v50, v43
	v_div_scale_f32 v47, s[2:3], v6, v6, v42
	v_div_scale_f32 v49, s[4:5], v7, v7, v3
	v_rcp_f32_e32 v51, v45
	v_rcp_f32_e32 v52, v47
	;; [unrolled: 1-line block ×3, first 2 shown]
	v_fma_f32 v54, -v43, v50, 1.0
	v_div_scale_f32 v44, vcc, v40, v0, v40
	v_fma_f32 v55, -v45, v51, 1.0
	v_fmac_f32_e32 v50, v54, v50
	v_div_scale_f32 v46, s[0:1], v41, v1, v41
	v_fma_f32 v56, -v47, v52, 1.0
	v_fma_f32 v57, -v49, v53, 1.0
	v_fmac_f32_e32 v51, v55, v51
	v_mul_f32_e32 v54, v44, v50
	v_div_scale_f32 v48, s[2:3], v42, v6, v42
	v_fmac_f32_e32 v52, v56, v52
	v_fmac_f32_e32 v53, v57, v53
	v_mul_f32_e32 v55, v46, v51
	v_fma_f32 v57, -v43, v54, v44
	v_mul_f32_e32 v56, v48, v52
	v_fmac_f32_e32 v54, v57, v50
	v_fma_f32 v57, -v45, v55, v46
	v_fmac_f32_e32 v55, v57, v51
	v_fma_f32 v57, -v47, v56, v48
	v_fmac_f32_e32 v56, v57, v52
	v_div_scale_f32 v57, s[4:5], v3, v7, v3
	v_mul_f32_e32 v58, v57, v53
	v_fma_f32 v43, -v43, v54, v44
	v_fma_f32 v59, -v49, v58, v57
	;; [unrolled: 1-line block ×3, first 2 shown]
	v_div_fmas_f32 v43, v43, v50, v54
	s_mov_b64 vcc, s[0:1]
	v_fmac_f32_e32 v58, v59, v53
	v_fma_f32 v45, -v47, v56, v48
	v_div_fixup_f32 v40, v43, v0, v40
	v_div_fmas_f32 v43, v44, v51, v55
	s_mov_b64 vcc, s[2:3]
	v_fma_f32 v46, -v49, v58, v57
	v_div_fixup_f32 v41, v43, v1, v41
	v_div_fmas_f32 v43, v45, v52, v56
	v_max_f32_e32 v40, v40, v33
	s_mov_b64 vcc, s[4:5]
	v_div_fixup_f32 v42, v43, v6, v42
	v_div_fmas_f32 v43, v46, v53, v58
	v_max_f32_e32 v41, v41, v32
	v_min_f32_e32 v44, v40, v34
	v_div_fixup_f32 v3, v43, v7, v3
	v_max_f32_e32 v42, v42, v31
	v_min_f32_e32 v43, v41, v35
	v_and_b32_e32 v40, 0x7fffffff, v44
	v_bfe_u32 v45, v44, 20, 1
	v_lshrrev_b32_e32 v46, 24, v44
	v_max_f32_e32 v3, v3, v30
	v_min_f32_e32 v47, v42, v36
	v_and_b32_e32 v41, 0x7fffffff, v43
	v_add_u32_e32 v48, 0xc3800000, v40
	v_bfe_u32 v49, v43, 20, 1
	v_add3_u32 v44, v44, v45, s24
	v_min_f32_e32 v3, v3, v37
	v_and_b32_e32 v42, 0x7fffffff, v47
	v_add_u32_e32 v51, 0xc3800000, v41
	v_bfe_u32 v52, v47, 20, 1
	v_add3_u32 v49, v43, v49, s24
	v_lshrrev_b32_e32 v53, 20, v44
	v_pk_add_f32 v[44:45], v[40:41], s[20:21] op_sel_hi:[1,0]
	v_cmp_gt_u32_e32 vcc, s23, v48
	v_lshrrev_b32_e32 v50, 24, v43
	v_lshrrev_b32_e32 v54, 24, v47
	v_and_b32_e32 v43, 0x7fffffff, v3
	v_cndmask_b32_e32 v44, v44, v53, vcc
	v_cmp_gt_u32_e32 vcc, s22, v40
	v_add_u32_e32 v48, 0xc3800000, v42
	v_bfe_u32 v40, v3, 20, 1
	v_add3_u32 v47, v47, v52, s24
	v_lshrrev_b32_e32 v49, 20, v49
	v_cmp_gt_u32_e64 s[0:1], s23, v51
	v_lshrrev_b32_e32 v52, 24, v3
	v_cndmask_b32_e64 v45, v45, v49, s[0:1]
	v_cmp_gt_u32_e64 s[0:1], s22, v41
	v_add_u32_e32 v49, 0xc3800000, v43
	v_add3_u32 v3, v3, v40, s24
	v_lshrrev_b32_e32 v47, 20, v47
	v_pk_add_f32 v[40:41], v[42:43], s[20:21] op_sel_hi:[1,0]
	v_cndmask_b32_e32 v44, v38, v44, vcc
	v_cmp_gt_u32_e32 vcc, s23, v48
	v_cndmask_b32_e32 v40, v40, v47, vcc
	v_cmp_gt_u32_e32 vcc, s22, v42
	v_lshrrev_b32_e32 v3, 20, v3
	v_cndmask_b32_e64 v42, v38, v45, s[0:1]
	v_cmp_gt_u32_e64 s[0:1], s23, v49
	v_cndmask_b32_e64 v3, v41, v3, s[0:1]
	v_cndmask_b32_e32 v40, v38, v40, vcc
	v_cmp_gt_u32_e32 vcc, s22, v43
	v_cndmask_b32_e32 v3, v38, v3, vcc
	v_and_or_b32 v44, v46, s25, v44
	v_and_or_b32 v41, v50, s25, v42
	;; [unrolled: 1-line block ×3, first 2 shown]
	v_add_u32_e32 v39, -4, v39
	global_store_byte v[18:19], v44, off
	v_and_or_b32 v18, v54, s25, v40
	v_lshlrev_b16_e32 v19, 8, v41
	v_lshlrev_b16_e32 v3, 8, v3
	v_cmp_eq_u32_e64 s[6:7], 0, v39
	v_lshrrev_b32_e32 v19, 8, v19
	v_or_b32_sdwa v3, v18, v3 dst_sel:DWORD dst_unused:UNUSED_PAD src0_sel:BYTE_0 src1_sel:DWORD
	v_add_u32_e32 v11, 64, v11
	v_add_u32_e32 v10, 64, v10
	v_add_u32_e32 v9, 64, v9
	v_add_u32_e32 v8, 64, v8
	v_add_u32_e32 v29, 0x80, v29
	s_or_b64 s[18:19], s[6:7], s[18:19]
	global_store_byte v[4:5], v19, off
	global_store_byte v[14:15], v3, off
	v_lshrrev_b32_e32 v3, 8, v3
	global_store_byte v[16:17], v3, off
	s_andn2_b64 exec, exec, s[18:19]
	s_cbranch_execnz .LBB18_85
; %bb.86:
	s_or_b64 exec, exec, s[18:19]
	v_cmp_ne_u32_e32 vcc, v25, v26
	v_lshl_add_u32 v2, v26, 4, v2
	s_and_b64 s[0:1], vcc, exec
                                        ; implicit-def: $vgpr9
	s_andn2_saveexec_b64 s[2:3], s[16:17]
	s_cbranch_execz .LBB18_83
.LBB18_87:
	v_lshlrev_b32_e32 v24, 1, v9
	s_or_b64 s[0:1], s[0:1], exec
	s_or_b64 exec, exec, s[2:3]
	s_and_b64 exec, exec, s[0:1]
	s_cbranch_execz .LBB18_96
.LBB18_88:
	v_add_co_u32_e32 v3, vcc, v21, v12
	v_addc_co_u32_e32 v4, vcc, v22, v13, vcc
	v_ashrrev_i32_e32 v5, 31, v2
	v_add_co_u32_e32 v3, vcc, v3, v2
	v_addc_co_u32_e32 v5, vcc, v4, v5, vcc
	v_lshl_add_u32 v1, v2, 1, v24
	v_mov_b32_e32 v6, s9
	v_add_co_u32_e32 v4, vcc, s8, v3
	v_add3_u32 v1, v1, v23, 0
	v_addc_co_u32_e32 v5, vcc, v6, v5, vcc
	s_mov_b64 s[0:1], 0
	v_max_f32_e64 v3, s10, s10
	v_max_f32_e64 v6, s11, s11
	s_mov_b32 s6, 0x43f00000
	s_mov_b32 s7, 0x3c7fffff
	;; [unrolled: 1-line block ×4, first 2 shown]
	s_movk_i32 s18, 0x80
	s_branch .LBB18_91
.LBB18_89:                              ;   in Loop: Header=BB18_91 Depth=1
	s_or_b64 exec, exec, s[4:5]
.LBB18_90:                              ;   in Loop: Header=BB18_91 Depth=1
	s_or_b64 exec, exec, s[2:3]
	v_lshrrev_b32_e32 v7, 24, v7
	v_add_u32_e32 v2, 16, v2
	v_and_or_b32 v7, v7, s18, v8
	v_cmp_ge_i32_e32 vcc, v2, v20
	global_store_byte v[4:5], v7, off
	s_or_b64 s[0:1], vcc, s[0:1]
	v_add_co_u32_e32 v4, vcc, 16, v4
	v_add_u32_e32 v1, 32, v1
	v_addc_co_u32_e32 v5, vcc, 0, v5, vcc
	s_andn2_b64 exec, exec, s[0:1]
	s_cbranch_execz .LBB18_96
.LBB18_91:                              ; =>This Inner Loop Header: Depth=1
	ds_read_u16 v7, v1
	s_waitcnt lgkmcnt(0)
	v_cvt_f32_f16_e32 v7, v7
	v_div_scale_f32 v8, s[2:3], v0, v0, v7
	v_rcp_f32_e32 v9, v8
	v_div_scale_f32 v10, vcc, v7, v0, v7
	v_fma_f32 v11, -v8, v9, 1.0
	v_fmac_f32_e32 v9, v11, v9
	v_mul_f32_e32 v11, v10, v9
	v_fma_f32 v12, -v8, v11, v10
	v_fmac_f32_e32 v11, v12, v9
	v_fma_f32 v8, -v8, v11, v10
	v_div_fmas_f32 v8, v8, v9, v11
	v_div_fixup_f32 v7, v8, v0, v7
	v_max_f32_e32 v7, v7, v3
	v_min_f32_e32 v7, v7, v6
	v_and_b32_e32 v9, 0x7fffffff, v7
	v_cmp_gt_u32_e32 vcc, s6, v9
	v_mov_b32_e32 v8, 0x7f
	s_and_saveexec_b64 s[2:3], vcc
	s_cbranch_execz .LBB18_90
; %bb.92:                               ;   in Loop: Header=BB18_91 Depth=1
	v_cmp_lt_u32_e32 vcc, s7, v9
                                        ; implicit-def: $vgpr8
	s_and_saveexec_b64 s[4:5], vcc
	s_xor_b64 s[4:5], exec, s[4:5]
; %bb.93:                               ;   in Loop: Header=BB18_91 Depth=1
	v_bfe_u32 v8, v7, 20, 1
	v_add3_u32 v8, v7, v8, s16
	v_lshrrev_b32_e32 v8, 20, v8
; %bb.94:                               ;   in Loop: Header=BB18_91 Depth=1
	s_andn2_saveexec_b64 s[4:5], s[4:5]
	s_cbranch_execz .LBB18_89
; %bb.95:                               ;   in Loop: Header=BB18_91 Depth=1
	v_add_f32_e64 v8, |v7|, s17
	s_branch .LBB18_89
.LBB18_96:
	s_or_b64 exec, exec, s[14:15]
                                        ; implicit-def: $vgpr8
                                        ; implicit-def: $vgpr0
                                        ; implicit-def: $vgpr9
                                        ; implicit-def: $vgpr12_vgpr13
.LBB18_97:
	s_andn2_saveexec_b64 s[0:1], s[12:13]
	s_cbranch_execz .LBB18_149
; %bb.98:
	s_ashr_i32 s6, s21, 3
	v_cmp_gt_i32_e32 vcc, s6, v8
	s_and_saveexec_b64 s[0:1], vcc
	s_cbranch_execz .LBB18_149
; %bb.99:
	v_lshlrev_b32_e32 v1, 1, v9
	v_lshlrev_b32_e32 v2, 4, v8
	v_add3_u32 v1, v1, v2, 0
	v_lshlrev_b32_e32 v2, 3, v8
	v_add_co_u32_e32 v2, vcc, v12, v2
	v_addc_co_u32_e32 v3, vcc, 0, v13, vcc
	v_mov_b32_e32 v4, s9
	v_add_co_u32_e32 v6, vcc, s8, v2
	v_addc_co_u32_e32 v7, vcc, v4, v3, vcc
	s_mov_b64 s[2:3], 0
	v_max_f32_e64 v9, s10, s10
	v_max_f32_e64 v10, s11, s11
	s_mov_b32 s7, 0x43f00000
	s_mov_b32 s8, 0x3c7fffff
	;; [unrolled: 1-line block ×4, first 2 shown]
	s_movk_i32 s11, 0x80
	s_movk_i32 s12, 0xff
	s_branch .LBB18_102
.LBB18_100:                             ;   in Loop: Header=BB18_102 Depth=1
	s_or_b64 exec, exec, s[4:5]
.LBB18_101:                             ;   in Loop: Header=BB18_102 Depth=1
	s_or_b64 exec, exec, s[0:1]
	v_and_b32_sdwa v21, v21, s11 dst_sel:DWORD dst_unused:UNUSED_PAD src0_sel:BYTE_3 src1_sel:DWORD
	v_lshrrev_b32_e32 v5, 24, v5
	v_and_b32_sdwa v4, v4, s11 dst_sel:DWORD dst_unused:UNUSED_PAD src0_sel:BYTE_3 src1_sel:DWORD
	v_and_or_b32 v5, v5, s11, v20
	v_and_or_b32 v20, v22, s12, v21
	v_and_b32_sdwa v19, v19, s11 dst_sel:DWORD dst_unused:UNUSED_PAD src0_sel:BYTE_3 src1_sel:DWORD
	v_lshlrev_b32_e32 v5, 24, v5
	v_lshlrev_b32_e32 v20, 16, v20
	v_and_or_b32 v4, v17, s12, v4
	v_and_b32_sdwa v16, v16, s11 dst_sel:DWORD dst_unused:UNUSED_PAD src0_sel:BYTE_3 src1_sel:DWORD
	v_or_b32_e32 v5, v5, v20
	v_lshlrev_b32_e32 v4, 8, v4
	v_and_or_b32 v17, v18, s12, v19
	v_and_b32_sdwa v2, v2, s11 dst_sel:DWORD dst_unused:UNUSED_PAD src0_sel:BYTE_3 src1_sel:DWORD
	v_or3_b32 v5, v5, v4, v17
	v_lshlrev_b32_e32 v4, 24, v14
	v_and_or_b32 v14, v15, s12, v16
	v_and_b32_sdwa v13, v13, s11 dst_sel:DWORD dst_unused:UNUSED_PAD src0_sel:BYTE_3 src1_sel:DWORD
	v_and_b32_e32 v3, 0x80000000, v3
	v_lshlrev_b32_e32 v14, 16, v14
	v_and_or_b32 v2, v11, s12, v2
	v_lshlrev_b32_e32 v2, 8, v2
	v_or3_b32 v3, v4, v3, v14
	v_and_or_b32 v4, v12, s12, v13
	v_or3_b32 v4, v3, v2, v4
	v_add_u32_e32 v8, 16, v8
	global_store_dwordx2 v[6:7], v[4:5], off
	v_add_co_u32_e32 v6, vcc, 0x80, v6
	v_cmp_le_i32_e64 s[0:1], s6, v8
	v_add_u32_e32 v1, 0x100, v1
	s_or_b64 s[2:3], s[0:1], s[2:3]
	v_addc_co_u32_e32 v7, vcc, 0, v7, vcc
	s_andn2_b64 exec, exec, s[2:3]
	s_cbranch_execz .LBB18_149
.LBB18_102:                             ; =>This Inner Loop Header: Depth=1
	ds_read_b128 v[2:5], v1
	v_mov_b32_e32 v11, 0x7f
	s_waitcnt lgkmcnt(0)
	v_cvt_f32_f16_e32 v12, v2
	v_div_scale_f32 v13, s[0:1], v0, v0, v12
	v_rcp_f32_e32 v14, v13
	v_div_scale_f32 v15, vcc, v12, v0, v12
	v_fma_f32 v16, -v13, v14, 1.0
	v_fmac_f32_e32 v14, v16, v14
	v_mul_f32_e32 v16, v15, v14
	v_fma_f32 v17, -v13, v16, v15
	v_fmac_f32_e32 v16, v17, v14
	v_fma_f32 v13, -v13, v16, v15
	v_div_fmas_f32 v13, v13, v14, v16
	v_div_fixup_f32 v12, v13, v0, v12
	v_max_f32_e32 v12, v12, v9
	v_min_f32_e32 v13, v12, v10
	v_and_b32_e32 v14, 0x7fffffff, v13
	v_cmp_gt_u32_e32 vcc, s7, v14
	v_mov_b32_e32 v12, 0x7f
	s_and_saveexec_b64 s[0:1], vcc
	s_cbranch_execz .LBB18_108
; %bb.103:                              ;   in Loop: Header=BB18_102 Depth=1
	v_cmp_lt_u32_e32 vcc, s8, v14
                                        ; implicit-def: $vgpr12
	s_and_saveexec_b64 s[4:5], vcc
	s_xor_b64 s[4:5], exec, s[4:5]
; %bb.104:                              ;   in Loop: Header=BB18_102 Depth=1
	v_bfe_u32 v12, v13, 20, 1
	v_add3_u32 v12, v13, v12, s9
	v_lshrrev_b32_e32 v12, 20, v12
; %bb.105:                              ;   in Loop: Header=BB18_102 Depth=1
	s_andn2_saveexec_b64 s[4:5], s[4:5]
; %bb.106:                              ;   in Loop: Header=BB18_102 Depth=1
	v_add_f32_e64 v12, |v13|, s10
; %bb.107:                              ;   in Loop: Header=BB18_102 Depth=1
	s_or_b64 exec, exec, s[4:5]
.LBB18_108:                             ;   in Loop: Header=BB18_102 Depth=1
	s_or_b64 exec, exec, s[0:1]
	v_cvt_f32_f16_sdwa v2, v2 dst_sel:DWORD dst_unused:UNUSED_PAD src0_sel:WORD_1
	v_div_scale_f32 v14, s[0:1], v0, v0, v2
	v_rcp_f32_e32 v15, v14
	v_div_scale_f32 v16, vcc, v2, v0, v2
	v_fma_f32 v17, -v14, v15, 1.0
	v_fmac_f32_e32 v15, v17, v15
	v_mul_f32_e32 v17, v16, v15
	v_fma_f32 v18, -v14, v17, v16
	v_fmac_f32_e32 v17, v18, v15
	v_fma_f32 v14, -v14, v17, v16
	v_div_fmas_f32 v14, v14, v15, v17
	v_div_fixup_f32 v2, v14, v0, v2
	v_max_f32_e32 v2, v2, v9
	v_min_f32_e32 v2, v2, v10
	v_and_b32_e32 v14, 0x7fffffff, v2
	v_cmp_gt_u32_e32 vcc, s7, v14
	s_and_saveexec_b64 s[0:1], vcc
	s_cbranch_execz .LBB18_114
; %bb.109:                              ;   in Loop: Header=BB18_102 Depth=1
	v_cmp_lt_u32_e32 vcc, s8, v14
                                        ; implicit-def: $vgpr11
	s_and_saveexec_b64 s[4:5], vcc
	s_xor_b64 s[4:5], exec, s[4:5]
; %bb.110:                              ;   in Loop: Header=BB18_102 Depth=1
	v_bfe_u32 v11, v2, 20, 1
	v_add3_u32 v11, v2, v11, s9
	v_lshrrev_b32_e32 v11, 20, v11
; %bb.111:                              ;   in Loop: Header=BB18_102 Depth=1
	s_andn2_saveexec_b64 s[4:5], s[4:5]
; %bb.112:                              ;   in Loop: Header=BB18_102 Depth=1
	v_add_f32_e64 v11, |v2|, s10
; %bb.113:                              ;   in Loop: Header=BB18_102 Depth=1
	s_or_b64 exec, exec, s[4:5]
.LBB18_114:                             ;   in Loop: Header=BB18_102 Depth=1
	s_or_b64 exec, exec, s[0:1]
	v_cvt_f32_f16_e32 v15, v3
	v_mov_b32_e32 v14, 0x7f
	v_div_scale_f32 v16, s[0:1], v0, v0, v15
	v_rcp_f32_e32 v17, v16
	v_div_scale_f32 v18, vcc, v15, v0, v15
	v_fma_f32 v19, -v16, v17, 1.0
	v_fmac_f32_e32 v17, v19, v17
	v_mul_f32_e32 v19, v18, v17
	v_fma_f32 v20, -v16, v19, v18
	v_fmac_f32_e32 v19, v20, v17
	v_fma_f32 v16, -v16, v19, v18
	v_div_fmas_f32 v16, v16, v17, v19
	v_div_fixup_f32 v15, v16, v0, v15
	v_max_f32_e32 v15, v15, v9
	v_min_f32_e32 v16, v15, v10
	v_and_b32_e32 v17, 0x7fffffff, v16
	v_cmp_gt_u32_e32 vcc, s7, v17
	v_mov_b32_e32 v15, 0x7f
	s_and_saveexec_b64 s[0:1], vcc
	s_cbranch_execz .LBB18_120
; %bb.115:                              ;   in Loop: Header=BB18_102 Depth=1
	v_cmp_lt_u32_e32 vcc, s8, v17
                                        ; implicit-def: $vgpr15
	s_and_saveexec_b64 s[4:5], vcc
	s_xor_b64 s[4:5], exec, s[4:5]
; %bb.116:                              ;   in Loop: Header=BB18_102 Depth=1
	v_bfe_u32 v15, v16, 20, 1
	v_add3_u32 v15, v16, v15, s9
	v_lshrrev_b32_e32 v15, 20, v15
; %bb.117:                              ;   in Loop: Header=BB18_102 Depth=1
	s_andn2_saveexec_b64 s[4:5], s[4:5]
; %bb.118:                              ;   in Loop: Header=BB18_102 Depth=1
	v_add_f32_e64 v15, |v16|, s10
; %bb.119:                              ;   in Loop: Header=BB18_102 Depth=1
	s_or_b64 exec, exec, s[4:5]
.LBB18_120:                             ;   in Loop: Header=BB18_102 Depth=1
	s_or_b64 exec, exec, s[0:1]
	v_cvt_f32_f16_sdwa v3, v3 dst_sel:DWORD dst_unused:UNUSED_PAD src0_sel:WORD_1
	v_div_scale_f32 v17, s[0:1], v0, v0, v3
	v_rcp_f32_e32 v18, v17
	v_div_scale_f32 v19, vcc, v3, v0, v3
	v_fma_f32 v20, -v17, v18, 1.0
	v_fmac_f32_e32 v18, v20, v18
	v_mul_f32_e32 v20, v19, v18
	v_fma_f32 v21, -v17, v20, v19
	v_fmac_f32_e32 v20, v21, v18
	v_fma_f32 v17, -v17, v20, v19
	v_div_fmas_f32 v17, v17, v18, v20
	v_div_fixup_f32 v3, v17, v0, v3
	v_max_f32_e32 v3, v3, v9
	v_min_f32_e32 v3, v3, v10
	v_and_b32_e32 v17, 0x7fffffff, v3
	v_cmp_gt_u32_e32 vcc, s7, v17
	s_and_saveexec_b64 s[0:1], vcc
	s_cbranch_execz .LBB18_126
; %bb.121:                              ;   in Loop: Header=BB18_102 Depth=1
	v_cmp_lt_u32_e32 vcc, s8, v17
                                        ; implicit-def: $vgpr14
	s_and_saveexec_b64 s[4:5], vcc
	s_xor_b64 s[4:5], exec, s[4:5]
; %bb.122:                              ;   in Loop: Header=BB18_102 Depth=1
	v_bfe_u32 v14, v3, 20, 1
	v_add3_u32 v14, v3, v14, s9
	v_lshrrev_b32_e32 v14, 20, v14
; %bb.123:                              ;   in Loop: Header=BB18_102 Depth=1
	s_andn2_saveexec_b64 s[4:5], s[4:5]
; %bb.124:                              ;   in Loop: Header=BB18_102 Depth=1
	v_add_f32_e64 v14, |v3|, s10
; %bb.125:                              ;   in Loop: Header=BB18_102 Depth=1
	s_or_b64 exec, exec, s[4:5]
.LBB18_126:                             ;   in Loop: Header=BB18_102 Depth=1
	s_or_b64 exec, exec, s[0:1]
	v_cvt_f32_f16_e32 v18, v4
	v_mov_b32_e32 v17, 0x7f
	v_div_scale_f32 v19, s[0:1], v0, v0, v18
	v_rcp_f32_e32 v20, v19
	v_div_scale_f32 v21, vcc, v18, v0, v18
	v_fma_f32 v22, -v19, v20, 1.0
	v_fmac_f32_e32 v20, v22, v20
	v_mul_f32_e32 v22, v21, v20
	v_fma_f32 v23, -v19, v22, v21
	v_fmac_f32_e32 v22, v23, v20
	v_fma_f32 v19, -v19, v22, v21
	v_div_fmas_f32 v19, v19, v20, v22
	v_div_fixup_f32 v18, v19, v0, v18
	v_max_f32_e32 v18, v18, v9
	v_min_f32_e32 v19, v18, v10
	v_and_b32_e32 v20, 0x7fffffff, v19
	v_cmp_gt_u32_e32 vcc, s7, v20
	v_mov_b32_e32 v18, 0x7f
	s_and_saveexec_b64 s[0:1], vcc
	s_cbranch_execz .LBB18_132
; %bb.127:                              ;   in Loop: Header=BB18_102 Depth=1
	v_cmp_lt_u32_e32 vcc, s8, v20
                                        ; implicit-def: $vgpr18
	s_and_saveexec_b64 s[4:5], vcc
	s_xor_b64 s[4:5], exec, s[4:5]
; %bb.128:                              ;   in Loop: Header=BB18_102 Depth=1
	v_bfe_u32 v18, v19, 20, 1
	v_add3_u32 v18, v19, v18, s9
	v_lshrrev_b32_e32 v18, 20, v18
; %bb.129:                              ;   in Loop: Header=BB18_102 Depth=1
	s_andn2_saveexec_b64 s[4:5], s[4:5]
; %bb.130:                              ;   in Loop: Header=BB18_102 Depth=1
	v_add_f32_e64 v18, |v19|, s10
; %bb.131:                              ;   in Loop: Header=BB18_102 Depth=1
	s_or_b64 exec, exec, s[4:5]
.LBB18_132:                             ;   in Loop: Header=BB18_102 Depth=1
	s_or_b64 exec, exec, s[0:1]
	v_cvt_f32_f16_sdwa v4, v4 dst_sel:DWORD dst_unused:UNUSED_PAD src0_sel:WORD_1
	v_div_scale_f32 v20, s[0:1], v0, v0, v4
	v_rcp_f32_e32 v21, v20
	v_div_scale_f32 v22, vcc, v4, v0, v4
	v_fma_f32 v23, -v20, v21, 1.0
	v_fmac_f32_e32 v21, v23, v21
	v_mul_f32_e32 v23, v22, v21
	v_fma_f32 v24, -v20, v23, v22
	v_fmac_f32_e32 v23, v24, v21
	v_fma_f32 v20, -v20, v23, v22
	v_div_fmas_f32 v20, v20, v21, v23
	v_div_fixup_f32 v4, v20, v0, v4
	v_max_f32_e32 v4, v4, v9
	v_min_f32_e32 v4, v4, v10
	v_and_b32_e32 v20, 0x7fffffff, v4
	v_cmp_gt_u32_e32 vcc, s7, v20
	s_and_saveexec_b64 s[0:1], vcc
	s_cbranch_execz .LBB18_138
; %bb.133:                              ;   in Loop: Header=BB18_102 Depth=1
	v_cmp_lt_u32_e32 vcc, s8, v20
                                        ; implicit-def: $vgpr17
	s_and_saveexec_b64 s[4:5], vcc
	s_xor_b64 s[4:5], exec, s[4:5]
; %bb.134:                              ;   in Loop: Header=BB18_102 Depth=1
	v_bfe_u32 v17, v4, 20, 1
	v_add3_u32 v17, v4, v17, s9
	v_lshrrev_b32_e32 v17, 20, v17
; %bb.135:                              ;   in Loop: Header=BB18_102 Depth=1
	s_andn2_saveexec_b64 s[4:5], s[4:5]
; %bb.136:                              ;   in Loop: Header=BB18_102 Depth=1
	v_add_f32_e64 v17, |v4|, s10
; %bb.137:                              ;   in Loop: Header=BB18_102 Depth=1
	s_or_b64 exec, exec, s[4:5]
.LBB18_138:                             ;   in Loop: Header=BB18_102 Depth=1
	s_or_b64 exec, exec, s[0:1]
	v_cvt_f32_f16_e32 v21, v5
	v_mov_b32_e32 v20, 0x7f
	v_div_scale_f32 v22, s[0:1], v0, v0, v21
	v_rcp_f32_e32 v23, v22
	v_div_scale_f32 v24, vcc, v21, v0, v21
	v_fma_f32 v25, -v22, v23, 1.0
	v_fmac_f32_e32 v23, v25, v23
	v_mul_f32_e32 v25, v24, v23
	v_fma_f32 v26, -v22, v25, v24
	v_fmac_f32_e32 v25, v26, v23
	v_fma_f32 v22, -v22, v25, v24
	v_div_fmas_f32 v22, v22, v23, v25
	v_div_fixup_f32 v21, v22, v0, v21
	v_max_f32_e32 v21, v21, v9
	v_min_f32_e32 v21, v21, v10
	v_and_b32_e32 v23, 0x7fffffff, v21
	v_cmp_gt_u32_e32 vcc, s7, v23
	v_mov_b32_e32 v22, 0x7f
	s_and_saveexec_b64 s[0:1], vcc
	s_cbranch_execz .LBB18_144
; %bb.139:                              ;   in Loop: Header=BB18_102 Depth=1
	v_cmp_lt_u32_e32 vcc, s8, v23
                                        ; implicit-def: $vgpr22
	s_and_saveexec_b64 s[4:5], vcc
	s_xor_b64 s[4:5], exec, s[4:5]
; %bb.140:                              ;   in Loop: Header=BB18_102 Depth=1
	v_bfe_u32 v22, v21, 20, 1
	v_add3_u32 v22, v21, v22, s9
	v_lshrrev_b32_e32 v22, 20, v22
; %bb.141:                              ;   in Loop: Header=BB18_102 Depth=1
	s_andn2_saveexec_b64 s[4:5], s[4:5]
; %bb.142:                              ;   in Loop: Header=BB18_102 Depth=1
	v_add_f32_e64 v22, |v21|, s10
; %bb.143:                              ;   in Loop: Header=BB18_102 Depth=1
	s_or_b64 exec, exec, s[4:5]
.LBB18_144:                             ;   in Loop: Header=BB18_102 Depth=1
	s_or_b64 exec, exec, s[0:1]
	v_cvt_f32_f16_sdwa v5, v5 dst_sel:DWORD dst_unused:UNUSED_PAD src0_sel:WORD_1
	v_div_scale_f32 v23, s[0:1], v0, v0, v5
	v_rcp_f32_e32 v24, v23
	v_div_scale_f32 v25, vcc, v5, v0, v5
	v_fma_f32 v26, -v23, v24, 1.0
	v_fmac_f32_e32 v24, v26, v24
	v_mul_f32_e32 v26, v25, v24
	v_fma_f32 v27, -v23, v26, v25
	v_fmac_f32_e32 v26, v27, v24
	v_fma_f32 v23, -v23, v26, v25
	v_div_fmas_f32 v23, v23, v24, v26
	v_div_fixup_f32 v5, v23, v0, v5
	v_max_f32_e32 v5, v5, v9
	v_min_f32_e32 v5, v5, v10
	v_and_b32_e32 v23, 0x7fffffff, v5
	v_cmp_gt_u32_e32 vcc, s7, v23
	s_and_saveexec_b64 s[0:1], vcc
	s_cbranch_execz .LBB18_101
; %bb.145:                              ;   in Loop: Header=BB18_102 Depth=1
	v_cmp_lt_u32_e32 vcc, s8, v23
                                        ; implicit-def: $vgpr20
	s_and_saveexec_b64 s[4:5], vcc
	s_xor_b64 s[4:5], exec, s[4:5]
; %bb.146:                              ;   in Loop: Header=BB18_102 Depth=1
	v_bfe_u32 v20, v5, 20, 1
	v_add3_u32 v20, v5, v20, s9
	v_lshrrev_b32_e32 v20, 20, v20
; %bb.147:                              ;   in Loop: Header=BB18_102 Depth=1
	s_andn2_saveexec_b64 s[4:5], s[4:5]
	s_cbranch_execz .LBB18_100
; %bb.148:                              ;   in Loop: Header=BB18_102 Depth=1
	v_add_f32_e64 v20, |v5|, s10
	s_branch .LBB18_100
.LBB18_149:
	s_endpgm
	.section	.rodata,"a",@progbits
	.p2align	6, 0x0
	.amdhsa_kernel _Z33per_token_group_quant_8bit_kernelIN3c104HalfENS0_13Float8_e4m3fnELb0ELb1EfEvPKT_PvPT3_iiifffii
		.amdhsa_group_segment_fixed_size 0
		.amdhsa_private_segment_fixed_size 0
		.amdhsa_kernarg_size 56
		.amdhsa_user_sgpr_count 6
		.amdhsa_user_sgpr_private_segment_buffer 1
		.amdhsa_user_sgpr_dispatch_ptr 0
		.amdhsa_user_sgpr_queue_ptr 0
		.amdhsa_user_sgpr_kernarg_segment_ptr 1
		.amdhsa_user_sgpr_dispatch_id 0
		.amdhsa_user_sgpr_flat_scratch_init 0
		.amdhsa_user_sgpr_kernarg_preload_length 0
		.amdhsa_user_sgpr_kernarg_preload_offset 0
		.amdhsa_user_sgpr_private_segment_size 0
		.amdhsa_uses_dynamic_stack 0
		.amdhsa_system_sgpr_private_segment_wavefront_offset 0
		.amdhsa_system_sgpr_workgroup_id_x 1
		.amdhsa_system_sgpr_workgroup_id_y 0
		.amdhsa_system_sgpr_workgroup_id_z 0
		.amdhsa_system_sgpr_workgroup_info 0
		.amdhsa_system_vgpr_workitem_id 0
		.amdhsa_next_free_vgpr 60
		.amdhsa_next_free_sgpr 26
		.amdhsa_accum_offset 60
		.amdhsa_reserve_vcc 1
		.amdhsa_reserve_flat_scratch 0
		.amdhsa_float_round_mode_32 0
		.amdhsa_float_round_mode_16_64 0
		.amdhsa_float_denorm_mode_32 3
		.amdhsa_float_denorm_mode_16_64 3
		.amdhsa_dx10_clamp 1
		.amdhsa_ieee_mode 1
		.amdhsa_fp16_overflow 0
		.amdhsa_tg_split 0
		.amdhsa_exception_fp_ieee_invalid_op 0
		.amdhsa_exception_fp_denorm_src 0
		.amdhsa_exception_fp_ieee_div_zero 0
		.amdhsa_exception_fp_ieee_overflow 0
		.amdhsa_exception_fp_ieee_underflow 0
		.amdhsa_exception_fp_ieee_inexact 0
		.amdhsa_exception_int_div_zero 0
	.end_amdhsa_kernel
	.section	.text._Z33per_token_group_quant_8bit_kernelIN3c104HalfENS0_13Float8_e4m3fnELb0ELb1EfEvPKT_PvPT3_iiifffii,"axG",@progbits,_Z33per_token_group_quant_8bit_kernelIN3c104HalfENS0_13Float8_e4m3fnELb0ELb1EfEvPKT_PvPT3_iiifffii,comdat
.Lfunc_end18:
	.size	_Z33per_token_group_quant_8bit_kernelIN3c104HalfENS0_13Float8_e4m3fnELb0ELb1EfEvPKT_PvPT3_iiifffii, .Lfunc_end18-_Z33per_token_group_quant_8bit_kernelIN3c104HalfENS0_13Float8_e4m3fnELb0ELb1EfEvPKT_PvPT3_iiifffii
                                        ; -- End function
	.section	.AMDGPU.csdata,"",@progbits
; Kernel info:
; codeLenInByte = 6752
; NumSgprs: 30
; NumVgprs: 60
; NumAgprs: 0
; TotalNumVgprs: 60
; ScratchSize: 0
; MemoryBound: 0
; FloatMode: 240
; IeeeMode: 1
; LDSByteSize: 0 bytes/workgroup (compile time only)
; SGPRBlocks: 3
; VGPRBlocks: 7
; NumSGPRsForWavesPerEU: 30
; NumVGPRsForWavesPerEU: 60
; AccumOffset: 60
; Occupancy: 8
; WaveLimiterHint : 0
; COMPUTE_PGM_RSRC2:SCRATCH_EN: 0
; COMPUTE_PGM_RSRC2:USER_SGPR: 6
; COMPUTE_PGM_RSRC2:TRAP_HANDLER: 0
; COMPUTE_PGM_RSRC2:TGID_X_EN: 1
; COMPUTE_PGM_RSRC2:TGID_Y_EN: 0
; COMPUTE_PGM_RSRC2:TGID_Z_EN: 0
; COMPUTE_PGM_RSRC2:TIDIG_COMP_CNT: 0
; COMPUTE_PGM_RSRC3_GFX90A:ACCUM_OFFSET: 14
; COMPUTE_PGM_RSRC3_GFX90A:TG_SPLIT: 0
	.section	.text._Z33per_token_group_quant_8bit_kernelIN3c104HalfENS0_13Float8_e4m3fnELb0ELb0EfEvPKT_PvPT3_iiifffii,"axG",@progbits,_Z33per_token_group_quant_8bit_kernelIN3c104HalfENS0_13Float8_e4m3fnELb0ELb0EfEvPKT_PvPT3_iiifffii,comdat
	.protected	_Z33per_token_group_quant_8bit_kernelIN3c104HalfENS0_13Float8_e4m3fnELb0ELb0EfEvPKT_PvPT3_iiifffii ; -- Begin function _Z33per_token_group_quant_8bit_kernelIN3c104HalfENS0_13Float8_e4m3fnELb0ELb0EfEvPKT_PvPT3_iiifffii
	.globl	_Z33per_token_group_quant_8bit_kernelIN3c104HalfENS0_13Float8_e4m3fnELb0ELb0EfEvPKT_PvPT3_iiifffii
	.p2align	8
	.type	_Z33per_token_group_quant_8bit_kernelIN3c104HalfENS0_13Float8_e4m3fnELb0ELb0EfEvPKT_PvPT3_iiifffii,@function
_Z33per_token_group_quant_8bit_kernelIN3c104HalfENS0_13Float8_e4m3fnELb0ELb0EfEvPKT_PvPT3_iiifffii: ; @_Z33per_token_group_quant_8bit_kernelIN3c104HalfENS0_13Float8_e4m3fnELb0ELb0EfEvPKT_PvPT3_iiifffii
; %bb.0:
	s_load_dword s21, s[4:5], 0x18
	s_load_dwordx4 s[8:11], s[4:5], 0x20
	s_load_dwordx2 s[2:3], s[4:5], 0x0
	v_lshrrev_b32_e32 v4, 4, v0
	v_and_b32_e32 v8, 15, v0
	s_waitcnt lgkmcnt(0)
	s_ashr_i32 s7, s21, 31
	s_mul_i32 s6, s6, s8
	v_add_co_u32_e32 v2, vcc, s6, v4
	v_addc_co_u32_e64 v3, s[0:1], 0, 0, vcc
	v_mul_lo_u32 v0, v3, s21
	v_mul_lo_u32 v1, v2, s7
	v_mad_u64_u32 v[12:13], s[0:1], v2, s21, 0
	v_add3_u32 v13, v13, v1, v0
	v_lshlrev_b64 v[0:1], 1, v[12:13]
	s_and_b32 s6, s21, 7
	v_mov_b32_e32 v6, s3
	v_add_co_u32_e32 v5, vcc, s2, v0
	s_cmp_eq_u32 s6, 0
	v_addc_co_u32_e32 v6, vcc, v6, v1, vcc
	v_mov_b32_e32 v15, 0
	v_and_b32_e32 v14, 15, v5
	s_cselect_b64 s[0:1], -1, 0
	s_cmp_lg_u32 s6, 0
	v_mul_lo_u32 v9, v4, s21
	v_cmp_ne_u64_e32 vcc, 0, v[14:15]
	s_cselect_b64 s[6:7], -1, 0
	v_lshl_add_u32 v11, v9, 1, 0
	s_or_b64 s[6:7], s[6:7], vcc
                                        ; implicit-def: $vgpr10
	s_and_saveexec_b64 s[12:13], s[6:7]
	s_xor_b64 s[6:7], exec, s[12:13]
	s_cbranch_execz .LBB19_12
; %bb.1:
	v_sub_u32_e32 v4, 0, v5
	v_bfe_u32 v4, v4, 1, 3
	v_min_i32_e32 v4, s21, v4
	v_cmp_gt_i32_e32 vcc, v4, v8
	v_mov_b32_e32 v10, s9
	s_and_saveexec_b64 s[12:13], vcc
	s_cbranch_execz .LBB19_3
; %bb.2:
	v_lshlrev_b32_e32 v7, 1, v8
	v_add_co_u32_e32 v14, vcc, v5, v7
	v_addc_co_u32_e32 v15, vcc, 0, v6, vcc
	global_load_ushort v5, v[14:15], off
	v_max_f32_e64 v10, s9, s9
	v_add_u32_e32 v7, v11, v7
	s_waitcnt vmcnt(0)
	v_cvt_f32_f16_e64 v6, |v5|
	ds_write_b16 v7, v5
	v_max_f32_e32 v10, v10, v6
.LBB19_3:
	s_or_b64 exec, exec, s[12:13]
	v_sub_u32_e32 v14, s21, v4
	v_ashrrev_i32_e32 v6, 31, v14
	v_lshrrev_b32_e32 v6, 29, v6
	v_add_u32_e32 v6, v14, v6
	v_ashrrev_i32_e32 v5, 31, v4
	v_ashrrev_i32_e32 v15, 3, v6
	v_cmp_gt_i32_e32 vcc, v15, v8
	v_lshlrev_b32_e32 v16, 1, v4
	v_lshlrev_b64 v[4:5], 1, v[4:5]
	s_and_saveexec_b64 s[12:13], vcc
	s_cbranch_execz .LBB19_7
; %bb.4:
	v_lshlrev_b32_e32 v6, 4, v8
	v_lshl_add_u32 v7, v9, 1, v6
	v_add_co_u32_e32 v6, vcc, v0, v6
	v_add3_u32 v17, v7, v16, 0
	v_addc_co_u32_e32 v7, vcc, 0, v1, vcc
	v_add_co_u32_e32 v6, vcc, v6, v4
	v_addc_co_u32_e32 v7, vcc, v7, v5, vcc
	v_mov_b32_e32 v18, s3
	v_add_co_u32_e32 v6, vcc, s2, v6
	v_addc_co_u32_e32 v7, vcc, v7, v18, vcc
	v_add_co_u32_e32 v6, vcc, 8, v6
	v_addc_co_u32_e32 v7, vcc, 0, v7, vcc
	s_mov_b64 s[14:15], 0
	v_mov_b32_e32 v18, v8
.LBB19_5:                               ; =>This Inner Loop Header: Depth=1
	global_load_dwordx4 v[20:23], v[6:7], off offset:-8
	v_add_co_u32_e32 v6, vcc, 0x100, v6
	v_add_u32_e32 v18, 16, v18
	v_addc_co_u32_e32 v7, vcc, 0, v7, vcc
	v_cmp_ge_i32_e32 vcc, v18, v15
	s_or_b64 s[14:15], vcc, s[14:15]
	s_waitcnt vmcnt(0)
	v_cvt_f32_f16_e64 v19, |v20|
	v_cvt_f32_f16_sdwa v24, |v20| dst_sel:DWORD dst_unused:UNUSED_PAD src0_sel:WORD_1
	v_cvt_f32_f16_e64 v25, |v21|
	v_cvt_f32_f16_sdwa v26, |v21| dst_sel:DWORD dst_unused:UNUSED_PAD src0_sel:WORD_1
	;; [unrolled: 2-line block ×4, first 2 shown]
	v_max3_f32 v10, v10, v19, v24
	v_max3_f32 v10, v10, v25, v26
	;; [unrolled: 1-line block ×3, first 2 shown]
	ds_write_b128 v17, v[20:23]
	v_add_u32_e32 v17, 0x100, v17
	v_max3_f32 v10, v10, v29, v30
	s_andn2_b64 exec, exec, s[14:15]
	s_cbranch_execnz .LBB19_5
; %bb.6:
	s_or_b64 exec, exec, s[14:15]
.LBB19_7:
	s_or_b64 exec, exec, s[12:13]
	v_lshl_add_u32 v6, v15, 3, v8
	v_cmp_lt_i32_e32 vcc, v6, v14
	s_and_saveexec_b64 s[12:13], vcc
	s_cbranch_execz .LBB19_11
; %bb.8:
	v_lshlrev_b32_e32 v7, 1, v9
	v_lshlrev_b32_e32 v15, 4, v15
	v_add3_u32 v7, v7, v15, v16
	v_lshlrev_b32_e32 v15, 1, v8
	v_add3_u32 v15, v7, v15, 0
	v_add_co_u32_e32 v4, vcc, v0, v4
	v_ashrrev_i32_e32 v7, 31, v6
	v_addc_co_u32_e32 v5, vcc, v1, v5, vcc
	v_lshlrev_b64 v[0:1], 1, v[6:7]
	v_add_co_u32_e32 v0, vcc, v4, v0
	v_addc_co_u32_e32 v1, vcc, v5, v1, vcc
	v_mov_b32_e32 v4, s3
	v_add_co_u32_e32 v0, vcc, s2, v0
	v_addc_co_u32_e32 v1, vcc, v4, v1, vcc
	s_mov_b64 s[14:15], 0
.LBB19_9:                               ; =>This Inner Loop Header: Depth=1
	global_load_ushort v4, v[0:1], off
	v_add_co_u32_e32 v0, vcc, 32, v0
	v_add_u32_e32 v6, 16, v6
	v_addc_co_u32_e32 v1, vcc, 0, v1, vcc
	v_max_f32_e32 v5, v10, v10
	v_cmp_ge_i32_e32 vcc, v6, v14
	s_or_b64 s[14:15], vcc, s[14:15]
	s_waitcnt vmcnt(0)
	v_cvt_f32_f16_e64 v7, |v4|
	ds_write_b16 v15, v4
	v_add_u32_e32 v15, 32, v15
	v_max_f32_e32 v10, v5, v7
	s_andn2_b64 exec, exec, s[14:15]
	s_cbranch_execnz .LBB19_9
; %bb.10:
	s_or_b64 exec, exec, s[14:15]
.LBB19_11:
	s_or_b64 exec, exec, s[12:13]
                                        ; implicit-def: $vgpr0_vgpr1
.LBB19_12:
	s_andn2_saveexec_b64 s[6:7], s[6:7]
	s_cbranch_execz .LBB19_18
; %bb.13:
	s_ashr_i32 s8, s21, 3
	v_cmp_gt_i32_e32 vcc, s8, v8
	v_mov_b32_e32 v10, s9
	s_and_saveexec_b64 s[12:13], vcc
	s_cbranch_execz .LBB19_17
; %bb.14:
	v_lshlrev_b32_e32 v5, 4, v8
	v_add_co_u32_e32 v0, vcc, v0, v5
	v_lshlrev_b32_e32 v4, 1, v9
	v_addc_co_u32_e32 v1, vcc, 0, v1, vcc
	v_add3_u32 v4, v4, v5, 0
	v_mov_b32_e32 v5, s3
	v_add_co_u32_e32 v0, vcc, s2, v0
	v_addc_co_u32_e32 v1, vcc, v1, v5, vcc
	v_add_co_u32_e32 v0, vcc, 8, v0
	v_addc_co_u32_e32 v1, vcc, 0, v1, vcc
	s_mov_b64 s[2:3], 0
	v_mov_b32_e32 v10, s9
	v_mov_b32_e32 v5, v8
.LBB19_15:                              ; =>This Inner Loop Header: Depth=1
	global_load_dwordx4 v[14:17], v[0:1], off offset:-8
	v_add_co_u32_e32 v0, vcc, 0x100, v0
	v_add_u32_e32 v5, 16, v5
	v_addc_co_u32_e32 v1, vcc, 0, v1, vcc
	v_cmp_le_i32_e32 vcc, s8, v5
	s_or_b64 s[2:3], vcc, s[2:3]
	s_waitcnt vmcnt(0)
	v_cvt_f32_f16_e64 v6, |v14|
	v_cvt_f32_f16_sdwa v7, |v14| dst_sel:DWORD dst_unused:UNUSED_PAD src0_sel:WORD_1
	v_cvt_f32_f16_e64 v18, |v15|
	v_cvt_f32_f16_sdwa v19, |v15| dst_sel:DWORD dst_unused:UNUSED_PAD src0_sel:WORD_1
	;; [unrolled: 2-line block ×4, first 2 shown]
	v_max3_f32 v6, v10, v6, v7
	v_max3_f32 v6, v6, v18, v19
	;; [unrolled: 1-line block ×3, first 2 shown]
	ds_write_b128 v4, v[14:17]
	v_add_u32_e32 v4, 0x100, v4
	v_max3_f32 v10, v6, v22, v23
	s_andn2_b64 exec, exec, s[2:3]
	s_cbranch_execnz .LBB19_15
; %bb.16:
	s_or_b64 exec, exec, s[2:3]
.LBB19_17:
	s_or_b64 exec, exec, s[12:13]
.LBB19_18:
	s_or_b64 exec, exec, s[6:7]
	v_mbcnt_lo_u32_b32 v0, -1, 0
	v_mbcnt_hi_u32_b32 v0, -1, v0
	v_and_b32_e32 v4, 0x70, v0
	v_xor_b32_e32 v1, 8, v0
	v_add_u32_e32 v4, 16, v4
	v_cmp_lt_i32_e32 vcc, v1, v4
	v_cndmask_b32_e32 v1, v0, v1, vcc
	v_lshlrev_b32_e32 v1, 2, v1
	ds_bpermute_b32 v1, v1, v10
	v_xor_b32_e32 v6, 4, v0
	v_max_f32_e32 v5, v10, v10
	v_cmp_lt_i32_e32 vcc, v6, v4
	s_load_dwordx2 s[8:9], s[4:5], 0x8
	s_waitcnt lgkmcnt(0)
	v_max_f32_e32 v1, v1, v1
	v_max_f32_e32 v1, v5, v1
	v_cndmask_b32_e32 v5, v0, v6, vcc
	v_lshlrev_b32_e32 v5, 2, v5
	ds_bpermute_b32 v5, v5, v1
	v_xor_b32_e32 v6, 2, v0
	v_cmp_lt_i32_e32 vcc, v6, v4
	s_waitcnt lgkmcnt(0)
	v_max_f32_e32 v5, v5, v5
	v_max_f32_e32 v1, v1, v5
	v_cndmask_b32_e32 v5, v0, v6, vcc
	v_lshlrev_b32_e32 v5, 2, v5
	ds_bpermute_b32 v5, v5, v1
	v_xor_b32_e32 v6, 1, v0
	v_cmp_lt_i32_e32 vcc, v6, v4
	v_cndmask_b32_e32 v0, v0, v6, vcc
	v_lshlrev_b32_e32 v0, 2, v0
	s_waitcnt lgkmcnt(0)
	v_max_f32_e32 v5, v5, v5
	v_max_f32_e32 v1, v1, v5
	ds_bpermute_b32 v0, v0, v1
	s_waitcnt lgkmcnt(0)
	v_max_f32_e32 v0, v0, v0
	v_max_f32_e32 v0, v1, v0
	v_div_scale_f32 v1, s[2:3], s11, s11, v0
	v_rcp_f32_e32 v4, v1
	v_div_scale_f32 v5, vcc, v0, s11, v0
	v_fma_f32 v6, -v1, v4, 1.0
	v_fmac_f32_e32 v4, v6, v4
	v_mul_f32_e32 v6, v5, v4
	v_fma_f32 v7, -v1, v6, v5
	v_fmac_f32_e32 v6, v7, v4
	v_fma_f32 v1, -v1, v6, v5
	v_div_fmas_f32 v1, v1, v4, v6
	v_div_fixup_f32 v0, v1, s11, v0
	v_cmp_eq_u32_e32 vcc, 0, v8
	s_and_saveexec_b64 s[2:3], vcc
	s_cbranch_execz .LBB19_20
; %bb.19:
	s_load_dwordx2 s[4:5], s[4:5], 0x10
	v_lshlrev_b64 v[2:3], 2, v[2:3]
	s_waitcnt lgkmcnt(0)
	v_mov_b32_e32 v1, s5
	v_add_co_u32_e32 v2, vcc, s4, v2
	v_addc_co_u32_e32 v3, vcc, v1, v3, vcc
	global_store_dword v[2:3], v0, off
.LBB19_20:
	s_or_b64 exec, exec, s[2:3]
	v_and_b32_e32 v2, 15, v11
	v_mov_b32_e32 v3, 0
	v_cmp_ne_u64_e32 vcc, 0, v[2:3]
	s_xor_b64 s[0:1], s[0:1], -1
	s_or_b64 s[0:1], s[0:1], vcc
	s_barrier
	s_and_saveexec_b64 s[2:3], s[0:1]
	s_xor_b64 s[12:13], exec, s[2:3]
	s_cbranch_execz .LBB19_97
; %bb.21:
	v_mov_b32_e32 v2, s9
	v_add_co_u32_e32 v1, vcc, s8, v12
	v_addc_co_u32_e32 v10, vcc, v2, v13, vcc
	v_sub_u32_e32 v2, 0, v11
	v_bfe_u32 v2, v2, 1, 3
	v_min_i32_e32 v21, s21, v2
	v_cmp_gt_i32_e32 vcc, v21, v8
	s_and_saveexec_b64 s[0:1], vcc
	s_cbranch_execz .LBB19_29
; %bb.22:
	v_lshl_add_u32 v2, v8, 1, v11
	ds_read_u16 v2, v2
	v_max_f32_e64 v3, s10, s10
	v_max_f32_e64 v4, s11, s11
	s_waitcnt lgkmcnt(0)
	v_cvt_f32_f16_e32 v2, v2
	v_div_scale_f32 v5, s[2:3], v0, v0, v2
	v_rcp_f32_e32 v6, v5
	v_div_scale_f32 v7, vcc, v2, v0, v2
	s_mov_b32 s2, 0x43f00000
	v_fma_f32 v11, -v5, v6, 1.0
	v_fmac_f32_e32 v6, v11, v6
	v_mul_f32_e32 v11, v7, v6
	v_fma_f32 v14, -v5, v11, v7
	v_fmac_f32_e32 v11, v14, v6
	v_fma_f32 v5, -v5, v11, v7
	v_div_fmas_f32 v5, v5, v6, v11
	v_div_fixup_f32 v2, v5, v0, v2
	v_max_f32_e32 v2, v2, v3
	v_min_f32_e32 v2, v2, v4
	v_and_b32_e32 v4, 0x7fffffff, v2
	v_cmp_gt_u32_e32 vcc, s2, v4
	v_mov_b32_e32 v3, 0x7f
	s_and_saveexec_b64 s[2:3], vcc
	s_cbranch_execz .LBB19_28
; %bb.23:
	s_mov_b32 s4, 0x3c7fffff
	v_cmp_lt_u32_e32 vcc, s4, v4
                                        ; implicit-def: $vgpr3
	s_and_saveexec_b64 s[4:5], vcc
	s_xor_b64 s[4:5], exec, s[4:5]
; %bb.24:
	v_bfe_u32 v3, v2, 20, 1
	s_mov_b32 s6, 0x407ffff
	v_add3_u32 v3, v2, v3, s6
	v_lshrrev_b32_e32 v3, 20, v3
; %bb.25:
	s_andn2_saveexec_b64 s[4:5], s[4:5]
; %bb.26:
	s_mov_b32 s6, 0x46800000
	v_add_f32_e64 v3, |v2|, s6
; %bb.27:
	s_or_b64 exec, exec, s[4:5]
.LBB19_28:
	s_or_b64 exec, exec, s[2:3]
	v_add_co_u32_e32 v4, vcc, v1, v8
	v_lshrrev_b32_e32 v2, 24, v2
	s_movk_i32 s2, 0x80
	v_addc_co_u32_e32 v5, vcc, 0, v10, vcc
	v_and_or_b32 v2, v2, s2, v3
	global_store_byte v[4:5], v2, off
.LBB19_29:
	s_or_b64 exec, exec, s[0:1]
	v_sub_u32_e32 v20, s21, v21
	v_ashrrev_i32_e32 v2, 31, v20
	v_lshrrev_b32_e32 v2, 29, v2
	v_add_u32_e32 v2, v20, v2
	v_ashrrev_i32_e32 v11, 3, v2
	v_ashrrev_i32_e32 v22, 31, v21
	v_cmp_gt_i32_e32 vcc, v11, v8
	v_lshlrev_b32_e32 v23, 1, v21
	s_and_saveexec_b64 s[2:3], vcc
	s_cbranch_execz .LBB19_80
; %bb.30:
	v_lshlrev_b32_e32 v2, 4, v8
	v_lshl_add_u32 v2, v9, 1, v2
	v_lshlrev_b32_e32 v3, 1, v21
	v_add3_u32 v14, v2, v3, 0
	v_add_co_u32_e32 v2, vcc, v21, v12
	v_addc_co_u32_e32 v3, vcc, v22, v13, vcc
	v_lshlrev_b32_e32 v4, 3, v8
	v_add_co_u32_e32 v2, vcc, v2, v4
	v_addc_co_u32_e32 v3, vcc, 0, v3, vcc
	v_mov_b32_e32 v4, s9
	v_add_co_u32_e32 v6, vcc, s8, v2
	v_addc_co_u32_e32 v7, vcc, v4, v3, vcc
	s_mov_b64 s[4:5], 0
	v_max_f32_e64 v15, s10, s10
	v_max_f32_e64 v16, s11, s11
	s_mov_b32 s14, 0x43f00000
	s_mov_b32 s15, 0x3c7fffff
	;; [unrolled: 1-line block ×4, first 2 shown]
	s_movk_i32 s18, 0x80
	s_movk_i32 s19, 0xff
	v_mov_b32_e32 v17, v8
	s_branch .LBB19_33
.LBB19_31:                              ;   in Loop: Header=BB19_33 Depth=1
	s_or_b64 exec, exec, s[6:7]
.LBB19_32:                              ;   in Loop: Header=BB19_33 Depth=1
	s_or_b64 exec, exec, s[0:1]
	v_and_b32_sdwa v32, v32, s18 dst_sel:DWORD dst_unused:UNUSED_PAD src0_sel:BYTE_3 src1_sel:DWORD
	v_lshrrev_b32_e32 v5, 24, v5
	v_and_b32_sdwa v4, v4, s18 dst_sel:DWORD dst_unused:UNUSED_PAD src0_sel:BYTE_3 src1_sel:DWORD
	v_and_or_b32 v5, v5, s18, v31
	v_and_or_b32 v31, v33, s19, v32
	v_and_b32_sdwa v30, v30, s18 dst_sel:DWORD dst_unused:UNUSED_PAD src0_sel:BYTE_3 src1_sel:DWORD
	v_lshlrev_b32_e32 v5, 24, v5
	v_lshlrev_b32_e32 v31, 16, v31
	v_and_or_b32 v4, v28, s19, v4
	v_and_b32_sdwa v27, v27, s18 dst_sel:DWORD dst_unused:UNUSED_PAD src0_sel:BYTE_3 src1_sel:DWORD
	v_or_b32_e32 v5, v5, v31
	v_lshlrev_b32_e32 v4, 8, v4
	v_and_or_b32 v28, v29, s19, v30
	v_and_b32_sdwa v2, v2, s18 dst_sel:DWORD dst_unused:UNUSED_PAD src0_sel:BYTE_3 src1_sel:DWORD
	v_or3_b32 v5, v5, v4, v28
	v_lshlrev_b32_e32 v4, 24, v25
	v_and_or_b32 v25, v26, s19, v27
	v_and_b32_sdwa v24, v24, s18 dst_sel:DWORD dst_unused:UNUSED_PAD src0_sel:BYTE_3 src1_sel:DWORD
	v_and_b32_e32 v3, 0x80000000, v3
	v_lshlrev_b32_e32 v25, 16, v25
	v_and_or_b32 v2, v18, s19, v2
	v_lshlrev_b32_e32 v2, 8, v2
	v_or3_b32 v3, v4, v3, v25
	v_and_or_b32 v4, v19, s19, v24
	v_or3_b32 v4, v3, v2, v4
	v_add_u32_e32 v17, 16, v17
	global_store_dwordx2 v[6:7], v[4:5], off
	v_add_co_u32_e32 v6, vcc, 0x80, v6
	v_cmp_ge_i32_e64 s[0:1], v17, v11
	v_add_u32_e32 v14, 0x100, v14
	s_or_b64 s[4:5], s[0:1], s[4:5]
	v_addc_co_u32_e32 v7, vcc, 0, v7, vcc
	s_andn2_b64 exec, exec, s[4:5]
	s_cbranch_execz .LBB19_80
.LBB19_33:                              ; =>This Inner Loop Header: Depth=1
	ds_read_b128 v[2:5], v14
	v_mov_b32_e32 v18, 0x7f
	s_waitcnt lgkmcnt(0)
	v_cvt_f32_f16_e32 v19, v2
	v_div_scale_f32 v24, s[0:1], v0, v0, v19
	v_rcp_f32_e32 v25, v24
	v_div_scale_f32 v26, vcc, v19, v0, v19
	v_fma_f32 v27, -v24, v25, 1.0
	v_fmac_f32_e32 v25, v27, v25
	v_mul_f32_e32 v27, v26, v25
	v_fma_f32 v28, -v24, v27, v26
	v_fmac_f32_e32 v27, v28, v25
	v_fma_f32 v24, -v24, v27, v26
	v_div_fmas_f32 v24, v24, v25, v27
	v_div_fixup_f32 v19, v24, v0, v19
	v_max_f32_e32 v19, v19, v15
	v_min_f32_e32 v24, v19, v16
	v_and_b32_e32 v25, 0x7fffffff, v24
	v_cmp_gt_u32_e32 vcc, s14, v25
	v_mov_b32_e32 v19, 0x7f
	s_and_saveexec_b64 s[0:1], vcc
	s_cbranch_execz .LBB19_39
; %bb.34:                               ;   in Loop: Header=BB19_33 Depth=1
	v_cmp_lt_u32_e32 vcc, s15, v25
                                        ; implicit-def: $vgpr19
	s_and_saveexec_b64 s[6:7], vcc
	s_xor_b64 s[6:7], exec, s[6:7]
; %bb.35:                               ;   in Loop: Header=BB19_33 Depth=1
	v_bfe_u32 v19, v24, 20, 1
	v_add3_u32 v19, v24, v19, s16
	v_lshrrev_b32_e32 v19, 20, v19
; %bb.36:                               ;   in Loop: Header=BB19_33 Depth=1
	s_andn2_saveexec_b64 s[6:7], s[6:7]
; %bb.37:                               ;   in Loop: Header=BB19_33 Depth=1
	v_add_f32_e64 v19, |v24|, s17
; %bb.38:                               ;   in Loop: Header=BB19_33 Depth=1
	s_or_b64 exec, exec, s[6:7]
.LBB19_39:                              ;   in Loop: Header=BB19_33 Depth=1
	s_or_b64 exec, exec, s[0:1]
	v_cvt_f32_f16_sdwa v2, v2 dst_sel:DWORD dst_unused:UNUSED_PAD src0_sel:WORD_1
	v_div_scale_f32 v25, s[0:1], v0, v0, v2
	v_rcp_f32_e32 v26, v25
	v_div_scale_f32 v27, vcc, v2, v0, v2
	v_fma_f32 v28, -v25, v26, 1.0
	v_fmac_f32_e32 v26, v28, v26
	v_mul_f32_e32 v28, v27, v26
	v_fma_f32 v29, -v25, v28, v27
	v_fmac_f32_e32 v28, v29, v26
	v_fma_f32 v25, -v25, v28, v27
	v_div_fmas_f32 v25, v25, v26, v28
	v_div_fixup_f32 v2, v25, v0, v2
	v_max_f32_e32 v2, v2, v15
	v_min_f32_e32 v2, v2, v16
	v_and_b32_e32 v25, 0x7fffffff, v2
	v_cmp_gt_u32_e32 vcc, s14, v25
	s_and_saveexec_b64 s[0:1], vcc
	s_cbranch_execz .LBB19_45
; %bb.40:                               ;   in Loop: Header=BB19_33 Depth=1
	v_cmp_lt_u32_e32 vcc, s15, v25
                                        ; implicit-def: $vgpr18
	s_and_saveexec_b64 s[6:7], vcc
	s_xor_b64 s[6:7], exec, s[6:7]
; %bb.41:                               ;   in Loop: Header=BB19_33 Depth=1
	v_bfe_u32 v18, v2, 20, 1
	v_add3_u32 v18, v2, v18, s16
	v_lshrrev_b32_e32 v18, 20, v18
; %bb.42:                               ;   in Loop: Header=BB19_33 Depth=1
	s_andn2_saveexec_b64 s[6:7], s[6:7]
; %bb.43:                               ;   in Loop: Header=BB19_33 Depth=1
	v_add_f32_e64 v18, |v2|, s17
; %bb.44:                               ;   in Loop: Header=BB19_33 Depth=1
	s_or_b64 exec, exec, s[6:7]
.LBB19_45:                              ;   in Loop: Header=BB19_33 Depth=1
	s_or_b64 exec, exec, s[0:1]
	v_cvt_f32_f16_e32 v26, v3
	v_mov_b32_e32 v25, 0x7f
	v_div_scale_f32 v27, s[0:1], v0, v0, v26
	v_rcp_f32_e32 v28, v27
	v_div_scale_f32 v29, vcc, v26, v0, v26
	v_fma_f32 v30, -v27, v28, 1.0
	v_fmac_f32_e32 v28, v30, v28
	v_mul_f32_e32 v30, v29, v28
	v_fma_f32 v31, -v27, v30, v29
	v_fmac_f32_e32 v30, v31, v28
	v_fma_f32 v27, -v27, v30, v29
	v_div_fmas_f32 v27, v27, v28, v30
	v_div_fixup_f32 v26, v27, v0, v26
	v_max_f32_e32 v26, v26, v15
	v_min_f32_e32 v27, v26, v16
	v_and_b32_e32 v28, 0x7fffffff, v27
	v_cmp_gt_u32_e32 vcc, s14, v28
	v_mov_b32_e32 v26, 0x7f
	s_and_saveexec_b64 s[0:1], vcc
	s_cbranch_execz .LBB19_51
; %bb.46:                               ;   in Loop: Header=BB19_33 Depth=1
	v_cmp_lt_u32_e32 vcc, s15, v28
                                        ; implicit-def: $vgpr26
	s_and_saveexec_b64 s[6:7], vcc
	s_xor_b64 s[6:7], exec, s[6:7]
; %bb.47:                               ;   in Loop: Header=BB19_33 Depth=1
	v_bfe_u32 v26, v27, 20, 1
	v_add3_u32 v26, v27, v26, s16
	v_lshrrev_b32_e32 v26, 20, v26
; %bb.48:                               ;   in Loop: Header=BB19_33 Depth=1
	s_andn2_saveexec_b64 s[6:7], s[6:7]
; %bb.49:                               ;   in Loop: Header=BB19_33 Depth=1
	v_add_f32_e64 v26, |v27|, s17
; %bb.50:                               ;   in Loop: Header=BB19_33 Depth=1
	s_or_b64 exec, exec, s[6:7]
.LBB19_51:                              ;   in Loop: Header=BB19_33 Depth=1
	s_or_b64 exec, exec, s[0:1]
	v_cvt_f32_f16_sdwa v3, v3 dst_sel:DWORD dst_unused:UNUSED_PAD src0_sel:WORD_1
	v_div_scale_f32 v28, s[0:1], v0, v0, v3
	v_rcp_f32_e32 v29, v28
	v_div_scale_f32 v30, vcc, v3, v0, v3
	v_fma_f32 v31, -v28, v29, 1.0
	v_fmac_f32_e32 v29, v31, v29
	v_mul_f32_e32 v31, v30, v29
	v_fma_f32 v32, -v28, v31, v30
	v_fmac_f32_e32 v31, v32, v29
	v_fma_f32 v28, -v28, v31, v30
	v_div_fmas_f32 v28, v28, v29, v31
	v_div_fixup_f32 v3, v28, v0, v3
	v_max_f32_e32 v3, v3, v15
	v_min_f32_e32 v3, v3, v16
	v_and_b32_e32 v28, 0x7fffffff, v3
	v_cmp_gt_u32_e32 vcc, s14, v28
	s_and_saveexec_b64 s[0:1], vcc
	s_cbranch_execz .LBB19_57
; %bb.52:                               ;   in Loop: Header=BB19_33 Depth=1
	v_cmp_lt_u32_e32 vcc, s15, v28
                                        ; implicit-def: $vgpr25
	s_and_saveexec_b64 s[6:7], vcc
	s_xor_b64 s[6:7], exec, s[6:7]
; %bb.53:                               ;   in Loop: Header=BB19_33 Depth=1
	v_bfe_u32 v25, v3, 20, 1
	v_add3_u32 v25, v3, v25, s16
	v_lshrrev_b32_e32 v25, 20, v25
; %bb.54:                               ;   in Loop: Header=BB19_33 Depth=1
	s_andn2_saveexec_b64 s[6:7], s[6:7]
; %bb.55:                               ;   in Loop: Header=BB19_33 Depth=1
	v_add_f32_e64 v25, |v3|, s17
; %bb.56:                               ;   in Loop: Header=BB19_33 Depth=1
	s_or_b64 exec, exec, s[6:7]
.LBB19_57:                              ;   in Loop: Header=BB19_33 Depth=1
	s_or_b64 exec, exec, s[0:1]
	v_cvt_f32_f16_e32 v29, v4
	v_mov_b32_e32 v28, 0x7f
	v_div_scale_f32 v30, s[0:1], v0, v0, v29
	v_rcp_f32_e32 v31, v30
	v_div_scale_f32 v32, vcc, v29, v0, v29
	v_fma_f32 v33, -v30, v31, 1.0
	v_fmac_f32_e32 v31, v33, v31
	v_mul_f32_e32 v33, v32, v31
	v_fma_f32 v34, -v30, v33, v32
	v_fmac_f32_e32 v33, v34, v31
	v_fma_f32 v30, -v30, v33, v32
	v_div_fmas_f32 v30, v30, v31, v33
	v_div_fixup_f32 v29, v30, v0, v29
	v_max_f32_e32 v29, v29, v15
	v_min_f32_e32 v30, v29, v16
	v_and_b32_e32 v31, 0x7fffffff, v30
	v_cmp_gt_u32_e32 vcc, s14, v31
	v_mov_b32_e32 v29, 0x7f
	s_and_saveexec_b64 s[0:1], vcc
	s_cbranch_execz .LBB19_63
; %bb.58:                               ;   in Loop: Header=BB19_33 Depth=1
	v_cmp_lt_u32_e32 vcc, s15, v31
                                        ; implicit-def: $vgpr29
	s_and_saveexec_b64 s[6:7], vcc
	s_xor_b64 s[6:7], exec, s[6:7]
; %bb.59:                               ;   in Loop: Header=BB19_33 Depth=1
	v_bfe_u32 v29, v30, 20, 1
	v_add3_u32 v29, v30, v29, s16
	v_lshrrev_b32_e32 v29, 20, v29
; %bb.60:                               ;   in Loop: Header=BB19_33 Depth=1
	s_andn2_saveexec_b64 s[6:7], s[6:7]
; %bb.61:                               ;   in Loop: Header=BB19_33 Depth=1
	v_add_f32_e64 v29, |v30|, s17
; %bb.62:                               ;   in Loop: Header=BB19_33 Depth=1
	s_or_b64 exec, exec, s[6:7]
.LBB19_63:                              ;   in Loop: Header=BB19_33 Depth=1
	s_or_b64 exec, exec, s[0:1]
	v_cvt_f32_f16_sdwa v4, v4 dst_sel:DWORD dst_unused:UNUSED_PAD src0_sel:WORD_1
	v_div_scale_f32 v31, s[0:1], v0, v0, v4
	v_rcp_f32_e32 v32, v31
	v_div_scale_f32 v33, vcc, v4, v0, v4
	v_fma_f32 v34, -v31, v32, 1.0
	v_fmac_f32_e32 v32, v34, v32
	v_mul_f32_e32 v34, v33, v32
	v_fma_f32 v35, -v31, v34, v33
	v_fmac_f32_e32 v34, v35, v32
	v_fma_f32 v31, -v31, v34, v33
	v_div_fmas_f32 v31, v31, v32, v34
	v_div_fixup_f32 v4, v31, v0, v4
	v_max_f32_e32 v4, v4, v15
	v_min_f32_e32 v4, v4, v16
	v_and_b32_e32 v31, 0x7fffffff, v4
	v_cmp_gt_u32_e32 vcc, s14, v31
	s_and_saveexec_b64 s[0:1], vcc
	s_cbranch_execz .LBB19_69
; %bb.64:                               ;   in Loop: Header=BB19_33 Depth=1
	v_cmp_lt_u32_e32 vcc, s15, v31
                                        ; implicit-def: $vgpr28
	s_and_saveexec_b64 s[6:7], vcc
	s_xor_b64 s[6:7], exec, s[6:7]
; %bb.65:                               ;   in Loop: Header=BB19_33 Depth=1
	v_bfe_u32 v28, v4, 20, 1
	v_add3_u32 v28, v4, v28, s16
	v_lshrrev_b32_e32 v28, 20, v28
; %bb.66:                               ;   in Loop: Header=BB19_33 Depth=1
	s_andn2_saveexec_b64 s[6:7], s[6:7]
; %bb.67:                               ;   in Loop: Header=BB19_33 Depth=1
	v_add_f32_e64 v28, |v4|, s17
; %bb.68:                               ;   in Loop: Header=BB19_33 Depth=1
	s_or_b64 exec, exec, s[6:7]
.LBB19_69:                              ;   in Loop: Header=BB19_33 Depth=1
	s_or_b64 exec, exec, s[0:1]
	v_cvt_f32_f16_e32 v32, v5
	v_mov_b32_e32 v31, 0x7f
	v_div_scale_f32 v33, s[0:1], v0, v0, v32
	v_rcp_f32_e32 v34, v33
	v_div_scale_f32 v35, vcc, v32, v0, v32
	v_fma_f32 v36, -v33, v34, 1.0
	v_fmac_f32_e32 v34, v36, v34
	v_mul_f32_e32 v36, v35, v34
	v_fma_f32 v37, -v33, v36, v35
	v_fmac_f32_e32 v36, v37, v34
	v_fma_f32 v33, -v33, v36, v35
	v_div_fmas_f32 v33, v33, v34, v36
	v_div_fixup_f32 v32, v33, v0, v32
	v_max_f32_e32 v32, v32, v15
	v_min_f32_e32 v32, v32, v16
	v_and_b32_e32 v34, 0x7fffffff, v32
	v_cmp_gt_u32_e32 vcc, s14, v34
	v_mov_b32_e32 v33, 0x7f
	s_and_saveexec_b64 s[0:1], vcc
	s_cbranch_execz .LBB19_75
; %bb.70:                               ;   in Loop: Header=BB19_33 Depth=1
	v_cmp_lt_u32_e32 vcc, s15, v34
                                        ; implicit-def: $vgpr33
	s_and_saveexec_b64 s[6:7], vcc
	s_xor_b64 s[6:7], exec, s[6:7]
; %bb.71:                               ;   in Loop: Header=BB19_33 Depth=1
	v_bfe_u32 v33, v32, 20, 1
	v_add3_u32 v33, v32, v33, s16
	v_lshrrev_b32_e32 v33, 20, v33
; %bb.72:                               ;   in Loop: Header=BB19_33 Depth=1
	s_andn2_saveexec_b64 s[6:7], s[6:7]
; %bb.73:                               ;   in Loop: Header=BB19_33 Depth=1
	v_add_f32_e64 v33, |v32|, s17
; %bb.74:                               ;   in Loop: Header=BB19_33 Depth=1
	s_or_b64 exec, exec, s[6:7]
.LBB19_75:                              ;   in Loop: Header=BB19_33 Depth=1
	s_or_b64 exec, exec, s[0:1]
	v_cvt_f32_f16_sdwa v5, v5 dst_sel:DWORD dst_unused:UNUSED_PAD src0_sel:WORD_1
	v_div_scale_f32 v34, s[0:1], v0, v0, v5
	v_rcp_f32_e32 v35, v34
	v_div_scale_f32 v36, vcc, v5, v0, v5
	v_fma_f32 v37, -v34, v35, 1.0
	v_fmac_f32_e32 v35, v37, v35
	v_mul_f32_e32 v37, v36, v35
	v_fma_f32 v38, -v34, v37, v36
	v_fmac_f32_e32 v37, v38, v35
	v_fma_f32 v34, -v34, v37, v36
	v_div_fmas_f32 v34, v34, v35, v37
	v_div_fixup_f32 v5, v34, v0, v5
	v_max_f32_e32 v5, v5, v15
	v_min_f32_e32 v5, v5, v16
	v_and_b32_e32 v34, 0x7fffffff, v5
	v_cmp_gt_u32_e32 vcc, s14, v34
	s_and_saveexec_b64 s[0:1], vcc
	s_cbranch_execz .LBB19_32
; %bb.76:                               ;   in Loop: Header=BB19_33 Depth=1
	v_cmp_lt_u32_e32 vcc, s15, v34
                                        ; implicit-def: $vgpr31
	s_and_saveexec_b64 s[6:7], vcc
	s_xor_b64 s[6:7], exec, s[6:7]
; %bb.77:                               ;   in Loop: Header=BB19_33 Depth=1
	v_bfe_u32 v31, v5, 20, 1
	v_add3_u32 v31, v5, v31, s16
	v_lshrrev_b32_e32 v31, 20, v31
; %bb.78:                               ;   in Loop: Header=BB19_33 Depth=1
	s_andn2_saveexec_b64 s[6:7], s[6:7]
	s_cbranch_execz .LBB19_31
; %bb.79:                               ;   in Loop: Header=BB19_33 Depth=1
	v_add_f32_e64 v31, |v5|, s17
	s_branch .LBB19_31
.LBB19_80:
	s_or_b64 exec, exec, s[2:3]
	v_lshlrev_b32_e32 v4, 3, v11
	v_add_u32_e32 v2, v4, v8
	v_cmp_lt_i32_e32 vcc, v2, v20
	s_and_saveexec_b64 s[14:15], vcc
	s_cbranch_execz .LBB19_96
; %bb.81:
	v_add_u32_e32 v3, 16, v2
	v_max_i32_e32 v5, v3, v20
	v_xad_u32 v5, v8, -1, v5
	v_sub_u32_e32 v4, v5, v4
	v_cmp_lt_u32_e32 vcc, 47, v4
	s_mov_b64 s[0:1], 0
                                        ; implicit-def: $vgpr24
	s_and_saveexec_b64 s[2:3], vcc
	s_xor_b64 s[16:17], exec, s[2:3]
	s_cbranch_execnz .LBB19_84
; %bb.82:
	s_andn2_saveexec_b64 s[2:3], s[16:17]
	s_cbranch_execnz .LBB19_87
.LBB19_83:
	s_or_b64 exec, exec, s[2:3]
	s_and_b64 exec, exec, s[0:1]
	s_cbranch_execnz .LBB19_88
	s_branch .LBB19_96
.LBB19_84:
	v_lshrrev_b32_e32 v4, 4, v4
	v_lshlrev_b32_e32 v24, 1, v9
	v_lshlrev_b32_e32 v9, 4, v11
	;; [unrolled: 1-line block ×3, first 2 shown]
	v_add_u32_e32 v25, 1, v4
	v_add_co_u32_e32 v27, vcc, v1, v21
	v_add_u32_e32 v5, 48, v2
	v_add_u32_e32 v4, 32, v2
	v_add3_u32 v9, v24, v9, v23
	v_lshlrev_b32_e32 v8, 1, v8
	v_addc_co_u32_e32 v28, vcc, v10, v22, vcc
	v_and_b32_e32 v26, 0x1ffffffc, v25
	s_mov_b32 s0, s10
	s_mov_b32 s1, s10
	;; [unrolled: 1-line block ×8, first 2 shown]
	v_add3_u32 v29, v9, v8, 0
	v_pk_mov_b32 v[10:11], v[4:5], v[4:5] op_sel:[0,1]
	v_mov_b32_e32 v1, v0
	v_mov_b32_e32 v6, v0
	;; [unrolled: 1-line block ×3, first 2 shown]
	s_mov_b64 s[18:19], 0
	v_max_f32_e64 v30, s3, s3
	v_max_f32_e64 v31, s2, s2
	v_max_f32_e64 v32, s1, s1
	v_max_f32_e64 v33, s0, s0
	v_max_f32_e64 v34, s4, s4
	v_max_f32_e64 v35, s5, s5
	v_max_f32_e64 v36, s6, s6
	v_max_f32_e64 v37, s7, s7
	s_mov_b32 s22, 0x43f00000
	s_mov_b32 s23, 0x7700000
	;; [unrolled: 1-line block ×4, first 2 shown]
	v_mov_b32_e32 v38, 0x7f
	s_movk_i32 s25, 0x80
	v_mov_b32_e32 v39, v26
	v_pk_mov_b32 v[8:9], v[2:3], v[2:3] op_sel:[0,1]
.LBB19_85:                              ; =>This Inner Loop Header: Depth=1
	ds_read_u16 v40, v29
	ds_read_u16 v41, v29 offset:32
	ds_read_u16 v42, v29 offset:64
	;; [unrolled: 1-line block ×3, first 2 shown]
	v_ashrrev_i32_e32 v3, 31, v11
	s_waitcnt lgkmcnt(3)
	v_cvt_f32_f16_e32 v40, v40
	v_ashrrev_i32_e32 v5, 31, v9
	v_ashrrev_i32_e32 v17, 31, v8
	v_add_co_u32_e32 v4, vcc, v27, v9
	v_add_co_u32_e64 v16, s[2:3], v27, v11
	v_add_co_u32_e64 v18, s[4:5], v27, v8
	s_waitcnt lgkmcnt(2)
	v_cvt_f32_f16_e32 v41, v41
	v_addc_co_u32_e64 v19, s[4:5], v28, v17, s[4:5]
	v_addc_co_u32_e32 v5, vcc, v28, v5, vcc
	v_addc_co_u32_e64 v17, vcc, v28, v3, s[2:3]
	s_waitcnt lgkmcnt(0)
	v_cvt_f32_f16_e32 v3, v43
	v_cvt_f32_f16_e32 v42, v42
	v_ashrrev_i32_e32 v15, 31, v10
	v_add_co_u32_e64 v14, s[0:1], v27, v10
	v_addc_co_u32_e64 v15, vcc, v28, v15, s[0:1]
	v_div_scale_f32 v43, s[0:1], v0, v0, v40
	v_div_scale_f32 v45, s[0:1], v1, v1, v41
	v_rcp_f32_e32 v50, v43
	v_div_scale_f32 v47, s[2:3], v6, v6, v42
	v_div_scale_f32 v49, s[4:5], v7, v7, v3
	v_rcp_f32_e32 v51, v45
	v_rcp_f32_e32 v52, v47
	;; [unrolled: 1-line block ×3, first 2 shown]
	v_fma_f32 v54, -v43, v50, 1.0
	v_div_scale_f32 v44, vcc, v40, v0, v40
	v_fma_f32 v55, -v45, v51, 1.0
	v_fmac_f32_e32 v50, v54, v50
	v_div_scale_f32 v46, s[0:1], v41, v1, v41
	v_fma_f32 v56, -v47, v52, 1.0
	v_fma_f32 v57, -v49, v53, 1.0
	v_fmac_f32_e32 v51, v55, v51
	v_mul_f32_e32 v54, v44, v50
	v_div_scale_f32 v48, s[2:3], v42, v6, v42
	v_fmac_f32_e32 v52, v56, v52
	v_fmac_f32_e32 v53, v57, v53
	v_mul_f32_e32 v55, v46, v51
	v_fma_f32 v57, -v43, v54, v44
	v_mul_f32_e32 v56, v48, v52
	v_fmac_f32_e32 v54, v57, v50
	v_fma_f32 v57, -v45, v55, v46
	v_fmac_f32_e32 v55, v57, v51
	v_fma_f32 v57, -v47, v56, v48
	v_fmac_f32_e32 v56, v57, v52
	v_div_scale_f32 v57, s[4:5], v3, v7, v3
	v_mul_f32_e32 v58, v57, v53
	v_fma_f32 v43, -v43, v54, v44
	v_fma_f32 v59, -v49, v58, v57
	;; [unrolled: 1-line block ×3, first 2 shown]
	v_div_fmas_f32 v43, v43, v50, v54
	s_mov_b64 vcc, s[0:1]
	v_fmac_f32_e32 v58, v59, v53
	v_fma_f32 v45, -v47, v56, v48
	v_div_fixup_f32 v40, v43, v0, v40
	v_div_fmas_f32 v43, v44, v51, v55
	s_mov_b64 vcc, s[2:3]
	v_fma_f32 v46, -v49, v58, v57
	v_div_fixup_f32 v41, v43, v1, v41
	v_div_fmas_f32 v43, v45, v52, v56
	v_max_f32_e32 v40, v40, v33
	s_mov_b64 vcc, s[4:5]
	v_div_fixup_f32 v42, v43, v6, v42
	v_div_fmas_f32 v43, v46, v53, v58
	v_max_f32_e32 v41, v41, v32
	v_min_f32_e32 v44, v40, v34
	v_div_fixup_f32 v3, v43, v7, v3
	v_max_f32_e32 v42, v42, v31
	v_min_f32_e32 v43, v41, v35
	v_and_b32_e32 v40, 0x7fffffff, v44
	v_bfe_u32 v45, v44, 20, 1
	v_lshrrev_b32_e32 v46, 24, v44
	v_max_f32_e32 v3, v3, v30
	v_min_f32_e32 v47, v42, v36
	v_and_b32_e32 v41, 0x7fffffff, v43
	v_add_u32_e32 v48, 0xc3800000, v40
	v_bfe_u32 v49, v43, 20, 1
	v_add3_u32 v44, v44, v45, s24
	v_min_f32_e32 v3, v3, v37
	v_and_b32_e32 v42, 0x7fffffff, v47
	v_add_u32_e32 v51, 0xc3800000, v41
	v_bfe_u32 v52, v47, 20, 1
	v_add3_u32 v49, v43, v49, s24
	v_lshrrev_b32_e32 v53, 20, v44
	v_pk_add_f32 v[44:45], v[40:41], s[20:21] op_sel_hi:[1,0]
	v_cmp_gt_u32_e32 vcc, s23, v48
	v_lshrrev_b32_e32 v50, 24, v43
	v_lshrrev_b32_e32 v54, 24, v47
	v_and_b32_e32 v43, 0x7fffffff, v3
	v_cndmask_b32_e32 v44, v44, v53, vcc
	v_cmp_gt_u32_e32 vcc, s22, v40
	v_add_u32_e32 v48, 0xc3800000, v42
	v_bfe_u32 v40, v3, 20, 1
	v_add3_u32 v47, v47, v52, s24
	v_lshrrev_b32_e32 v49, 20, v49
	v_cmp_gt_u32_e64 s[0:1], s23, v51
	v_lshrrev_b32_e32 v52, 24, v3
	v_cndmask_b32_e64 v45, v45, v49, s[0:1]
	v_cmp_gt_u32_e64 s[0:1], s22, v41
	v_add_u32_e32 v49, 0xc3800000, v43
	v_add3_u32 v3, v3, v40, s24
	v_lshrrev_b32_e32 v47, 20, v47
	v_pk_add_f32 v[40:41], v[42:43], s[20:21] op_sel_hi:[1,0]
	v_cndmask_b32_e32 v44, v38, v44, vcc
	v_cmp_gt_u32_e32 vcc, s23, v48
	v_cndmask_b32_e32 v40, v40, v47, vcc
	v_cmp_gt_u32_e32 vcc, s22, v42
	v_lshrrev_b32_e32 v3, 20, v3
	v_cndmask_b32_e64 v42, v38, v45, s[0:1]
	v_cmp_gt_u32_e64 s[0:1], s23, v49
	v_cndmask_b32_e64 v3, v41, v3, s[0:1]
	v_cndmask_b32_e32 v40, v38, v40, vcc
	v_cmp_gt_u32_e32 vcc, s22, v43
	v_cndmask_b32_e32 v3, v38, v3, vcc
	v_and_or_b32 v44, v46, s25, v44
	v_and_or_b32 v41, v50, s25, v42
	;; [unrolled: 1-line block ×3, first 2 shown]
	v_add_u32_e32 v39, -4, v39
	global_store_byte v[18:19], v44, off
	v_and_or_b32 v18, v54, s25, v40
	v_lshlrev_b16_e32 v19, 8, v41
	v_lshlrev_b16_e32 v3, 8, v3
	v_cmp_eq_u32_e64 s[6:7], 0, v39
	v_lshrrev_b32_e32 v19, 8, v19
	v_or_b32_sdwa v3, v18, v3 dst_sel:DWORD dst_unused:UNUSED_PAD src0_sel:BYTE_0 src1_sel:DWORD
	v_add_u32_e32 v11, 64, v11
	v_add_u32_e32 v10, 64, v10
	;; [unrolled: 1-line block ×5, first 2 shown]
	s_or_b64 s[18:19], s[6:7], s[18:19]
	global_store_byte v[4:5], v19, off
	global_store_byte v[14:15], v3, off
	v_lshrrev_b32_e32 v3, 8, v3
	global_store_byte v[16:17], v3, off
	s_andn2_b64 exec, exec, s[18:19]
	s_cbranch_execnz .LBB19_85
; %bb.86:
	s_or_b64 exec, exec, s[18:19]
	v_cmp_ne_u32_e32 vcc, v25, v26
	v_lshl_add_u32 v2, v26, 4, v2
	s_and_b64 s[0:1], vcc, exec
                                        ; implicit-def: $vgpr9
	s_andn2_saveexec_b64 s[2:3], s[16:17]
	s_cbranch_execz .LBB19_83
.LBB19_87:
	v_lshlrev_b32_e32 v24, 1, v9
	s_or_b64 s[0:1], s[0:1], exec
	s_or_b64 exec, exec, s[2:3]
	s_and_b64 exec, exec, s[0:1]
	s_cbranch_execz .LBB19_96
.LBB19_88:
	v_add_co_u32_e32 v3, vcc, v21, v12
	v_addc_co_u32_e32 v4, vcc, v22, v13, vcc
	v_ashrrev_i32_e32 v5, 31, v2
	v_add_co_u32_e32 v3, vcc, v3, v2
	v_addc_co_u32_e32 v5, vcc, v4, v5, vcc
	v_lshl_add_u32 v1, v2, 1, v24
	v_mov_b32_e32 v6, s9
	v_add_co_u32_e32 v4, vcc, s8, v3
	v_add3_u32 v1, v1, v23, 0
	v_addc_co_u32_e32 v5, vcc, v6, v5, vcc
	s_mov_b64 s[0:1], 0
	v_max_f32_e64 v3, s10, s10
	v_max_f32_e64 v6, s11, s11
	s_mov_b32 s6, 0x43f00000
	s_mov_b32 s7, 0x3c7fffff
	;; [unrolled: 1-line block ×4, first 2 shown]
	s_movk_i32 s18, 0x80
	s_branch .LBB19_91
.LBB19_89:                              ;   in Loop: Header=BB19_91 Depth=1
	s_or_b64 exec, exec, s[4:5]
.LBB19_90:                              ;   in Loop: Header=BB19_91 Depth=1
	s_or_b64 exec, exec, s[2:3]
	v_lshrrev_b32_e32 v7, 24, v7
	v_add_u32_e32 v2, 16, v2
	v_and_or_b32 v7, v7, s18, v8
	v_cmp_ge_i32_e32 vcc, v2, v20
	global_store_byte v[4:5], v7, off
	s_or_b64 s[0:1], vcc, s[0:1]
	v_add_co_u32_e32 v4, vcc, 16, v4
	v_add_u32_e32 v1, 32, v1
	v_addc_co_u32_e32 v5, vcc, 0, v5, vcc
	s_andn2_b64 exec, exec, s[0:1]
	s_cbranch_execz .LBB19_96
.LBB19_91:                              ; =>This Inner Loop Header: Depth=1
	ds_read_u16 v7, v1
	s_waitcnt lgkmcnt(0)
	v_cvt_f32_f16_e32 v7, v7
	v_div_scale_f32 v8, s[2:3], v0, v0, v7
	v_rcp_f32_e32 v9, v8
	v_div_scale_f32 v10, vcc, v7, v0, v7
	v_fma_f32 v11, -v8, v9, 1.0
	v_fmac_f32_e32 v9, v11, v9
	v_mul_f32_e32 v11, v10, v9
	v_fma_f32 v12, -v8, v11, v10
	v_fmac_f32_e32 v11, v12, v9
	v_fma_f32 v8, -v8, v11, v10
	v_div_fmas_f32 v8, v8, v9, v11
	v_div_fixup_f32 v7, v8, v0, v7
	v_max_f32_e32 v7, v7, v3
	v_min_f32_e32 v7, v7, v6
	v_and_b32_e32 v9, 0x7fffffff, v7
	v_cmp_gt_u32_e32 vcc, s6, v9
	v_mov_b32_e32 v8, 0x7f
	s_and_saveexec_b64 s[2:3], vcc
	s_cbranch_execz .LBB19_90
; %bb.92:                               ;   in Loop: Header=BB19_91 Depth=1
	v_cmp_lt_u32_e32 vcc, s7, v9
                                        ; implicit-def: $vgpr8
	s_and_saveexec_b64 s[4:5], vcc
	s_xor_b64 s[4:5], exec, s[4:5]
; %bb.93:                               ;   in Loop: Header=BB19_91 Depth=1
	v_bfe_u32 v8, v7, 20, 1
	v_add3_u32 v8, v7, v8, s16
	v_lshrrev_b32_e32 v8, 20, v8
; %bb.94:                               ;   in Loop: Header=BB19_91 Depth=1
	s_andn2_saveexec_b64 s[4:5], s[4:5]
	s_cbranch_execz .LBB19_89
; %bb.95:                               ;   in Loop: Header=BB19_91 Depth=1
	v_add_f32_e64 v8, |v7|, s17
	s_branch .LBB19_89
.LBB19_96:
	s_or_b64 exec, exec, s[14:15]
                                        ; implicit-def: $vgpr8
                                        ; implicit-def: $vgpr0
                                        ; implicit-def: $vgpr9
                                        ; implicit-def: $vgpr12_vgpr13
.LBB19_97:
	s_andn2_saveexec_b64 s[0:1], s[12:13]
	s_cbranch_execz .LBB19_149
; %bb.98:
	s_ashr_i32 s6, s21, 3
	v_cmp_gt_i32_e32 vcc, s6, v8
	s_and_saveexec_b64 s[0:1], vcc
	s_cbranch_execz .LBB19_149
; %bb.99:
	v_lshlrev_b32_e32 v1, 1, v9
	v_lshlrev_b32_e32 v2, 4, v8
	v_add3_u32 v1, v1, v2, 0
	v_lshlrev_b32_e32 v2, 3, v8
	v_add_co_u32_e32 v2, vcc, v12, v2
	v_addc_co_u32_e32 v3, vcc, 0, v13, vcc
	v_mov_b32_e32 v4, s9
	v_add_co_u32_e32 v6, vcc, s8, v2
	v_addc_co_u32_e32 v7, vcc, v4, v3, vcc
	s_mov_b64 s[2:3], 0
	v_max_f32_e64 v9, s10, s10
	v_max_f32_e64 v10, s11, s11
	s_mov_b32 s7, 0x43f00000
	s_mov_b32 s8, 0x3c7fffff
	;; [unrolled: 1-line block ×4, first 2 shown]
	s_movk_i32 s11, 0x80
	s_movk_i32 s12, 0xff
	s_branch .LBB19_102
.LBB19_100:                             ;   in Loop: Header=BB19_102 Depth=1
	s_or_b64 exec, exec, s[4:5]
.LBB19_101:                             ;   in Loop: Header=BB19_102 Depth=1
	s_or_b64 exec, exec, s[0:1]
	v_and_b32_sdwa v21, v21, s11 dst_sel:DWORD dst_unused:UNUSED_PAD src0_sel:BYTE_3 src1_sel:DWORD
	v_lshrrev_b32_e32 v5, 24, v5
	v_and_b32_sdwa v4, v4, s11 dst_sel:DWORD dst_unused:UNUSED_PAD src0_sel:BYTE_3 src1_sel:DWORD
	v_and_or_b32 v5, v5, s11, v20
	v_and_or_b32 v20, v22, s12, v21
	v_and_b32_sdwa v19, v19, s11 dst_sel:DWORD dst_unused:UNUSED_PAD src0_sel:BYTE_3 src1_sel:DWORD
	v_lshlrev_b32_e32 v5, 24, v5
	v_lshlrev_b32_e32 v20, 16, v20
	v_and_or_b32 v4, v17, s12, v4
	v_and_b32_sdwa v16, v16, s11 dst_sel:DWORD dst_unused:UNUSED_PAD src0_sel:BYTE_3 src1_sel:DWORD
	v_or_b32_e32 v5, v5, v20
	v_lshlrev_b32_e32 v4, 8, v4
	v_and_or_b32 v17, v18, s12, v19
	v_and_b32_sdwa v2, v2, s11 dst_sel:DWORD dst_unused:UNUSED_PAD src0_sel:BYTE_3 src1_sel:DWORD
	v_or3_b32 v5, v5, v4, v17
	v_lshlrev_b32_e32 v4, 24, v14
	v_and_or_b32 v14, v15, s12, v16
	v_and_b32_sdwa v13, v13, s11 dst_sel:DWORD dst_unused:UNUSED_PAD src0_sel:BYTE_3 src1_sel:DWORD
	v_and_b32_e32 v3, 0x80000000, v3
	v_lshlrev_b32_e32 v14, 16, v14
	v_and_or_b32 v2, v11, s12, v2
	v_lshlrev_b32_e32 v2, 8, v2
	v_or3_b32 v3, v4, v3, v14
	v_and_or_b32 v4, v12, s12, v13
	v_or3_b32 v4, v3, v2, v4
	v_add_u32_e32 v8, 16, v8
	global_store_dwordx2 v[6:7], v[4:5], off
	v_add_co_u32_e32 v6, vcc, 0x80, v6
	v_cmp_le_i32_e64 s[0:1], s6, v8
	v_add_u32_e32 v1, 0x100, v1
	s_or_b64 s[2:3], s[0:1], s[2:3]
	v_addc_co_u32_e32 v7, vcc, 0, v7, vcc
	s_andn2_b64 exec, exec, s[2:3]
	s_cbranch_execz .LBB19_149
.LBB19_102:                             ; =>This Inner Loop Header: Depth=1
	ds_read_b128 v[2:5], v1
	v_mov_b32_e32 v11, 0x7f
	s_waitcnt lgkmcnt(0)
	v_cvt_f32_f16_e32 v12, v2
	v_div_scale_f32 v13, s[0:1], v0, v0, v12
	v_rcp_f32_e32 v14, v13
	v_div_scale_f32 v15, vcc, v12, v0, v12
	v_fma_f32 v16, -v13, v14, 1.0
	v_fmac_f32_e32 v14, v16, v14
	v_mul_f32_e32 v16, v15, v14
	v_fma_f32 v17, -v13, v16, v15
	v_fmac_f32_e32 v16, v17, v14
	v_fma_f32 v13, -v13, v16, v15
	v_div_fmas_f32 v13, v13, v14, v16
	v_div_fixup_f32 v12, v13, v0, v12
	v_max_f32_e32 v12, v12, v9
	v_min_f32_e32 v13, v12, v10
	v_and_b32_e32 v14, 0x7fffffff, v13
	v_cmp_gt_u32_e32 vcc, s7, v14
	v_mov_b32_e32 v12, 0x7f
	s_and_saveexec_b64 s[0:1], vcc
	s_cbranch_execz .LBB19_108
; %bb.103:                              ;   in Loop: Header=BB19_102 Depth=1
	v_cmp_lt_u32_e32 vcc, s8, v14
                                        ; implicit-def: $vgpr12
	s_and_saveexec_b64 s[4:5], vcc
	s_xor_b64 s[4:5], exec, s[4:5]
; %bb.104:                              ;   in Loop: Header=BB19_102 Depth=1
	v_bfe_u32 v12, v13, 20, 1
	v_add3_u32 v12, v13, v12, s9
	v_lshrrev_b32_e32 v12, 20, v12
; %bb.105:                              ;   in Loop: Header=BB19_102 Depth=1
	s_andn2_saveexec_b64 s[4:5], s[4:5]
; %bb.106:                              ;   in Loop: Header=BB19_102 Depth=1
	v_add_f32_e64 v12, |v13|, s10
; %bb.107:                              ;   in Loop: Header=BB19_102 Depth=1
	s_or_b64 exec, exec, s[4:5]
.LBB19_108:                             ;   in Loop: Header=BB19_102 Depth=1
	s_or_b64 exec, exec, s[0:1]
	v_cvt_f32_f16_sdwa v2, v2 dst_sel:DWORD dst_unused:UNUSED_PAD src0_sel:WORD_1
	v_div_scale_f32 v14, s[0:1], v0, v0, v2
	v_rcp_f32_e32 v15, v14
	v_div_scale_f32 v16, vcc, v2, v0, v2
	v_fma_f32 v17, -v14, v15, 1.0
	v_fmac_f32_e32 v15, v17, v15
	v_mul_f32_e32 v17, v16, v15
	v_fma_f32 v18, -v14, v17, v16
	v_fmac_f32_e32 v17, v18, v15
	v_fma_f32 v14, -v14, v17, v16
	v_div_fmas_f32 v14, v14, v15, v17
	v_div_fixup_f32 v2, v14, v0, v2
	v_max_f32_e32 v2, v2, v9
	v_min_f32_e32 v2, v2, v10
	v_and_b32_e32 v14, 0x7fffffff, v2
	v_cmp_gt_u32_e32 vcc, s7, v14
	s_and_saveexec_b64 s[0:1], vcc
	s_cbranch_execz .LBB19_114
; %bb.109:                              ;   in Loop: Header=BB19_102 Depth=1
	v_cmp_lt_u32_e32 vcc, s8, v14
                                        ; implicit-def: $vgpr11
	s_and_saveexec_b64 s[4:5], vcc
	s_xor_b64 s[4:5], exec, s[4:5]
; %bb.110:                              ;   in Loop: Header=BB19_102 Depth=1
	v_bfe_u32 v11, v2, 20, 1
	v_add3_u32 v11, v2, v11, s9
	v_lshrrev_b32_e32 v11, 20, v11
; %bb.111:                              ;   in Loop: Header=BB19_102 Depth=1
	s_andn2_saveexec_b64 s[4:5], s[4:5]
; %bb.112:                              ;   in Loop: Header=BB19_102 Depth=1
	v_add_f32_e64 v11, |v2|, s10
; %bb.113:                              ;   in Loop: Header=BB19_102 Depth=1
	s_or_b64 exec, exec, s[4:5]
.LBB19_114:                             ;   in Loop: Header=BB19_102 Depth=1
	s_or_b64 exec, exec, s[0:1]
	v_cvt_f32_f16_e32 v15, v3
	v_mov_b32_e32 v14, 0x7f
	v_div_scale_f32 v16, s[0:1], v0, v0, v15
	v_rcp_f32_e32 v17, v16
	v_div_scale_f32 v18, vcc, v15, v0, v15
	v_fma_f32 v19, -v16, v17, 1.0
	v_fmac_f32_e32 v17, v19, v17
	v_mul_f32_e32 v19, v18, v17
	v_fma_f32 v20, -v16, v19, v18
	v_fmac_f32_e32 v19, v20, v17
	v_fma_f32 v16, -v16, v19, v18
	v_div_fmas_f32 v16, v16, v17, v19
	v_div_fixup_f32 v15, v16, v0, v15
	v_max_f32_e32 v15, v15, v9
	v_min_f32_e32 v16, v15, v10
	v_and_b32_e32 v17, 0x7fffffff, v16
	v_cmp_gt_u32_e32 vcc, s7, v17
	v_mov_b32_e32 v15, 0x7f
	s_and_saveexec_b64 s[0:1], vcc
	s_cbranch_execz .LBB19_120
; %bb.115:                              ;   in Loop: Header=BB19_102 Depth=1
	v_cmp_lt_u32_e32 vcc, s8, v17
                                        ; implicit-def: $vgpr15
	s_and_saveexec_b64 s[4:5], vcc
	s_xor_b64 s[4:5], exec, s[4:5]
; %bb.116:                              ;   in Loop: Header=BB19_102 Depth=1
	v_bfe_u32 v15, v16, 20, 1
	v_add3_u32 v15, v16, v15, s9
	v_lshrrev_b32_e32 v15, 20, v15
; %bb.117:                              ;   in Loop: Header=BB19_102 Depth=1
	s_andn2_saveexec_b64 s[4:5], s[4:5]
; %bb.118:                              ;   in Loop: Header=BB19_102 Depth=1
	v_add_f32_e64 v15, |v16|, s10
; %bb.119:                              ;   in Loop: Header=BB19_102 Depth=1
	s_or_b64 exec, exec, s[4:5]
.LBB19_120:                             ;   in Loop: Header=BB19_102 Depth=1
	s_or_b64 exec, exec, s[0:1]
	v_cvt_f32_f16_sdwa v3, v3 dst_sel:DWORD dst_unused:UNUSED_PAD src0_sel:WORD_1
	v_div_scale_f32 v17, s[0:1], v0, v0, v3
	v_rcp_f32_e32 v18, v17
	v_div_scale_f32 v19, vcc, v3, v0, v3
	v_fma_f32 v20, -v17, v18, 1.0
	v_fmac_f32_e32 v18, v20, v18
	v_mul_f32_e32 v20, v19, v18
	v_fma_f32 v21, -v17, v20, v19
	v_fmac_f32_e32 v20, v21, v18
	v_fma_f32 v17, -v17, v20, v19
	v_div_fmas_f32 v17, v17, v18, v20
	v_div_fixup_f32 v3, v17, v0, v3
	v_max_f32_e32 v3, v3, v9
	v_min_f32_e32 v3, v3, v10
	v_and_b32_e32 v17, 0x7fffffff, v3
	v_cmp_gt_u32_e32 vcc, s7, v17
	s_and_saveexec_b64 s[0:1], vcc
	s_cbranch_execz .LBB19_126
; %bb.121:                              ;   in Loop: Header=BB19_102 Depth=1
	v_cmp_lt_u32_e32 vcc, s8, v17
                                        ; implicit-def: $vgpr14
	s_and_saveexec_b64 s[4:5], vcc
	s_xor_b64 s[4:5], exec, s[4:5]
; %bb.122:                              ;   in Loop: Header=BB19_102 Depth=1
	v_bfe_u32 v14, v3, 20, 1
	v_add3_u32 v14, v3, v14, s9
	v_lshrrev_b32_e32 v14, 20, v14
; %bb.123:                              ;   in Loop: Header=BB19_102 Depth=1
	s_andn2_saveexec_b64 s[4:5], s[4:5]
; %bb.124:                              ;   in Loop: Header=BB19_102 Depth=1
	v_add_f32_e64 v14, |v3|, s10
; %bb.125:                              ;   in Loop: Header=BB19_102 Depth=1
	s_or_b64 exec, exec, s[4:5]
.LBB19_126:                             ;   in Loop: Header=BB19_102 Depth=1
	s_or_b64 exec, exec, s[0:1]
	v_cvt_f32_f16_e32 v18, v4
	v_mov_b32_e32 v17, 0x7f
	v_div_scale_f32 v19, s[0:1], v0, v0, v18
	v_rcp_f32_e32 v20, v19
	v_div_scale_f32 v21, vcc, v18, v0, v18
	v_fma_f32 v22, -v19, v20, 1.0
	v_fmac_f32_e32 v20, v22, v20
	v_mul_f32_e32 v22, v21, v20
	v_fma_f32 v23, -v19, v22, v21
	v_fmac_f32_e32 v22, v23, v20
	v_fma_f32 v19, -v19, v22, v21
	v_div_fmas_f32 v19, v19, v20, v22
	v_div_fixup_f32 v18, v19, v0, v18
	v_max_f32_e32 v18, v18, v9
	v_min_f32_e32 v19, v18, v10
	v_and_b32_e32 v20, 0x7fffffff, v19
	v_cmp_gt_u32_e32 vcc, s7, v20
	v_mov_b32_e32 v18, 0x7f
	s_and_saveexec_b64 s[0:1], vcc
	s_cbranch_execz .LBB19_132
; %bb.127:                              ;   in Loop: Header=BB19_102 Depth=1
	v_cmp_lt_u32_e32 vcc, s8, v20
                                        ; implicit-def: $vgpr18
	s_and_saveexec_b64 s[4:5], vcc
	s_xor_b64 s[4:5], exec, s[4:5]
; %bb.128:                              ;   in Loop: Header=BB19_102 Depth=1
	v_bfe_u32 v18, v19, 20, 1
	v_add3_u32 v18, v19, v18, s9
	v_lshrrev_b32_e32 v18, 20, v18
; %bb.129:                              ;   in Loop: Header=BB19_102 Depth=1
	s_andn2_saveexec_b64 s[4:5], s[4:5]
; %bb.130:                              ;   in Loop: Header=BB19_102 Depth=1
	v_add_f32_e64 v18, |v19|, s10
; %bb.131:                              ;   in Loop: Header=BB19_102 Depth=1
	s_or_b64 exec, exec, s[4:5]
.LBB19_132:                             ;   in Loop: Header=BB19_102 Depth=1
	s_or_b64 exec, exec, s[0:1]
	v_cvt_f32_f16_sdwa v4, v4 dst_sel:DWORD dst_unused:UNUSED_PAD src0_sel:WORD_1
	v_div_scale_f32 v20, s[0:1], v0, v0, v4
	v_rcp_f32_e32 v21, v20
	v_div_scale_f32 v22, vcc, v4, v0, v4
	v_fma_f32 v23, -v20, v21, 1.0
	v_fmac_f32_e32 v21, v23, v21
	v_mul_f32_e32 v23, v22, v21
	v_fma_f32 v24, -v20, v23, v22
	v_fmac_f32_e32 v23, v24, v21
	v_fma_f32 v20, -v20, v23, v22
	v_div_fmas_f32 v20, v20, v21, v23
	v_div_fixup_f32 v4, v20, v0, v4
	v_max_f32_e32 v4, v4, v9
	v_min_f32_e32 v4, v4, v10
	v_and_b32_e32 v20, 0x7fffffff, v4
	v_cmp_gt_u32_e32 vcc, s7, v20
	s_and_saveexec_b64 s[0:1], vcc
	s_cbranch_execz .LBB19_138
; %bb.133:                              ;   in Loop: Header=BB19_102 Depth=1
	v_cmp_lt_u32_e32 vcc, s8, v20
                                        ; implicit-def: $vgpr17
	s_and_saveexec_b64 s[4:5], vcc
	s_xor_b64 s[4:5], exec, s[4:5]
; %bb.134:                              ;   in Loop: Header=BB19_102 Depth=1
	v_bfe_u32 v17, v4, 20, 1
	v_add3_u32 v17, v4, v17, s9
	v_lshrrev_b32_e32 v17, 20, v17
; %bb.135:                              ;   in Loop: Header=BB19_102 Depth=1
	s_andn2_saveexec_b64 s[4:5], s[4:5]
; %bb.136:                              ;   in Loop: Header=BB19_102 Depth=1
	v_add_f32_e64 v17, |v4|, s10
; %bb.137:                              ;   in Loop: Header=BB19_102 Depth=1
	s_or_b64 exec, exec, s[4:5]
.LBB19_138:                             ;   in Loop: Header=BB19_102 Depth=1
	s_or_b64 exec, exec, s[0:1]
	v_cvt_f32_f16_e32 v21, v5
	v_mov_b32_e32 v20, 0x7f
	v_div_scale_f32 v22, s[0:1], v0, v0, v21
	v_rcp_f32_e32 v23, v22
	v_div_scale_f32 v24, vcc, v21, v0, v21
	v_fma_f32 v25, -v22, v23, 1.0
	v_fmac_f32_e32 v23, v25, v23
	v_mul_f32_e32 v25, v24, v23
	v_fma_f32 v26, -v22, v25, v24
	v_fmac_f32_e32 v25, v26, v23
	v_fma_f32 v22, -v22, v25, v24
	v_div_fmas_f32 v22, v22, v23, v25
	v_div_fixup_f32 v21, v22, v0, v21
	v_max_f32_e32 v21, v21, v9
	v_min_f32_e32 v21, v21, v10
	v_and_b32_e32 v23, 0x7fffffff, v21
	v_cmp_gt_u32_e32 vcc, s7, v23
	v_mov_b32_e32 v22, 0x7f
	s_and_saveexec_b64 s[0:1], vcc
	s_cbranch_execz .LBB19_144
; %bb.139:                              ;   in Loop: Header=BB19_102 Depth=1
	v_cmp_lt_u32_e32 vcc, s8, v23
                                        ; implicit-def: $vgpr22
	s_and_saveexec_b64 s[4:5], vcc
	s_xor_b64 s[4:5], exec, s[4:5]
; %bb.140:                              ;   in Loop: Header=BB19_102 Depth=1
	v_bfe_u32 v22, v21, 20, 1
	v_add3_u32 v22, v21, v22, s9
	v_lshrrev_b32_e32 v22, 20, v22
; %bb.141:                              ;   in Loop: Header=BB19_102 Depth=1
	s_andn2_saveexec_b64 s[4:5], s[4:5]
; %bb.142:                              ;   in Loop: Header=BB19_102 Depth=1
	v_add_f32_e64 v22, |v21|, s10
; %bb.143:                              ;   in Loop: Header=BB19_102 Depth=1
	s_or_b64 exec, exec, s[4:5]
.LBB19_144:                             ;   in Loop: Header=BB19_102 Depth=1
	s_or_b64 exec, exec, s[0:1]
	v_cvt_f32_f16_sdwa v5, v5 dst_sel:DWORD dst_unused:UNUSED_PAD src0_sel:WORD_1
	v_div_scale_f32 v23, s[0:1], v0, v0, v5
	v_rcp_f32_e32 v24, v23
	v_div_scale_f32 v25, vcc, v5, v0, v5
	v_fma_f32 v26, -v23, v24, 1.0
	v_fmac_f32_e32 v24, v26, v24
	v_mul_f32_e32 v26, v25, v24
	v_fma_f32 v27, -v23, v26, v25
	v_fmac_f32_e32 v26, v27, v24
	v_fma_f32 v23, -v23, v26, v25
	v_div_fmas_f32 v23, v23, v24, v26
	v_div_fixup_f32 v5, v23, v0, v5
	v_max_f32_e32 v5, v5, v9
	v_min_f32_e32 v5, v5, v10
	v_and_b32_e32 v23, 0x7fffffff, v5
	v_cmp_gt_u32_e32 vcc, s7, v23
	s_and_saveexec_b64 s[0:1], vcc
	s_cbranch_execz .LBB19_101
; %bb.145:                              ;   in Loop: Header=BB19_102 Depth=1
	v_cmp_lt_u32_e32 vcc, s8, v23
                                        ; implicit-def: $vgpr20
	s_and_saveexec_b64 s[4:5], vcc
	s_xor_b64 s[4:5], exec, s[4:5]
; %bb.146:                              ;   in Loop: Header=BB19_102 Depth=1
	v_bfe_u32 v20, v5, 20, 1
	v_add3_u32 v20, v5, v20, s9
	v_lshrrev_b32_e32 v20, 20, v20
; %bb.147:                              ;   in Loop: Header=BB19_102 Depth=1
	s_andn2_saveexec_b64 s[4:5], s[4:5]
	s_cbranch_execz .LBB19_100
; %bb.148:                              ;   in Loop: Header=BB19_102 Depth=1
	v_add_f32_e64 v20, |v5|, s10
	s_branch .LBB19_100
.LBB19_149:
	s_endpgm
	.section	.rodata,"a",@progbits
	.p2align	6, 0x0
	.amdhsa_kernel _Z33per_token_group_quant_8bit_kernelIN3c104HalfENS0_13Float8_e4m3fnELb0ELb0EfEvPKT_PvPT3_iiifffii
		.amdhsa_group_segment_fixed_size 0
		.amdhsa_private_segment_fixed_size 0
		.amdhsa_kernarg_size 56
		.amdhsa_user_sgpr_count 6
		.amdhsa_user_sgpr_private_segment_buffer 1
		.amdhsa_user_sgpr_dispatch_ptr 0
		.amdhsa_user_sgpr_queue_ptr 0
		.amdhsa_user_sgpr_kernarg_segment_ptr 1
		.amdhsa_user_sgpr_dispatch_id 0
		.amdhsa_user_sgpr_flat_scratch_init 0
		.amdhsa_user_sgpr_kernarg_preload_length 0
		.amdhsa_user_sgpr_kernarg_preload_offset 0
		.amdhsa_user_sgpr_private_segment_size 0
		.amdhsa_uses_dynamic_stack 0
		.amdhsa_system_sgpr_private_segment_wavefront_offset 0
		.amdhsa_system_sgpr_workgroup_id_x 1
		.amdhsa_system_sgpr_workgroup_id_y 0
		.amdhsa_system_sgpr_workgroup_id_z 0
		.amdhsa_system_sgpr_workgroup_info 0
		.amdhsa_system_vgpr_workitem_id 0
		.amdhsa_next_free_vgpr 60
		.amdhsa_next_free_sgpr 26
		.amdhsa_accum_offset 60
		.amdhsa_reserve_vcc 1
		.amdhsa_reserve_flat_scratch 0
		.amdhsa_float_round_mode_32 0
		.amdhsa_float_round_mode_16_64 0
		.amdhsa_float_denorm_mode_32 3
		.amdhsa_float_denorm_mode_16_64 3
		.amdhsa_dx10_clamp 1
		.amdhsa_ieee_mode 1
		.amdhsa_fp16_overflow 0
		.amdhsa_tg_split 0
		.amdhsa_exception_fp_ieee_invalid_op 0
		.amdhsa_exception_fp_denorm_src 0
		.amdhsa_exception_fp_ieee_div_zero 0
		.amdhsa_exception_fp_ieee_overflow 0
		.amdhsa_exception_fp_ieee_underflow 0
		.amdhsa_exception_fp_ieee_inexact 0
		.amdhsa_exception_int_div_zero 0
	.end_amdhsa_kernel
	.section	.text._Z33per_token_group_quant_8bit_kernelIN3c104HalfENS0_13Float8_e4m3fnELb0ELb0EfEvPKT_PvPT3_iiifffii,"axG",@progbits,_Z33per_token_group_quant_8bit_kernelIN3c104HalfENS0_13Float8_e4m3fnELb0ELb0EfEvPKT_PvPT3_iiifffii,comdat
.Lfunc_end19:
	.size	_Z33per_token_group_quant_8bit_kernelIN3c104HalfENS0_13Float8_e4m3fnELb0ELb0EfEvPKT_PvPT3_iiifffii, .Lfunc_end19-_Z33per_token_group_quant_8bit_kernelIN3c104HalfENS0_13Float8_e4m3fnELb0ELb0EfEvPKT_PvPT3_iiifffii
                                        ; -- End function
	.section	.AMDGPU.csdata,"",@progbits
; Kernel info:
; codeLenInByte = 6636
; NumSgprs: 30
; NumVgprs: 60
; NumAgprs: 0
; TotalNumVgprs: 60
; ScratchSize: 0
; MemoryBound: 0
; FloatMode: 240
; IeeeMode: 1
; LDSByteSize: 0 bytes/workgroup (compile time only)
; SGPRBlocks: 3
; VGPRBlocks: 7
; NumSGPRsForWavesPerEU: 30
; NumVGPRsForWavesPerEU: 60
; AccumOffset: 60
; Occupancy: 8
; WaveLimiterHint : 0
; COMPUTE_PGM_RSRC2:SCRATCH_EN: 0
; COMPUTE_PGM_RSRC2:USER_SGPR: 6
; COMPUTE_PGM_RSRC2:TRAP_HANDLER: 0
; COMPUTE_PGM_RSRC2:TGID_X_EN: 1
; COMPUTE_PGM_RSRC2:TGID_Y_EN: 0
; COMPUTE_PGM_RSRC2:TGID_Z_EN: 0
; COMPUTE_PGM_RSRC2:TIDIG_COMP_CNT: 0
; COMPUTE_PGM_RSRC3_GFX90A:ACCUM_OFFSET: 14
; COMPUTE_PGM_RSRC3_GFX90A:TG_SPLIT: 0
	.section	.text._Z33per_token_group_quant_8bit_kernelIN3c104HalfENS0_15Float8_e4m3fnuzELb1ELb1EfEvPKT_PvPT3_iiifffii,"axG",@progbits,_Z33per_token_group_quant_8bit_kernelIN3c104HalfENS0_15Float8_e4m3fnuzELb1ELb1EfEvPKT_PvPT3_iiifffii,comdat
	.protected	_Z33per_token_group_quant_8bit_kernelIN3c104HalfENS0_15Float8_e4m3fnuzELb1ELb1EfEvPKT_PvPT3_iiifffii ; -- Begin function _Z33per_token_group_quant_8bit_kernelIN3c104HalfENS0_15Float8_e4m3fnuzELb1ELb1EfEvPKT_PvPT3_iiifffii
	.globl	_Z33per_token_group_quant_8bit_kernelIN3c104HalfENS0_15Float8_e4m3fnuzELb1ELb1EfEvPKT_PvPT3_iiifffii
	.p2align	8
	.type	_Z33per_token_group_quant_8bit_kernelIN3c104HalfENS0_15Float8_e4m3fnuzELb1ELb1EfEvPKT_PvPT3_iiifffii,@function
_Z33per_token_group_quant_8bit_kernelIN3c104HalfENS0_15Float8_e4m3fnuzELb1ELb1EfEvPKT_PvPT3_iiifffii: ; @_Z33per_token_group_quant_8bit_kernelIN3c104HalfENS0_15Float8_e4m3fnuzELb1ELb1EfEvPKT_PvPT3_iiifffii
; %bb.0:
	s_load_dword s31, s[4:5], 0x18
	s_load_dwordx2 s[0:1], s[4:5], 0x0
	s_load_dwordx4 s[16:19], s[4:5], 0x20
	s_load_dwordx2 s[2:3], s[4:5], 0x30
	v_lshrrev_b32_e32 v2, 4, v0
	s_waitcnt lgkmcnt(0)
	s_ashr_i32 s8, s31, 31
	v_and_b32_e32 v24, 15, v0
	s_mul_i32 s6, s6, s16
	v_add_co_u32_e32 v7, vcc, s6, v2
	v_addc_co_u32_e64 v8, s[6:7], 0, 0, vcc
	v_mul_lo_u32 v0, v8, s31
	v_mul_lo_u32 v1, v7, s8
	v_mad_u64_u32 v[12:13], s[6:7], v7, s31, 0
	v_add3_u32 v13, v13, v1, v0
	v_lshlrev_b64 v[0:1], 1, v[12:13]
	s_and_b32 s8, s31, 7
	v_mov_b32_e32 v4, s1
	v_add_co_u32_e32 v3, vcc, s0, v0
	s_cmp_eq_u32 s8, 0
	v_addc_co_u32_e32 v4, vcc, v4, v1, vcc
	v_mov_b32_e32 v11, 0
	v_and_b32_e32 v10, 15, v3
	s_cselect_b64 s[6:7], -1, 0
	s_cmp_lg_u32 s8, 0
	v_mul_lo_u32 v25, v2, s31
	v_cmp_ne_u64_e32 vcc, 0, v[10:11]
	s_cselect_b64 s[8:9], -1, 0
	v_lshl_add_u32 v6, v25, 1, 0
	s_or_b64 s[8:9], s[8:9], vcc
                                        ; implicit-def: $vgpr9
	s_and_saveexec_b64 s[10:11], s[8:9]
	s_xor_b64 s[8:9], exec, s[10:11]
	s_cbranch_execz .LBB20_12
; %bb.1:
	v_sub_u32_e32 v2, 0, v3
	v_bfe_u32 v2, v2, 1, 3
	v_min_i32_e32 v2, s31, v2
	v_cmp_gt_i32_e32 vcc, v2, v24
	v_mov_b32_e32 v9, s17
	s_and_saveexec_b64 s[10:11], vcc
	s_cbranch_execz .LBB20_3
; %bb.2:
	v_lshlrev_b32_e32 v5, 1, v24
	v_add_co_u32_e32 v10, vcc, v3, v5
	v_addc_co_u32_e32 v11, vcc, 0, v4, vcc
	global_load_ushort v3, v[10:11], off
	v_max_f32_e64 v9, s17, s17
	v_add_u32_e32 v5, v6, v5
	s_waitcnt vmcnt(0)
	v_cvt_f32_f16_e64 v4, |v3|
	ds_write_b16 v5, v3
	v_max_f32_e32 v9, v9, v4
.LBB20_3:
	s_or_b64 exec, exec, s[10:11]
	v_sub_u32_e32 v10, s31, v2
	v_ashrrev_i32_e32 v4, 31, v10
	v_lshrrev_b32_e32 v4, 29, v4
	v_add_u32_e32 v4, v10, v4
	v_ashrrev_i32_e32 v3, 31, v2
	v_ashrrev_i32_e32 v11, 3, v4
	v_cmp_gt_i32_e32 vcc, v11, v24
	v_lshlrev_b32_e32 v14, 1, v2
	v_lshlrev_b64 v[2:3], 1, v[2:3]
	s_and_saveexec_b64 s[10:11], vcc
	s_cbranch_execz .LBB20_7
; %bb.4:
	v_lshlrev_b32_e32 v4, 4, v24
	v_lshl_add_u32 v5, v25, 1, v4
	v_add_co_u32_e32 v4, vcc, v0, v4
	v_add3_u32 v15, v5, v14, 0
	v_addc_co_u32_e32 v5, vcc, 0, v1, vcc
	v_add_co_u32_e32 v4, vcc, v4, v2
	v_addc_co_u32_e32 v5, vcc, v5, v3, vcc
	v_mov_b32_e32 v16, s1
	v_add_co_u32_e32 v4, vcc, s0, v4
	v_addc_co_u32_e32 v5, vcc, v5, v16, vcc
	v_add_co_u32_e32 v4, vcc, 8, v4
	v_addc_co_u32_e32 v5, vcc, 0, v5, vcc
	s_mov_b64 s[12:13], 0
	v_mov_b32_e32 v16, v24
.LBB20_5:                               ; =>This Inner Loop Header: Depth=1
	global_load_dwordx4 v[18:21], v[4:5], off offset:-8
	v_add_co_u32_e32 v4, vcc, 0x100, v4
	v_add_u32_e32 v16, 16, v16
	v_addc_co_u32_e32 v5, vcc, 0, v5, vcc
	v_cmp_ge_i32_e32 vcc, v16, v11
	s_or_b64 s[12:13], vcc, s[12:13]
	s_waitcnt vmcnt(0)
	v_cvt_f32_f16_e64 v17, |v18|
	v_cvt_f32_f16_sdwa v22, |v18| dst_sel:DWORD dst_unused:UNUSED_PAD src0_sel:WORD_1
	v_cvt_f32_f16_e64 v23, |v19|
	v_cvt_f32_f16_sdwa v26, |v19| dst_sel:DWORD dst_unused:UNUSED_PAD src0_sel:WORD_1
	;; [unrolled: 2-line block ×4, first 2 shown]
	v_max3_f32 v9, v9, v17, v22
	v_max3_f32 v9, v9, v23, v26
	;; [unrolled: 1-line block ×3, first 2 shown]
	ds_write_b128 v15, v[18:21]
	v_add_u32_e32 v15, 0x100, v15
	v_max3_f32 v9, v9, v29, v30
	s_andn2_b64 exec, exec, s[12:13]
	s_cbranch_execnz .LBB20_5
; %bb.6:
	s_or_b64 exec, exec, s[12:13]
.LBB20_7:
	s_or_b64 exec, exec, s[10:11]
	v_lshl_add_u32 v4, v11, 3, v24
	v_cmp_lt_i32_e32 vcc, v4, v10
	s_and_saveexec_b64 s[10:11], vcc
	s_cbranch_execz .LBB20_11
; %bb.8:
	v_lshlrev_b32_e32 v5, 1, v25
	v_lshlrev_b32_e32 v11, 4, v11
	v_add3_u32 v5, v5, v11, v14
	v_lshlrev_b32_e32 v11, 1, v24
	v_add3_u32 v11, v5, v11, 0
	v_add_co_u32_e32 v2, vcc, v0, v2
	v_ashrrev_i32_e32 v5, 31, v4
	v_addc_co_u32_e32 v3, vcc, v1, v3, vcc
	v_lshlrev_b64 v[0:1], 1, v[4:5]
	v_add_co_u32_e32 v0, vcc, v2, v0
	v_addc_co_u32_e32 v1, vcc, v3, v1, vcc
	v_mov_b32_e32 v2, s1
	v_add_co_u32_e32 v0, vcc, s0, v0
	v_addc_co_u32_e32 v1, vcc, v2, v1, vcc
	s_mov_b64 s[12:13], 0
.LBB20_9:                               ; =>This Inner Loop Header: Depth=1
	global_load_ushort v2, v[0:1], off
	v_add_co_u32_e32 v0, vcc, 32, v0
	v_add_u32_e32 v4, 16, v4
	v_addc_co_u32_e32 v1, vcc, 0, v1, vcc
	v_max_f32_e32 v3, v9, v9
	v_cmp_ge_i32_e32 vcc, v4, v10
	s_or_b64 s[12:13], vcc, s[12:13]
	s_waitcnt vmcnt(0)
	v_cvt_f32_f16_e64 v5, |v2|
	ds_write_b16 v11, v2
	v_add_u32_e32 v11, 32, v11
	v_max_f32_e32 v9, v3, v5
	s_andn2_b64 exec, exec, s[12:13]
	s_cbranch_execnz .LBB20_9
; %bb.10:
	s_or_b64 exec, exec, s[12:13]
.LBB20_11:
	s_or_b64 exec, exec, s[10:11]
                                        ; implicit-def: $vgpr0_vgpr1
.LBB20_12:
	s_andn2_saveexec_b64 s[8:9], s[8:9]
	s_cbranch_execz .LBB20_18
; %bb.13:
	s_ashr_i32 s12, s31, 3
	v_cmp_gt_i32_e32 vcc, s12, v24
	v_mov_b32_e32 v9, s17
	s_and_saveexec_b64 s[10:11], vcc
	s_cbranch_execz .LBB20_17
; %bb.14:
	v_lshlrev_b32_e32 v3, 4, v24
	v_add_co_u32_e32 v0, vcc, v0, v3
	v_lshlrev_b32_e32 v2, 1, v25
	v_addc_co_u32_e32 v1, vcc, 0, v1, vcc
	v_add3_u32 v2, v2, v3, 0
	v_mov_b32_e32 v3, s1
	v_add_co_u32_e32 v0, vcc, s0, v0
	v_addc_co_u32_e32 v1, vcc, v1, v3, vcc
	v_add_co_u32_e32 v0, vcc, 8, v0
	v_addc_co_u32_e32 v1, vcc, 0, v1, vcc
	s_mov_b64 s[0:1], 0
	v_mov_b32_e32 v9, s17
	v_mov_b32_e32 v3, v24
.LBB20_15:                              ; =>This Inner Loop Header: Depth=1
	global_load_dwordx4 v[14:17], v[0:1], off offset:-8
	v_add_co_u32_e32 v0, vcc, 0x100, v0
	v_add_u32_e32 v3, 16, v3
	v_addc_co_u32_e32 v1, vcc, 0, v1, vcc
	v_cmp_le_i32_e32 vcc, s12, v3
	s_or_b64 s[0:1], vcc, s[0:1]
	s_waitcnt vmcnt(0)
	v_cvt_f32_f16_e64 v4, |v14|
	v_cvt_f32_f16_sdwa v5, |v14| dst_sel:DWORD dst_unused:UNUSED_PAD src0_sel:WORD_1
	v_cvt_f32_f16_e64 v10, |v15|
	v_cvt_f32_f16_sdwa v11, |v15| dst_sel:DWORD dst_unused:UNUSED_PAD src0_sel:WORD_1
	;; [unrolled: 2-line block ×4, first 2 shown]
	v_max3_f32 v4, v9, v4, v5
	v_max3_f32 v4, v4, v10, v11
	;; [unrolled: 1-line block ×3, first 2 shown]
	ds_write_b128 v2, v[14:17]
	v_add_u32_e32 v2, 0x100, v2
	v_max3_f32 v9, v4, v20, v21
	s_andn2_b64 exec, exec, s[0:1]
	s_cbranch_execnz .LBB20_15
; %bb.16:
	s_or_b64 exec, exec, s[0:1]
.LBB20_17:
	s_or_b64 exec, exec, s[10:11]
.LBB20_18:
	s_or_b64 exec, exec, s[8:9]
	v_mbcnt_lo_u32_b32 v0, -1, 0
	v_mbcnt_hi_u32_b32 v0, -1, v0
	v_and_b32_e32 v2, 0x70, v0
	v_xor_b32_e32 v1, 8, v0
	v_add_u32_e32 v2, 16, v2
	v_cmp_lt_i32_e32 vcc, v1, v2
	v_cndmask_b32_e32 v1, v0, v1, vcc
	v_lshlrev_b32_e32 v1, 2, v1
	ds_bpermute_b32 v1, v1, v9
	v_xor_b32_e32 v4, 4, v0
	v_max_f32_e32 v3, v9, v9
	v_cmp_lt_i32_e32 vcc, v4, v2
	s_load_dwordx2 s[20:21], s[4:5], 0x8
	s_waitcnt lgkmcnt(0)
	v_max_f32_e32 v1, v1, v1
	v_max_f32_e32 v1, v3, v1
	v_cndmask_b32_e32 v3, v0, v4, vcc
	v_lshlrev_b32_e32 v3, 2, v3
	ds_bpermute_b32 v3, v3, v1
	v_xor_b32_e32 v4, 2, v0
	v_cmp_lt_i32_e32 vcc, v4, v2
	s_waitcnt lgkmcnt(0)
	v_max_f32_e32 v3, v3, v3
	v_max_f32_e32 v1, v1, v3
	v_cndmask_b32_e32 v3, v0, v4, vcc
	v_lshlrev_b32_e32 v3, 2, v3
	ds_bpermute_b32 v3, v3, v1
	v_xor_b32_e32 v4, 1, v0
	v_cmp_lt_i32_e32 vcc, v4, v2
	v_cndmask_b32_e32 v0, v0, v4, vcc
	v_lshlrev_b32_e32 v0, 2, v0
	s_waitcnt lgkmcnt(0)
	v_max_f32_e32 v3, v3, v3
	v_max_f32_e32 v1, v1, v3
	ds_bpermute_b32 v0, v0, v1
	s_waitcnt lgkmcnt(0)
	v_max_f32_e32 v0, v0, v0
	v_max_f32_e32 v0, v1, v0
	v_div_scale_f32 v1, s[0:1], s19, s19, v0
	v_rcp_f32_e32 v2, v1
	v_div_scale_f32 v3, vcc, v0, s19, v0
	s_mov_b32 s0, 0x2edbe6ff
	v_fma_f32 v4, -v1, v2, 1.0
	v_fmac_f32_e32 v2, v4, v2
	v_mul_f32_e32 v4, v3, v2
	v_fma_f32 v5, -v1, v4, v3
	v_fmac_f32_e32 v4, v5, v2
	v_fma_f32 v1, -v1, v4, v3
	v_div_fmas_f32 v1, v1, v2, v4
	v_div_fixup_f32 v0, v1, s19, v0
	v_max_f32_e64 v0, |v0|, s0
	s_mov_b32 s0, 0x800000
	v_mov_b32_e32 v1, 0x4f800000
	v_cmp_gt_f32_e32 vcc, s0, v0
	v_cndmask_b32_e32 v1, 1.0, v1, vcc
	v_mul_f32_e32 v0, v0, v1
	v_log_f32_e32 v0, v0
	v_mov_b32_e32 v1, 0x42000000
	v_cndmask_b32_e32 v1, 0, v1, vcc
	s_mov_b32 s0, 0xc2fc0000
	v_sub_f32_e32 v0, v0, v1
	v_ceil_f32_e32 v0, v0
	v_mov_b32_e32 v1, 0x42800000
	v_cmp_gt_f32_e32 vcc, s0, v0
	v_cndmask_b32_e32 v1, 0, v1, vcc
	v_add_f32_e32 v0, v0, v1
	v_exp_f32_e32 v0, v0
	v_mov_b32_e32 v1, 0x1f800000
	v_cndmask_b32_e32 v1, 1.0, v1, vcc
	v_cmp_eq_u32_e32 vcc, 0, v24
	v_mul_f32_e32 v0, v0, v1
	s_and_saveexec_b64 s[8:9], vcc
	s_cbranch_execz .LBB20_24
; %bb.19:
	s_load_dwordx2 s[4:5], s[4:5], 0x10
	s_ashr_i32 s0, s2, 31
	v_or_b32_e32 v3, s0, v8
	v_mov_b32_e32 v2, 0
	v_cmp_ne_u64_e32 vcc, 0, v[2:3]
                                        ; implicit-def: $vgpr2_vgpr3
	s_and_saveexec_b64 s[10:11], vcc
	s_xor_b64 s[10:11], exec, s[10:11]
	s_cbranch_execz .LBB20_21
; %bb.20:
	s_add_u32 s14, s2, s0
	s_mov_b32 s12, s0
	s_mov_b32 s13, s0
	s_addc_u32 s15, s0, s0
	s_xor_b64 s[14:15], s[14:15], s[12:13]
	v_cvt_f32_u32_e32 v1, s14
	v_cvt_f32_u32_e32 v2, s15
	s_sub_u32 s0, 0, s14
	s_subb_u32 s1, 0, s15
	v_madmk_f32 v1, v2, 0x4f800000, v1
	v_rcp_f32_e32 v1, v1
	v_mul_f32_e32 v1, 0x5f7ffffc, v1
	v_mul_f32_e32 v2, 0x2f800000, v1
	v_trunc_f32_e32 v2, v2
	v_madmk_f32 v1, v2, 0xcf800000, v1
	v_cvt_u32_f32_e32 v2, v2
	v_cvt_u32_f32_e32 v1, v1
	v_mul_lo_u32 v3, s0, v2
	v_mul_hi_u32 v5, s0, v1
	v_mul_lo_u32 v4, s1, v1
	v_add_u32_e32 v3, v5, v3
	v_mul_lo_u32 v9, s0, v1
	v_add_u32_e32 v3, v3, v4
	v_mul_lo_u32 v5, v1, v3
	v_mul_hi_u32 v10, v1, v9
	v_mul_hi_u32 v4, v1, v3
	v_add_co_u32_e32 v5, vcc, v10, v5
	v_addc_co_u32_e32 v4, vcc, 0, v4, vcc
	v_mul_hi_u32 v11, v2, v9
	v_mul_lo_u32 v9, v2, v9
	v_add_co_u32_e32 v5, vcc, v5, v9
	v_mul_hi_u32 v10, v2, v3
	v_addc_co_u32_e32 v4, vcc, v4, v11, vcc
	v_addc_co_u32_e32 v5, vcc, 0, v10, vcc
	v_mul_lo_u32 v3, v2, v3
	v_add_co_u32_e32 v3, vcc, v4, v3
	v_addc_co_u32_e32 v4, vcc, 0, v5, vcc
	v_add_co_u32_e32 v1, vcc, v1, v3
	v_addc_co_u32_e32 v2, vcc, v2, v4, vcc
	v_mul_lo_u32 v3, s0, v2
	v_mul_hi_u32 v4, s0, v1
	v_add_u32_e32 v3, v4, v3
	v_mul_lo_u32 v4, s1, v1
	v_add_u32_e32 v3, v3, v4
	v_mul_lo_u32 v5, s0, v1
	v_mul_hi_u32 v9, v2, v5
	v_mul_lo_u32 v10, v2, v5
	v_mul_lo_u32 v14, v1, v3
	v_mul_hi_u32 v5, v1, v5
	v_mul_hi_u32 v11, v1, v3
	v_add_co_u32_e32 v5, vcc, v5, v14
	v_addc_co_u32_e32 v11, vcc, 0, v11, vcc
	v_add_co_u32_e32 v5, vcc, v5, v10
	v_mul_hi_u32 v4, v2, v3
	v_addc_co_u32_e32 v5, vcc, v11, v9, vcc
	v_addc_co_u32_e32 v4, vcc, 0, v4, vcc
	v_mul_lo_u32 v3, v2, v3
	v_add_co_u32_e32 v3, vcc, v5, v3
	v_addc_co_u32_e32 v4, vcc, 0, v4, vcc
	v_add_co_u32_e32 v1, vcc, v1, v3
	v_addc_co_u32_e32 v4, vcc, v2, v4, vcc
	v_mad_u64_u32 v[2:3], s[0:1], v7, v4, 0
	v_mul_hi_u32 v5, v7, v1
	v_add_co_u32_e32 v9, vcc, v5, v2
	v_addc_co_u32_e32 v10, vcc, 0, v3, vcc
	v_mad_u64_u32 v[2:3], s[0:1], v8, v4, 0
	v_mad_u64_u32 v[4:5], s[0:1], v8, v1, 0
	v_add_co_u32_e32 v1, vcc, v9, v4
	v_addc_co_u32_e32 v1, vcc, v10, v5, vcc
	v_addc_co_u32_e32 v3, vcc, 0, v3, vcc
	v_add_co_u32_e32 v1, vcc, v1, v2
	v_addc_co_u32_e32 v2, vcc, 0, v3, vcc
	v_mul_lo_u32 v4, s15, v1
	v_mul_lo_u32 v5, s14, v2
	v_mad_u64_u32 v[2:3], s[0:1], s14, v1, 0
	v_add3_u32 v3, v3, v5, v4
	v_sub_u32_e32 v4, v8, v3
	v_mov_b32_e32 v5, s15
	v_sub_co_u32_e32 v2, vcc, v7, v2
	v_subb_co_u32_e64 v4, s[0:1], v4, v5, vcc
	v_subrev_co_u32_e64 v5, s[0:1], s14, v2
	v_subbrev_co_u32_e64 v4, s[0:1], 0, v4, s[0:1]
	v_cmp_le_u32_e64 s[0:1], s15, v4
	v_subb_co_u32_e32 v3, vcc, v8, v3, vcc
	v_cndmask_b32_e64 v9, 0, -1, s[0:1]
	v_cmp_le_u32_e64 s[0:1], s14, v5
	v_cmp_le_u32_e32 vcc, s15, v3
	v_cndmask_b32_e64 v5, 0, -1, s[0:1]
	v_cmp_eq_u32_e64 s[0:1], s15, v4
	v_cndmask_b32_e64 v8, 0, -1, vcc
	v_cmp_le_u32_e32 vcc, s14, v2
	v_cndmask_b32_e64 v4, v9, v5, s[0:1]
	v_cndmask_b32_e64 v2, 0, -1, vcc
	v_cmp_eq_u32_e32 vcc, s15, v3
	v_add_co_u32_e64 v5, s[0:1], 2, v1
	v_add_co_u32_e64 v9, s[0:1], 1, v1
	v_cndmask_b32_e32 v2, v8, v2, vcc
	v_cmp_ne_u32_e32 vcc, 0, v4
	v_cndmask_b32_e32 v3, v9, v5, vcc
	v_cmp_ne_u32_e32 vcc, 0, v2
	v_cndmask_b32_e32 v1, v1, v3, vcc
	v_xor_b32_e32 v1, s12, v1
	v_subrev_co_u32_e32 v2, vcc, s12, v1
.LBB20_21:
	s_andn2_saveexec_b64 s[0:1], s[10:11]
	s_cbranch_execz .LBB20_23
; %bb.22:
	v_cvt_f32_u32_e32 v1, s2
	s_sub_i32 s10, 0, s2
	v_rcp_iflag_f32_e32 v1, v1
	v_mul_f32_e32 v1, 0x4f7ffffe, v1
	v_cvt_u32_f32_e32 v1, v1
	v_mul_lo_u32 v2, s10, v1
	v_mul_hi_u32 v2, v1, v2
	v_add_u32_e32 v1, v1, v2
	v_mul_hi_u32 v1, v7, v1
	v_mul_lo_u32 v2, v1, s2
	v_sub_u32_e32 v2, v7, v2
	v_add_u32_e32 v3, 1, v1
	v_subrev_u32_e32 v4, s2, v2
	v_cmp_le_u32_e32 vcc, s2, v2
	v_cndmask_b32_e32 v2, v2, v4, vcc
	v_cndmask_b32_e32 v1, v1, v3, vcc
	v_add_u32_e32 v3, 1, v1
	v_cmp_le_u32_e32 vcc, s2, v2
	v_cndmask_b32_e32 v2, v1, v3, vcc
.LBB20_23:
	s_or_b64 exec, exec, s[0:1]
	v_mul_lo_u32 v1, v2, s2
	v_sub_u32_e32 v1, v7, v1
	v_mad_u64_u32 v[2:3], s[0:1], v1, s3, v[2:3]
	v_ashrrev_i32_e32 v3, 31, v2
	v_lshlrev_b64 v[2:3], 2, v[2:3]
	s_waitcnt lgkmcnt(0)
	v_mov_b32_e32 v1, s5
	v_add_co_u32_e32 v2, vcc, s4, v2
	v_addc_co_u32_e32 v3, vcc, v1, v3, vcc
	global_store_dword v[2:3], v0, off
.LBB20_24:
	s_or_b64 exec, exec, s[8:9]
	v_and_b32_e32 v2, 15, v6
	v_mov_b32_e32 v3, 0
	v_cmp_ne_u64_e32 vcc, 0, v[2:3]
	s_xor_b64 s[0:1], s[6:7], -1
	s_or_b64 s[0:1], s[0:1], vcc
	s_barrier
	s_and_saveexec_b64 s[2:3], s[0:1]
	s_xor_b64 s[22:23], exec, s[2:3]
	s_cbranch_execz .LBB20_119
; %bb.25:
	v_mov_b32_e32 v2, s21
	v_add_co_u32_e32 v1, vcc, s20, v12
	v_addc_co_u32_e32 v30, vcc, v2, v13, vcc
	v_sub_u32_e32 v2, 0, v6
	v_bfe_u32 v2, v2, 1, 3
	v_min_i32_e32 v27, s31, v2
	v_cmp_gt_i32_e32 vcc, v27, v24
	s_and_saveexec_b64 s[0:1], vcc
	s_cbranch_execz .LBB20_33
; %bb.26:
	v_lshl_add_u32 v2, v24, 1, v6
	ds_read_u16 v2, v2
	v_max_f32_e64 v3, s18, s18
	v_max_f32_e64 v4, s19, s19
	s_waitcnt lgkmcnt(0)
	v_cvt_f32_f16_e32 v2, v2
	v_div_scale_f32 v5, s[2:3], v0, v0, v2
	v_rcp_f32_e32 v6, v5
	v_div_scale_f32 v7, vcc, v2, v0, v2
	s_mov_b32 s2, 0x43800000
	v_fma_f32 v8, -v5, v6, 1.0
	v_fmac_f32_e32 v6, v8, v6
	v_mul_f32_e32 v8, v7, v6
	v_fma_f32 v9, -v5, v8, v7
	v_fmac_f32_e32 v8, v9, v6
	v_fma_f32 v5, -v5, v8, v7
	v_div_fmas_f32 v5, v5, v6, v8
	v_div_fixup_f32 v2, v5, v0, v2
	v_max_f32_e32 v2, v2, v3
	v_min_f32_e32 v2, v2, v4
	v_and_b32_e32 v3, 0x7fffffff, v2
	v_cmp_gt_u32_e32 vcc, s2, v3
	v_mov_b32_e32 v4, 0x80
	s_and_saveexec_b64 s[2:3], vcc
	s_cbranch_execz .LBB20_32
; %bb.27:
	s_mov_b32 s4, 0x3bffffff
	v_cmp_lt_u32_e32 vcc, s4, v3
	s_mov_b64 s[4:5], 0
                                        ; implicit-def: $vgpr3
	s_and_saveexec_b64 s[6:7], vcc
	s_xor_b64 s[6:7], exec, s[6:7]
	s_cbranch_execnz .LBB20_188
; %bb.28:
	s_or_saveexec_b64 s[6:7], s[6:7]
                                        ; implicit-def: $sgpr8
	s_xor_b64 exec, exec, s[6:7]
	s_cbranch_execnz .LBB20_189
.LBB20_29:
	s_or_b64 exec, exec, s[6:7]
	v_mov_b32_e32 v4, s8
	s_and_saveexec_b64 s[6:7], s[4:5]
.LBB20_30:
	v_lshrrev_b32_e32 v2, 24, v2
	s_movk_i32 s4, 0x80
	v_and_or_b32 v4, v2, s4, v3
.LBB20_31:
	s_or_b64 exec, exec, s[6:7]
.LBB20_32:
	s_or_b64 exec, exec, s[2:3]
	v_add_co_u32_e32 v2, vcc, v1, v24
	v_addc_co_u32_e32 v3, vcc, 0, v30, vcc
	global_store_byte v[2:3], v4, off
.LBB20_33:
	s_or_b64 exec, exec, s[0:1]
	v_sub_u32_e32 v26, s31, v27
	v_ashrrev_i32_e32 v2, 31, v26
	v_lshrrev_b32_e32 v2, 29, v2
	v_add_u32_e32 v2, v26, v2
	v_ashrrev_i32_e32 v31, 3, v2
	v_ashrrev_i32_e32 v28, 31, v27
	v_cmp_gt_i32_e32 vcc, v31, v24
	v_lshlrev_b32_e32 v29, 1, v27
	s_and_saveexec_b64 s[2:3], vcc
	s_cbranch_execz .LBB20_100
; %bb.34:
	v_lshlrev_b32_e32 v2, 4, v24
	v_lshl_add_u32 v2, v25, 1, v2
	v_lshlrev_b32_e32 v3, 1, v27
	v_add3_u32 v32, v2, v3, 0
	v_add_co_u32_e32 v2, vcc, v27, v12
	v_addc_co_u32_e32 v3, vcc, v28, v13, vcc
	v_lshlrev_b32_e32 v4, 3, v24
	v_add_co_u32_e32 v2, vcc, v2, v4
	v_addc_co_u32_e32 v3, vcc, 0, v3, vcc
	v_mov_b32_e32 v4, s21
	v_add_co_u32_e32 v6, vcc, s20, v2
	v_addc_co_u32_e32 v7, vcc, v4, v3, vcc
	s_mov_b64 s[4:5], 0
	v_max_f32_e64 v33, s18, s18
	v_max_f32_e64 v34, s19, s19
	s_mov_b32 s12, 0x43800000
	s_mov_b32 s13, 0x3bffffff
	;; [unrolled: 1-line block ×4, first 2 shown]
	s_movk_i32 s16, 0x80
	s_mov_b32 s17, 0xff00
	s_mov_b32 s24, 0x4020c0c
	v_mov_b32_e32 v35, v24
	s_branch .LBB20_37
.LBB20_35:                              ;   in Loop: Header=BB20_37 Depth=1
	s_or_b64 exec, exec, s[8:9]
.LBB20_36:                              ;   in Loop: Header=BB20_37 Depth=1
	s_or_b64 exec, exec, s[0:1]
	v_lshlrev_b32_e32 v4, 16, v22
	v_lshlrev_b32_e32 v3, 24, v20
	v_and_b32_e32 v4, 0xff0000, v4
	v_lshlrev_b32_e32 v2, 8, v2
	v_or_b32_e32 v3, v3, v4
	v_and_b32_e32 v2, 0xff00, v2
	v_and_b32_e32 v4, 0xff, v18
	v_or3_b32 v3, v3, v2, v4
	v_lshlrev_b32_e32 v2, 16, v16
	v_lshlrev_b32_e32 v4, 8, v8
	v_perm_b32 v2, v14, v2, s24
	v_and_or_b32 v2, v4, s17, v2
	v_or_b32_sdwa v2, v2, v10 dst_sel:DWORD dst_unused:UNUSED_PAD src0_sel:DWORD src1_sel:BYTE_0
	v_add_u32_e32 v35, 16, v35
	global_store_dwordx2 v[6:7], v[2:3], off
	v_add_co_u32_e32 v6, vcc, 0x80, v6
	v_cmp_ge_i32_e64 s[0:1], v35, v31
	v_add_u32_e32 v32, 0x100, v32
	s_or_b64 s[4:5], s[0:1], s[4:5]
	v_addc_co_u32_e32 v7, vcc, 0, v7, vcc
	s_andn2_b64 exec, exec, s[4:5]
	s_cbranch_execz .LBB20_100
.LBB20_37:                              ; =>This Inner Loop Header: Depth=1
	ds_read_b128 v[2:5], v32
	v_mov_b32_e32 v8, 0x80
	v_mov_b32_e32 v9, 0
	s_waitcnt lgkmcnt(0)
	v_cvt_f32_f16_e32 v10, v2
	v_div_scale_f32 v11, s[0:1], v0, v0, v10
	v_rcp_f32_e32 v14, v11
	v_div_scale_f32 v15, vcc, v10, v0, v10
	v_fma_f32 v16, -v11, v14, 1.0
	v_fmac_f32_e32 v14, v16, v14
	v_mul_f32_e32 v16, v15, v14
	v_fma_f32 v17, -v11, v16, v15
	v_fmac_f32_e32 v16, v17, v14
	v_fma_f32 v11, -v11, v16, v15
	v_div_fmas_f32 v11, v11, v14, v16
	v_div_fixup_f32 v10, v11, v0, v10
	v_max_f32_e32 v10, v10, v33
	v_min_f32_e32 v14, v10, v34
	v_and_b32_e32 v15, 0x7fffffff, v14
	v_cmp_gt_u32_e32 vcc, s12, v15
	v_pk_mov_b32 v[10:11], v[8:9], v[8:9] op_sel:[0,1]
	s_and_saveexec_b64 s[0:1], vcc
	s_cbranch_execz .LBB20_43
; %bb.38:                               ;   in Loop: Header=BB20_37 Depth=1
	v_cmp_lt_u32_e32 vcc, s13, v15
	s_mov_b64 s[6:7], 0
                                        ; implicit-def: $vgpr9
	s_and_saveexec_b64 s[8:9], vcc
	s_xor_b64 s[8:9], exec, s[8:9]
	s_cbranch_execnz .LBB20_83
; %bb.39:                               ;   in Loop: Header=BB20_37 Depth=1
	s_or_saveexec_b64 s[8:9], s[8:9]
                                        ; implicit-def: $sgpr10_sgpr11
	s_xor_b64 exec, exec, s[8:9]
	s_cbranch_execnz .LBB20_84
.LBB20_40:                              ;   in Loop: Header=BB20_37 Depth=1
	s_or_b64 exec, exec, s[8:9]
	v_pk_mov_b32 v[10:11], s[10:11], s[10:11] op_sel:[0,1]
	s_and_saveexec_b64 s[8:9], s[6:7]
.LBB20_41:                              ;   in Loop: Header=BB20_37 Depth=1
	v_lshrrev_b32_e32 v10, 24, v14
	v_and_or_b32 v10, v10, s16, v9
.LBB20_42:                              ;   in Loop: Header=BB20_37 Depth=1
	s_or_b64 exec, exec, s[8:9]
.LBB20_43:                              ;   in Loop: Header=BB20_37 Depth=1
	s_or_b64 exec, exec, s[0:1]
	v_cvt_f32_f16_sdwa v2, v2 dst_sel:DWORD dst_unused:UNUSED_PAD src0_sel:WORD_1
	v_div_scale_f32 v9, s[0:1], v0, v0, v2
	v_rcp_f32_e32 v11, v9
	v_div_scale_f32 v14, vcc, v2, v0, v2
	v_fma_f32 v15, -v9, v11, 1.0
	v_fmac_f32_e32 v11, v15, v11
	v_mul_f32_e32 v15, v14, v11
	v_fma_f32 v16, -v9, v15, v14
	v_fmac_f32_e32 v15, v16, v11
	v_fma_f32 v9, -v9, v15, v14
	v_div_fmas_f32 v9, v9, v11, v15
	v_div_fixup_f32 v2, v9, v0, v2
	v_max_f32_e32 v2, v2, v33
	v_min_f32_e32 v2, v2, v34
	v_and_b32_e32 v9, 0x7fffffff, v2
	v_cmp_gt_u32_e32 vcc, s12, v9
	s_and_saveexec_b64 s[0:1], vcc
	s_cbranch_execz .LBB20_49
; %bb.44:                               ;   in Loop: Header=BB20_37 Depth=1
	v_cmp_lt_u32_e32 vcc, s13, v9
	s_mov_b64 s[6:7], 0
                                        ; implicit-def: $vgpr11
	s_and_saveexec_b64 s[8:9], vcc
	s_xor_b64 s[8:9], exec, s[8:9]
	s_cbranch_execnz .LBB20_85
; %bb.45:                               ;   in Loop: Header=BB20_37 Depth=1
	s_or_saveexec_b64 s[8:9], s[8:9]
                                        ; implicit-def: $sgpr10_sgpr11
	s_xor_b64 exec, exec, s[8:9]
	s_cbranch_execnz .LBB20_86
.LBB20_46:                              ;   in Loop: Header=BB20_37 Depth=1
	s_or_b64 exec, exec, s[8:9]
	v_pk_mov_b32 v[8:9], s[10:11], s[10:11] op_sel:[0,1]
	s_and_saveexec_b64 s[8:9], s[6:7]
.LBB20_47:                              ;   in Loop: Header=BB20_37 Depth=1
	v_lshrrev_b32_e32 v2, 24, v2
	v_and_or_b32 v8, v2, s16, v11
.LBB20_48:                              ;   in Loop: Header=BB20_37 Depth=1
	s_or_b64 exec, exec, s[8:9]
.LBB20_49:                              ;   in Loop: Header=BB20_37 Depth=1
	s_or_b64 exec, exec, s[0:1]
	v_cvt_f32_f16_e32 v2, v3
	v_mov_b32_e32 v14, 0x80
	v_mov_b32_e32 v15, 0
	v_div_scale_f32 v9, s[0:1], v0, v0, v2
	v_rcp_f32_e32 v11, v9
	v_div_scale_f32 v16, vcc, v2, v0, v2
	v_fma_f32 v17, -v9, v11, 1.0
	v_fmac_f32_e32 v11, v17, v11
	v_mul_f32_e32 v17, v16, v11
	v_fma_f32 v18, -v9, v17, v16
	v_fmac_f32_e32 v17, v18, v11
	v_fma_f32 v9, -v9, v17, v16
	v_div_fmas_f32 v9, v9, v11, v17
	v_div_fixup_f32 v2, v9, v0, v2
	v_max_f32_e32 v2, v2, v33
	v_min_f32_e32 v2, v2, v34
	v_and_b32_e32 v9, 0x7fffffff, v2
	v_cmp_gt_u32_e32 vcc, s12, v9
	v_pk_mov_b32 v[16:17], v[14:15], v[14:15] op_sel:[0,1]
	s_and_saveexec_b64 s[0:1], vcc
	s_cbranch_execz .LBB20_55
; %bb.50:                               ;   in Loop: Header=BB20_37 Depth=1
	v_cmp_lt_u32_e32 vcc, s13, v9
	s_mov_b64 s[6:7], 0
                                        ; implicit-def: $vgpr9
	s_and_saveexec_b64 s[8:9], vcc
	s_xor_b64 s[8:9], exec, s[8:9]
	s_cbranch_execnz .LBB20_87
; %bb.51:                               ;   in Loop: Header=BB20_37 Depth=1
	s_or_saveexec_b64 s[8:9], s[8:9]
                                        ; implicit-def: $sgpr10_sgpr11
	s_xor_b64 exec, exec, s[8:9]
	s_cbranch_execnz .LBB20_88
.LBB20_52:                              ;   in Loop: Header=BB20_37 Depth=1
	s_or_b64 exec, exec, s[8:9]
	v_pk_mov_b32 v[16:17], s[10:11], s[10:11] op_sel:[0,1]
	s_and_saveexec_b64 s[8:9], s[6:7]
.LBB20_53:                              ;   in Loop: Header=BB20_37 Depth=1
	v_lshrrev_b32_e32 v2, 24, v2
	v_and_or_b32 v16, v2, s16, v9
.LBB20_54:                              ;   in Loop: Header=BB20_37 Depth=1
	s_or_b64 exec, exec, s[8:9]
.LBB20_55:                              ;   in Loop: Header=BB20_37 Depth=1
	s_or_b64 exec, exec, s[0:1]
	v_cvt_f32_f16_sdwa v2, v3 dst_sel:DWORD dst_unused:UNUSED_PAD src0_sel:WORD_1
	v_div_scale_f32 v3, s[0:1], v0, v0, v2
	v_rcp_f32_e32 v9, v3
	v_div_scale_f32 v11, vcc, v2, v0, v2
	v_fma_f32 v15, -v3, v9, 1.0
	v_fmac_f32_e32 v9, v15, v9
	v_mul_f32_e32 v15, v11, v9
	v_fma_f32 v17, -v3, v15, v11
	v_fmac_f32_e32 v15, v17, v9
	v_fma_f32 v3, -v3, v15, v11
	v_div_fmas_f32 v3, v3, v9, v15
	v_div_fixup_f32 v2, v3, v0, v2
	v_max_f32_e32 v2, v2, v33
	v_min_f32_e32 v2, v2, v34
	v_and_b32_e32 v3, 0x7fffffff, v2
	v_cmp_gt_u32_e32 vcc, s12, v3
	s_and_saveexec_b64 s[0:1], vcc
	s_cbranch_execz .LBB20_61
; %bb.56:                               ;   in Loop: Header=BB20_37 Depth=1
	v_cmp_lt_u32_e32 vcc, s13, v3
	s_mov_b64 s[6:7], 0
                                        ; implicit-def: $vgpr3
	s_and_saveexec_b64 s[8:9], vcc
	s_xor_b64 s[8:9], exec, s[8:9]
	s_cbranch_execnz .LBB20_89
; %bb.57:                               ;   in Loop: Header=BB20_37 Depth=1
	s_or_saveexec_b64 s[8:9], s[8:9]
                                        ; implicit-def: $sgpr10_sgpr11
	s_xor_b64 exec, exec, s[8:9]
	s_cbranch_execnz .LBB20_90
.LBB20_58:                              ;   in Loop: Header=BB20_37 Depth=1
	s_or_b64 exec, exec, s[8:9]
	v_pk_mov_b32 v[14:15], s[10:11], s[10:11] op_sel:[0,1]
	s_and_saveexec_b64 s[8:9], s[6:7]
.LBB20_59:                              ;   in Loop: Header=BB20_37 Depth=1
	v_lshrrev_b32_e32 v2, 24, v2
	v_and_or_b32 v14, v2, s16, v3
.LBB20_60:                              ;   in Loop: Header=BB20_37 Depth=1
	s_or_b64 exec, exec, s[8:9]
.LBB20_61:                              ;   in Loop: Header=BB20_37 Depth=1
	s_or_b64 exec, exec, s[0:1]
	v_cvt_f32_f16_e32 v9, v4
	v_mov_b32_e32 v2, 0x80
	v_mov_b32_e32 v3, 0
	v_div_scale_f32 v11, s[0:1], v0, v0, v9
	v_rcp_f32_e32 v15, v11
	v_div_scale_f32 v17, vcc, v9, v0, v9
	v_fma_f32 v18, -v11, v15, 1.0
	v_fmac_f32_e32 v15, v18, v15
	v_mul_f32_e32 v18, v17, v15
	v_fma_f32 v19, -v11, v18, v17
	v_fmac_f32_e32 v18, v19, v15
	v_fma_f32 v11, -v11, v18, v17
	v_div_fmas_f32 v11, v11, v15, v18
	v_div_fixup_f32 v9, v11, v0, v9
	v_max_f32_e32 v9, v9, v33
	v_min_f32_e32 v9, v9, v34
	v_and_b32_e32 v11, 0x7fffffff, v9
	v_cmp_gt_u32_e32 vcc, s12, v11
	v_pk_mov_b32 v[18:19], v[2:3], v[2:3] op_sel:[0,1]
	s_and_saveexec_b64 s[0:1], vcc
	s_cbranch_execz .LBB20_67
; %bb.62:                               ;   in Loop: Header=BB20_37 Depth=1
	v_cmp_lt_u32_e32 vcc, s13, v11
	s_mov_b64 s[6:7], 0
                                        ; implicit-def: $vgpr3
	s_and_saveexec_b64 s[8:9], vcc
	s_xor_b64 s[8:9], exec, s[8:9]
	s_cbranch_execnz .LBB20_91
; %bb.63:                               ;   in Loop: Header=BB20_37 Depth=1
	s_or_saveexec_b64 s[8:9], s[8:9]
                                        ; implicit-def: $sgpr10_sgpr11
	s_xor_b64 exec, exec, s[8:9]
	s_cbranch_execnz .LBB20_92
.LBB20_64:                              ;   in Loop: Header=BB20_37 Depth=1
	s_or_b64 exec, exec, s[8:9]
	v_pk_mov_b32 v[18:19], s[10:11], s[10:11] op_sel:[0,1]
	s_and_saveexec_b64 s[8:9], s[6:7]
.LBB20_65:                              ;   in Loop: Header=BB20_37 Depth=1
	v_lshrrev_b32_e32 v9, 24, v9
	v_and_or_b32 v18, v9, s16, v3
.LBB20_66:                              ;   in Loop: Header=BB20_37 Depth=1
	s_or_b64 exec, exec, s[8:9]
.LBB20_67:                              ;   in Loop: Header=BB20_37 Depth=1
	s_or_b64 exec, exec, s[0:1]
	v_cvt_f32_f16_sdwa v3, v4 dst_sel:DWORD dst_unused:UNUSED_PAD src0_sel:WORD_1
	v_div_scale_f32 v4, s[0:1], v0, v0, v3
	v_rcp_f32_e32 v9, v4
	v_div_scale_f32 v11, vcc, v3, v0, v3
	v_fma_f32 v15, -v4, v9, 1.0
	v_fmac_f32_e32 v9, v15, v9
	v_mul_f32_e32 v15, v11, v9
	v_fma_f32 v17, -v4, v15, v11
	v_fmac_f32_e32 v15, v17, v9
	v_fma_f32 v4, -v4, v15, v11
	v_div_fmas_f32 v4, v4, v9, v15
	v_div_fixup_f32 v3, v4, v0, v3
	v_max_f32_e32 v3, v3, v33
	v_min_f32_e32 v4, v3, v34
	v_and_b32_e32 v3, 0x7fffffff, v4
	v_cmp_gt_u32_e32 vcc, s12, v3
	s_and_saveexec_b64 s[0:1], vcc
	s_cbranch_execz .LBB20_73
; %bb.68:                               ;   in Loop: Header=BB20_37 Depth=1
	v_cmp_lt_u32_e32 vcc, s13, v3
	s_mov_b64 s[6:7], 0
                                        ; implicit-def: $vgpr9
	s_and_saveexec_b64 s[8:9], vcc
	s_xor_b64 s[8:9], exec, s[8:9]
	s_cbranch_execnz .LBB20_93
; %bb.69:                               ;   in Loop: Header=BB20_37 Depth=1
	s_or_saveexec_b64 s[8:9], s[8:9]
                                        ; implicit-def: $sgpr10_sgpr11
	s_xor_b64 exec, exec, s[8:9]
	s_cbranch_execnz .LBB20_94
.LBB20_70:                              ;   in Loop: Header=BB20_37 Depth=1
	s_or_b64 exec, exec, s[8:9]
	v_pk_mov_b32 v[2:3], s[10:11], s[10:11] op_sel:[0,1]
	s_and_saveexec_b64 s[8:9], s[6:7]
.LBB20_71:                              ;   in Loop: Header=BB20_37 Depth=1
	v_lshrrev_b32_e32 v2, 24, v4
	v_and_or_b32 v2, v2, s16, v9
.LBB20_72:                              ;   in Loop: Header=BB20_37 Depth=1
	s_or_b64 exec, exec, s[8:9]
.LBB20_73:                              ;   in Loop: Header=BB20_37 Depth=1
	s_or_b64 exec, exec, s[0:1]
	v_cvt_f32_f16_e32 v3, v5
	v_mov_b32_e32 v20, 0x80
	v_mov_b32_e32 v21, 0
	v_pk_mov_b32 v[22:23], v[20:21], v[20:21] op_sel:[0,1]
	v_div_scale_f32 v4, s[0:1], v0, v0, v3
	v_rcp_f32_e32 v9, v4
	v_div_scale_f32 v11, vcc, v3, v0, v3
	v_fma_f32 v15, -v4, v9, 1.0
	v_fmac_f32_e32 v9, v15, v9
	v_mul_f32_e32 v15, v11, v9
	v_fma_f32 v17, -v4, v15, v11
	v_fmac_f32_e32 v15, v17, v9
	v_fma_f32 v4, -v4, v15, v11
	v_div_fmas_f32 v4, v4, v9, v15
	v_div_fixup_f32 v3, v4, v0, v3
	v_max_f32_e32 v3, v3, v33
	v_min_f32_e32 v3, v3, v34
	v_and_b32_e32 v4, 0x7fffffff, v3
	v_cmp_gt_u32_e32 vcc, s12, v4
	s_and_saveexec_b64 s[0:1], vcc
	s_cbranch_execz .LBB20_79
; %bb.74:                               ;   in Loop: Header=BB20_37 Depth=1
	v_cmp_lt_u32_e32 vcc, s13, v4
	s_mov_b64 s[6:7], 0
                                        ; implicit-def: $vgpr4
	s_and_saveexec_b64 s[8:9], vcc
	s_xor_b64 s[8:9], exec, s[8:9]
	s_cbranch_execnz .LBB20_95
; %bb.75:                               ;   in Loop: Header=BB20_37 Depth=1
	s_or_saveexec_b64 s[8:9], s[8:9]
                                        ; implicit-def: $sgpr10_sgpr11
	s_xor_b64 exec, exec, s[8:9]
	s_cbranch_execnz .LBB20_96
.LBB20_76:                              ;   in Loop: Header=BB20_37 Depth=1
	s_or_b64 exec, exec, s[8:9]
	v_pk_mov_b32 v[22:23], s[10:11], s[10:11] op_sel:[0,1]
	s_and_saveexec_b64 s[8:9], s[6:7]
.LBB20_77:                              ;   in Loop: Header=BB20_37 Depth=1
	v_lshrrev_b32_e32 v3, 24, v3
	v_and_or_b32 v22, v3, s16, v4
.LBB20_78:                              ;   in Loop: Header=BB20_37 Depth=1
	s_or_b64 exec, exec, s[8:9]
.LBB20_79:                              ;   in Loop: Header=BB20_37 Depth=1
	s_or_b64 exec, exec, s[0:1]
	v_cvt_f32_f16_sdwa v3, v5 dst_sel:DWORD dst_unused:UNUSED_PAD src0_sel:WORD_1
	v_div_scale_f32 v4, s[0:1], v0, v0, v3
	v_rcp_f32_e32 v5, v4
	v_div_scale_f32 v9, vcc, v3, v0, v3
	v_fma_f32 v11, -v4, v5, 1.0
	v_fmac_f32_e32 v5, v11, v5
	v_mul_f32_e32 v11, v9, v5
	v_fma_f32 v15, -v4, v11, v9
	v_fmac_f32_e32 v11, v15, v5
	v_fma_f32 v4, -v4, v11, v9
	v_div_fmas_f32 v4, v4, v5, v11
	v_div_fixup_f32 v3, v4, v0, v3
	v_max_f32_e32 v3, v3, v33
	v_min_f32_e32 v3, v3, v34
	v_and_b32_e32 v4, 0x7fffffff, v3
	v_cmp_gt_u32_e32 vcc, s12, v4
	s_and_saveexec_b64 s[0:1], vcc
	s_cbranch_execz .LBB20_36
; %bb.80:                               ;   in Loop: Header=BB20_37 Depth=1
	v_cmp_lt_u32_e32 vcc, s13, v4
	s_mov_b64 s[6:7], 0
                                        ; implicit-def: $vgpr4
	s_and_saveexec_b64 s[8:9], vcc
	s_xor_b64 s[8:9], exec, s[8:9]
	s_cbranch_execnz .LBB20_97
; %bb.81:                               ;   in Loop: Header=BB20_37 Depth=1
	s_or_saveexec_b64 s[8:9], s[8:9]
                                        ; implicit-def: $sgpr10_sgpr11
	s_xor_b64 exec, exec, s[8:9]
	s_cbranch_execnz .LBB20_98
.LBB20_82:                              ;   in Loop: Header=BB20_37 Depth=1
	s_or_b64 exec, exec, s[8:9]
	v_pk_mov_b32 v[20:21], s[10:11], s[10:11] op_sel:[0,1]
	s_and_saveexec_b64 s[8:9], s[6:7]
	s_cbranch_execz .LBB20_35
	s_branch .LBB20_99
.LBB20_83:                              ;   in Loop: Header=BB20_37 Depth=1
	v_bfe_u32 v9, v14, 20, 1
	v_add3_u32 v9, v14, v9, s14
	s_mov_b64 s[6:7], exec
	v_lshrrev_b32_e32 v9, 20, v9
	s_or_saveexec_b64 s[8:9], s[8:9]
                                        ; implicit-def: $sgpr10_sgpr11
	s_xor_b64 exec, exec, s[8:9]
	s_cbranch_execz .LBB20_40
.LBB20_84:                              ;   in Loop: Header=BB20_37 Depth=1
	v_add_f32_e64 v9, |v14|, s15
	v_and_b32_e32 v9, 0xff, v9
	v_cmp_ne_u32_e32 vcc, 0, v9
	s_andn2_b64 s[6:7], s[6:7], exec
	s_and_b64 s[26:27], vcc, exec
	s_mov_b64 s[10:11], 0
	s_or_b64 s[6:7], s[6:7], s[26:27]
	s_or_b64 exec, exec, s[8:9]
	v_pk_mov_b32 v[10:11], s[10:11], s[10:11] op_sel:[0,1]
	s_and_saveexec_b64 s[8:9], s[6:7]
	s_cbranch_execnz .LBB20_41
	s_branch .LBB20_42
.LBB20_85:                              ;   in Loop: Header=BB20_37 Depth=1
	v_bfe_u32 v8, v2, 20, 1
	v_add3_u32 v8, v2, v8, s14
	s_mov_b64 s[6:7], exec
	v_lshrrev_b32_e32 v11, 20, v8
	s_or_saveexec_b64 s[8:9], s[8:9]
                                        ; implicit-def: $sgpr10_sgpr11
	s_xor_b64 exec, exec, s[8:9]
	s_cbranch_execz .LBB20_46
.LBB20_86:                              ;   in Loop: Header=BB20_37 Depth=1
	v_add_f32_e64 v8, |v2|, s15
	v_and_b32_e32 v11, 0xff, v8
	v_cmp_ne_u32_e32 vcc, 0, v11
	s_andn2_b64 s[6:7], s[6:7], exec
	s_and_b64 s[26:27], vcc, exec
	s_mov_b64 s[10:11], 0
	s_or_b64 s[6:7], s[6:7], s[26:27]
	s_or_b64 exec, exec, s[8:9]
	v_pk_mov_b32 v[8:9], s[10:11], s[10:11] op_sel:[0,1]
	s_and_saveexec_b64 s[8:9], s[6:7]
	s_cbranch_execnz .LBB20_47
	s_branch .LBB20_48
.LBB20_87:                              ;   in Loop: Header=BB20_37 Depth=1
	v_bfe_u32 v9, v2, 20, 1
	v_add3_u32 v9, v2, v9, s14
	s_mov_b64 s[6:7], exec
	v_lshrrev_b32_e32 v9, 20, v9
	s_or_saveexec_b64 s[8:9], s[8:9]
                                        ; implicit-def: $sgpr10_sgpr11
	s_xor_b64 exec, exec, s[8:9]
	s_cbranch_execz .LBB20_52
.LBB20_88:                              ;   in Loop: Header=BB20_37 Depth=1
	v_add_f32_e64 v9, |v2|, s15
	v_and_b32_e32 v9, 0xff, v9
	v_cmp_ne_u32_e32 vcc, 0, v9
	s_andn2_b64 s[6:7], s[6:7], exec
	s_and_b64 s[26:27], vcc, exec
	s_mov_b64 s[10:11], 0
	s_or_b64 s[6:7], s[6:7], s[26:27]
	s_or_b64 exec, exec, s[8:9]
	v_pk_mov_b32 v[16:17], s[10:11], s[10:11] op_sel:[0,1]
	s_and_saveexec_b64 s[8:9], s[6:7]
	s_cbranch_execnz .LBB20_53
	s_branch .LBB20_54
.LBB20_89:                              ;   in Loop: Header=BB20_37 Depth=1
	v_bfe_u32 v3, v2, 20, 1
	v_add3_u32 v3, v2, v3, s14
	s_mov_b64 s[6:7], exec
	v_lshrrev_b32_e32 v3, 20, v3
	s_or_saveexec_b64 s[8:9], s[8:9]
                                        ; implicit-def: $sgpr10_sgpr11
	s_xor_b64 exec, exec, s[8:9]
	s_cbranch_execz .LBB20_58
.LBB20_90:                              ;   in Loop: Header=BB20_37 Depth=1
	v_add_f32_e64 v3, |v2|, s15
	v_and_b32_e32 v3, 0xff, v3
	v_cmp_ne_u32_e32 vcc, 0, v3
	s_andn2_b64 s[6:7], s[6:7], exec
	s_and_b64 s[26:27], vcc, exec
	s_mov_b64 s[10:11], 0
	s_or_b64 s[6:7], s[6:7], s[26:27]
	s_or_b64 exec, exec, s[8:9]
	v_pk_mov_b32 v[14:15], s[10:11], s[10:11] op_sel:[0,1]
	s_and_saveexec_b64 s[8:9], s[6:7]
	s_cbranch_execnz .LBB20_59
	s_branch .LBB20_60
.LBB20_91:                              ;   in Loop: Header=BB20_37 Depth=1
	v_bfe_u32 v3, v9, 20, 1
	v_add3_u32 v3, v9, v3, s14
	s_mov_b64 s[6:7], exec
	v_lshrrev_b32_e32 v3, 20, v3
	s_or_saveexec_b64 s[8:9], s[8:9]
                                        ; implicit-def: $sgpr10_sgpr11
	s_xor_b64 exec, exec, s[8:9]
	s_cbranch_execz .LBB20_64
.LBB20_92:                              ;   in Loop: Header=BB20_37 Depth=1
	v_add_f32_e64 v3, |v9|, s15
	v_and_b32_e32 v3, 0xff, v3
	v_cmp_ne_u32_e32 vcc, 0, v3
	s_andn2_b64 s[6:7], s[6:7], exec
	s_and_b64 s[26:27], vcc, exec
	s_mov_b64 s[10:11], 0
	s_or_b64 s[6:7], s[6:7], s[26:27]
	s_or_b64 exec, exec, s[8:9]
	v_pk_mov_b32 v[18:19], s[10:11], s[10:11] op_sel:[0,1]
	s_and_saveexec_b64 s[8:9], s[6:7]
	s_cbranch_execnz .LBB20_65
	s_branch .LBB20_66
.LBB20_93:                              ;   in Loop: Header=BB20_37 Depth=1
	v_bfe_u32 v2, v4, 20, 1
	v_add3_u32 v2, v4, v2, s14
	s_mov_b64 s[6:7], exec
	v_lshrrev_b32_e32 v9, 20, v2
	s_or_saveexec_b64 s[8:9], s[8:9]
                                        ; implicit-def: $sgpr10_sgpr11
	s_xor_b64 exec, exec, s[8:9]
	s_cbranch_execz .LBB20_70
.LBB20_94:                              ;   in Loop: Header=BB20_37 Depth=1
	v_add_f32_e64 v2, |v4|, s15
	v_and_b32_e32 v9, 0xff, v2
	v_cmp_ne_u32_e32 vcc, 0, v9
	s_andn2_b64 s[6:7], s[6:7], exec
	s_and_b64 s[26:27], vcc, exec
	s_mov_b64 s[10:11], 0
	s_or_b64 s[6:7], s[6:7], s[26:27]
	s_or_b64 exec, exec, s[8:9]
	v_pk_mov_b32 v[2:3], s[10:11], s[10:11] op_sel:[0,1]
	s_and_saveexec_b64 s[8:9], s[6:7]
	s_cbranch_execnz .LBB20_71
	s_branch .LBB20_72
.LBB20_95:                              ;   in Loop: Header=BB20_37 Depth=1
	v_bfe_u32 v4, v3, 20, 1
	v_add3_u32 v4, v3, v4, s14
	s_mov_b64 s[6:7], exec
	v_lshrrev_b32_e32 v4, 20, v4
	s_or_saveexec_b64 s[8:9], s[8:9]
                                        ; implicit-def: $sgpr10_sgpr11
	s_xor_b64 exec, exec, s[8:9]
	s_cbranch_execz .LBB20_76
.LBB20_96:                              ;   in Loop: Header=BB20_37 Depth=1
	v_add_f32_e64 v4, |v3|, s15
	v_and_b32_e32 v4, 0xff, v4
	v_cmp_ne_u32_e32 vcc, 0, v4
	s_andn2_b64 s[6:7], s[6:7], exec
	s_and_b64 s[26:27], vcc, exec
	s_mov_b64 s[10:11], 0
	s_or_b64 s[6:7], s[6:7], s[26:27]
	s_or_b64 exec, exec, s[8:9]
	v_pk_mov_b32 v[22:23], s[10:11], s[10:11] op_sel:[0,1]
	s_and_saveexec_b64 s[8:9], s[6:7]
	s_cbranch_execnz .LBB20_77
	s_branch .LBB20_78
.LBB20_97:                              ;   in Loop: Header=BB20_37 Depth=1
	v_bfe_u32 v4, v3, 20, 1
	v_add3_u32 v4, v3, v4, s14
	s_mov_b64 s[6:7], exec
	v_lshrrev_b32_e32 v4, 20, v4
	s_or_saveexec_b64 s[8:9], s[8:9]
                                        ; implicit-def: $sgpr10_sgpr11
	s_xor_b64 exec, exec, s[8:9]
	s_cbranch_execz .LBB20_82
.LBB20_98:                              ;   in Loop: Header=BB20_37 Depth=1
	v_add_f32_e64 v4, |v3|, s15
	v_and_b32_e32 v4, 0xff, v4
	v_cmp_ne_u32_e32 vcc, 0, v4
	s_andn2_b64 s[6:7], s[6:7], exec
	s_and_b64 s[26:27], vcc, exec
	s_mov_b64 s[10:11], 0
	s_or_b64 s[6:7], s[6:7], s[26:27]
	s_or_b64 exec, exec, s[8:9]
	v_pk_mov_b32 v[20:21], s[10:11], s[10:11] op_sel:[0,1]
	s_and_saveexec_b64 s[8:9], s[6:7]
	s_cbranch_execz .LBB20_35
.LBB20_99:                              ;   in Loop: Header=BB20_37 Depth=1
	v_lshrrev_b32_e32 v3, 24, v3
	v_and_or_b32 v20, v3, s16, v4
	s_branch .LBB20_35
.LBB20_100:
	s_or_b64 exec, exec, s[2:3]
	v_lshlrev_b32_e32 v4, 3, v31
	v_add_u32_e32 v2, v4, v24
	v_cmp_lt_i32_e32 vcc, v2, v26
	s_and_saveexec_b64 s[24:25], vcc
	s_cbranch_execz .LBB20_118
; %bb.101:
	v_add_u32_e32 v3, 16, v2
	v_max_i32_e32 v5, v3, v26
	v_xad_u32 v5, v24, -1, v5
	v_sub_u32_e32 v4, v5, v4
	v_cmp_lt_u32_e32 vcc, 47, v4
	s_mov_b64 s[0:1], 0
                                        ; implicit-def: $vgpr20
	s_and_saveexec_b64 s[2:3], vcc
	s_xor_b64 s[26:27], exec, s[2:3]
	s_cbranch_execnz .LBB20_104
; %bb.102:
	s_andn2_saveexec_b64 s[2:3], s[26:27]
	s_cbranch_execnz .LBB20_107
.LBB20_103:
	s_or_b64 exec, exec, s[2:3]
	s_and_b64 exec, exec, s[0:1]
	s_cbranch_execnz .LBB20_108
	s_branch .LBB20_118
.LBB20_104:
	v_lshrrev_b32_e32 v4, 4, v4
	v_lshlrev_b32_e32 v20, 1, v25
	v_lshlrev_b32_e32 v8, 4, v31
	;; [unrolled: 1-line block ×3, first 2 shown]
	v_add_u32_e32 v21, 1, v4
	v_add_u32_e32 v5, 48, v2
	;; [unrolled: 1-line block ×3, first 2 shown]
	v_add3_u32 v8, v20, v8, v29
	v_lshlrev_b32_e32 v9, 1, v24
	v_add_co_u32_e32 v23, vcc, v1, v27
	v_and_b32_e32 v22, 0x1ffffffc, v21
	s_mov_b32 s0, s18
	s_mov_b32 s1, s18
	;; [unrolled: 1-line block ×8, first 2 shown]
	v_add3_u32 v24, v8, v9, 0
	v_pk_mov_b32 v[10:11], v[4:5], v[4:5] op_sel:[0,1]
	v_addc_co_u32_e32 v30, vcc, v30, v28, vcc
	v_mov_b32_e32 v1, v0
	v_mov_b32_e32 v6, v0
	;; [unrolled: 1-line block ×3, first 2 shown]
	s_mov_b64 s[28:29], 0
	v_max_f32_e64 v25, s3, s3
	v_max_f32_e64 v31, s2, s2
	;; [unrolled: 1-line block ×8, first 2 shown]
	s_mov_b32 s33, 0x43800000
	s_brev_b32 s34, 60
	s_mov_b32 s35, 0x487ffff
	s_mov_b32 s30, 0x46000000
	s_movk_i32 s36, 0x80
	v_mov_b32_e32 v38, 0xffffff80
	v_mov_b32_e32 v39, 0
	;; [unrolled: 1-line block ×3, first 2 shown]
	v_pk_mov_b32 v[8:9], v[2:3], v[2:3] op_sel:[0,1]
.LBB20_105:                             ; =>This Inner Loop Header: Depth=1
	ds_read_u16 v41, v24
	ds_read_u16 v42, v24 offset:32
	ds_read_u16 v43, v24 offset:64
	;; [unrolled: 1-line block ×3, first 2 shown]
	v_ashrrev_i32_e32 v3, 31, v11
	v_ashrrev_i32_e32 v5, 31, v9
	;; [unrolled: 1-line block ×3, first 2 shown]
	v_add_co_u32_e32 v4, vcc, v23, v9
	v_add_co_u32_e64 v16, s[2:3], v23, v11
	v_add_co_u32_e64 v18, s[4:5], v23, v8
	s_waitcnt lgkmcnt(3)
	v_cvt_f32_f16_e32 v41, v41
	v_addc_co_u32_e64 v19, s[4:5], v30, v17, s[4:5]
	v_addc_co_u32_e32 v5, vcc, v30, v5, vcc
	v_addc_co_u32_e64 v17, vcc, v30, v3, s[2:3]
	s_waitcnt lgkmcnt(0)
	v_cvt_f32_f16_e32 v3, v44
	v_cvt_f32_f16_e32 v42, v42
	;; [unrolled: 1-line block ×3, first 2 shown]
	v_ashrrev_i32_e32 v15, 31, v10
	v_add_co_u32_e64 v14, s[0:1], v23, v10
	v_addc_co_u32_e64 v15, vcc, v30, v15, s[0:1]
	v_div_scale_f32 v44, s[0:1], v0, v0, v41
	v_div_scale_f32 v46, s[0:1], v1, v1, v42
	;; [unrolled: 1-line block ×3, first 2 shown]
	v_rcp_f32_e32 v51, v44
	v_div_scale_f32 v48, s[2:3], v6, v6, v43
	v_rcp_f32_e32 v52, v46
	v_rcp_f32_e32 v54, v50
	;; [unrolled: 1-line block ×3, first 2 shown]
	v_fma_f32 v55, -v44, v51, 1.0
	v_div_scale_f32 v45, vcc, v41, v0, v41
	v_fma_f32 v56, -v46, v52, 1.0
	v_fmac_f32_e32 v51, v55, v51
	v_fma_f32 v55, -v50, v54, 1.0
	v_div_scale_f32 v47, s[0:1], v42, v1, v42
	v_fma_f32 v57, -v48, v53, 1.0
	v_fmac_f32_e32 v52, v56, v52
	v_fmac_f32_e32 v54, v55, v54
	v_mul_f32_e32 v55, v45, v51
	v_fmac_f32_e32 v53, v57, v53
	v_mul_f32_e32 v56, v47, v52
	v_fma_f32 v57, -v44, v55, v45
	v_div_scale_f32 v49, s[2:3], v43, v6, v43
	v_fmac_f32_e32 v55, v57, v51
	v_fma_f32 v57, -v46, v56, v47
	v_fmac_f32_e32 v56, v57, v52
	v_mul_f32_e32 v57, v49, v53
	v_fma_f32 v58, -v48, v57, v49
	v_fmac_f32_e32 v57, v58, v53
	v_div_scale_f32 v58, s[4:5], v3, v7, v3
	v_mul_f32_e32 v59, v58, v54
	v_fma_f32 v44, -v44, v55, v45
	v_fma_f32 v60, -v50, v59, v58
	;; [unrolled: 1-line block ×3, first 2 shown]
	v_div_fmas_f32 v44, v44, v51, v55
	s_mov_b64 vcc, s[0:1]
	v_fmac_f32_e32 v59, v60, v54
	v_fma_f32 v46, -v48, v57, v49
	v_div_fixup_f32 v41, v44, v0, v41
	v_div_fmas_f32 v44, v45, v52, v56
	s_mov_b64 vcc, s[2:3]
	v_fma_f32 v47, -v50, v59, v58
	v_div_fixup_f32 v42, v44, v1, v42
	v_div_fmas_f32 v44, v46, v53, v57
	v_max_f32_e32 v41, v41, v33
	s_mov_b64 vcc, s[4:5]
	v_div_fixup_f32 v43, v44, v6, v43
	v_div_fmas_f32 v44, v47, v54, v59
	v_max_f32_e32 v42, v42, v32
	v_min_f32_e32 v41, v41, v34
	v_div_fixup_f32 v3, v44, v7, v3
	v_max_f32_e32 v43, v43, v31
	v_min_f32_e32 v45, v42, v35
	v_and_b32_e32 v42, 0x7fffffff, v41
	v_bfe_u32 v44, v41, 20, 1
	v_lshrrev_b32_e32 v46, 24, v41
	v_max_f32_e32 v3, v3, v25
	v_min_f32_e32 v47, v43, v36
	v_and_b32_e32 v43, 0x7fffffff, v45
	v_cmp_gt_u32_e32 vcc, s33, v42
	v_cmp_gt_u32_e64 s[0:1], s34, v42
	v_bfe_u32 v48, v45, 20, 1
	v_add3_u32 v41, v41, v44, s35
	v_min_f32_e32 v3, v3, v37
	v_and_b32_e32 v44, 0x7fffffff, v47
	v_cmp_gt_u32_e64 s[2:3], s33, v43
	v_cmp_gt_u32_e64 s[4:5], s34, v43
	v_bfe_u32 v50, v47, 20, 1
	v_add3_u32 v48, v45, v48, s35
	v_lshrrev_b32_e32 v41, 20, v41
	v_pk_add_f32 v[42:43], v[42:43], s[30:31] op_sel_hi:[1,0]
	s_xor_b64 s[8:9], s[0:1], vcc
	v_lshrrev_b32_e32 v49, 24, v45
	v_lshrrev_b32_e32 v51, 24, v47
	v_and_b32_e32 v45, 0x7fffffff, v3
	v_cmp_gt_u32_e64 s[10:11], s33, v44
	v_cmp_gt_u32_e64 s[12:13], s34, v44
	v_bfe_u32 v52, v3, 20, 1
	v_add3_u32 v47, v47, v50, s35
	v_lshrrev_b32_e32 v48, 20, v48
	v_cndmask_b32_e64 v41, v42, v41, s[8:9]
	s_xor_b64 s[8:9], s[4:5], s[2:3]
	v_cmp_eq_u32_sdwa s[38:39], v43, v39 src0_sel:BYTE_0 src1_sel:DWORD
	v_cmp_eq_u32_sdwa s[40:41], v42, v39 src0_sel:BYTE_0 src1_sel:DWORD
	v_lshrrev_b32_e32 v42, 24, v3
	v_cmp_gt_u32_e64 s[14:15], s33, v45
	v_cmp_gt_u32_e64 s[16:17], s34, v45
	v_add3_u32 v3, v3, v52, s35
	v_lshrrev_b32_e32 v47, 20, v47
	v_pk_add_f32 v[44:45], v[44:45], s[30:31] op_sel_hi:[1,0]
	v_cndmask_b32_e64 v43, v43, v48, s[8:9]
	v_and_or_b32 v41, v46, s36, v41
	s_xor_b64 s[8:9], s[12:13], s[10:11]
	v_lshrrev_b32_e32 v3, 20, v3
	v_cmp_eq_u32_sdwa s[44:45], v44, v39 src0_sel:BYTE_0 src1_sel:DWORD
	v_cndmask_b32_e64 v44, v44, v47, s[8:9]
	v_cndmask_b32_e32 v41, v38, v41, vcc
	s_xor_b64 vcc, s[16:17], s[14:15]
	s_and_b64 s[0:1], s[0:1], s[40:41]
	v_cndmask_b32_e32 v3, v45, v3, vcc
	v_and_or_b32 v44, v51, s36, v44
	v_cmp_eq_u32_sdwa s[42:43], v45, v39 src0_sel:BYTE_0 src1_sel:DWORD
	v_and_or_b32 v43, v49, s36, v43
	v_cndmask_b32_e64 v41, v41, 0, s[0:1]
	v_and_or_b32 v3, v42, s36, v3
	v_cndmask_b32_e64 v42, v38, v44, s[10:11]
	s_and_b64 s[0:1], s[12:13], s[44:45]
	v_cndmask_b32_e64 v43, v38, v43, s[2:3]
	s_and_b64 s[2:3], s[4:5], s[38:39]
	global_store_byte v[18:19], v41, off
	v_cndmask_b32_e64 v3, v38, v3, s[14:15]
	v_cndmask_b32_e64 v18, v42, 0, s[0:1]
	s_and_b64 s[0:1], s[16:17], s[42:43]
	v_cndmask_b32_e64 v43, v43, 0, s[2:3]
	v_cndmask_b32_e64 v3, v3, 0, s[0:1]
	v_add_u32_e32 v40, -4, v40
	v_lshlrev_b16_e32 v19, 8, v43
	v_lshlrev_b16_e32 v3, 8, v3
	v_cmp_eq_u32_e64 s[6:7], 0, v40
	v_lshrrev_b32_e32 v19, 8, v19
	v_or_b32_sdwa v3, v18, v3 dst_sel:DWORD dst_unused:UNUSED_PAD src0_sel:BYTE_0 src1_sel:DWORD
	v_add_u32_e32 v11, 64, v11
	v_add_u32_e32 v10, 64, v10
	;; [unrolled: 1-line block ×5, first 2 shown]
	s_or_b64 s[28:29], s[6:7], s[28:29]
	global_store_byte v[4:5], v19, off
	global_store_byte v[14:15], v3, off
	v_lshrrev_b32_e32 v3, 8, v3
	global_store_byte v[16:17], v3, off
	s_andn2_b64 exec, exec, s[28:29]
	s_cbranch_execnz .LBB20_105
; %bb.106:
	s_or_b64 exec, exec, s[28:29]
	v_cmp_ne_u32_e32 vcc, v21, v22
	v_lshl_add_u32 v2, v22, 4, v2
	s_and_b64 s[0:1], vcc, exec
                                        ; implicit-def: $vgpr25
	s_andn2_saveexec_b64 s[2:3], s[26:27]
	s_cbranch_execz .LBB20_103
.LBB20_107:
	v_lshlrev_b32_e32 v20, 1, v25
	s_or_b64 s[0:1], s[0:1], exec
	s_or_b64 exec, exec, s[2:3]
	s_and_b64 exec, exec, s[0:1]
	s_cbranch_execz .LBB20_118
.LBB20_108:
	v_add_co_u32_e32 v3, vcc, v27, v12
	v_addc_co_u32_e32 v4, vcc, v28, v13, vcc
	v_ashrrev_i32_e32 v5, 31, v2
	v_add_co_u32_e32 v3, vcc, v3, v2
	v_addc_co_u32_e32 v5, vcc, v4, v5, vcc
	v_lshl_add_u32 v1, v2, 1, v20
	v_mov_b32_e32 v6, s21
	v_add_co_u32_e32 v4, vcc, s20, v3
	v_add3_u32 v1, v1, v29, 0
	v_addc_co_u32_e32 v5, vcc, v6, v5, vcc
	s_mov_b64 s[0:1], 0
	v_max_f32_e64 v3, s18, s18
	v_max_f32_e64 v6, s19, s19
	s_mov_b32 s8, 0x43800000
	s_mov_b32 s9, 0x3bffffff
	;; [unrolled: 1-line block ×4, first 2 shown]
	s_movk_i32 s12, 0x80
	s_branch .LBB20_111
.LBB20_109:                             ;   in Loop: Header=BB20_111 Depth=1
	s_or_b64 exec, exec, s[6:7]
.LBB20_110:                             ;   in Loop: Header=BB20_111 Depth=1
	s_or_b64 exec, exec, s[2:3]
	v_add_u32_e32 v2, 16, v2
	v_cmp_ge_i32_e32 vcc, v2, v26
	global_store_byte v[4:5], v9, off
	s_or_b64 s[0:1], vcc, s[0:1]
	v_add_co_u32_e32 v4, vcc, 16, v4
	v_add_u32_e32 v1, 32, v1
	v_addc_co_u32_e32 v5, vcc, 0, v5, vcc
	s_andn2_b64 exec, exec, s[0:1]
	s_cbranch_execz .LBB20_118
.LBB20_111:                             ; =>This Inner Loop Header: Depth=1
	ds_read_u16 v7, v1
	s_waitcnt lgkmcnt(0)
	v_cvt_f32_f16_e32 v7, v7
	v_div_scale_f32 v8, s[2:3], v0, v0, v7
	v_rcp_f32_e32 v9, v8
	v_div_scale_f32 v10, vcc, v7, v0, v7
	v_fma_f32 v11, -v8, v9, 1.0
	v_fmac_f32_e32 v9, v11, v9
	v_mul_f32_e32 v11, v10, v9
	v_fma_f32 v12, -v8, v11, v10
	v_fmac_f32_e32 v11, v12, v9
	v_fma_f32 v8, -v8, v11, v10
	v_div_fmas_f32 v8, v8, v9, v11
	v_div_fixup_f32 v7, v8, v0, v7
	v_max_f32_e32 v7, v7, v3
	v_min_f32_e32 v7, v7, v6
	v_and_b32_e32 v8, 0x7fffffff, v7
	v_cmp_gt_u32_e32 vcc, s8, v8
	v_mov_b32_e32 v9, 0x80
	s_and_saveexec_b64 s[2:3], vcc
	s_cbranch_execz .LBB20_110
; %bb.112:                              ;   in Loop: Header=BB20_111 Depth=1
	v_cmp_lt_u32_e32 vcc, s9, v8
	s_mov_b64 s[4:5], 0
                                        ; implicit-def: $vgpr8
	s_and_saveexec_b64 s[6:7], vcc
	s_xor_b64 s[6:7], exec, s[6:7]
	s_cbranch_execnz .LBB20_115
; %bb.113:                              ;   in Loop: Header=BB20_111 Depth=1
	s_or_saveexec_b64 s[6:7], s[6:7]
                                        ; implicit-def: $sgpr13
	s_xor_b64 exec, exec, s[6:7]
	s_cbranch_execnz .LBB20_116
.LBB20_114:                             ;   in Loop: Header=BB20_111 Depth=1
	s_or_b64 exec, exec, s[6:7]
	v_mov_b32_e32 v9, s13
	s_and_saveexec_b64 s[6:7], s[4:5]
	s_cbranch_execz .LBB20_109
	s_branch .LBB20_117
.LBB20_115:                             ;   in Loop: Header=BB20_111 Depth=1
	v_bfe_u32 v8, v7, 20, 1
	v_add3_u32 v8, v7, v8, s10
	s_mov_b64 s[4:5], exec
	v_lshrrev_b32_e32 v8, 20, v8
	s_or_saveexec_b64 s[6:7], s[6:7]
                                        ; implicit-def: $sgpr13
	s_xor_b64 exec, exec, s[6:7]
	s_cbranch_execz .LBB20_114
.LBB20_116:                             ;   in Loop: Header=BB20_111 Depth=1
	v_add_f32_e64 v8, |v7|, s11
	v_and_b32_e32 v8, 0xff, v8
	v_cmp_ne_u32_e32 vcc, 0, v8
	s_andn2_b64 s[4:5], s[4:5], exec
	s_and_b64 s[14:15], vcc, exec
	s_mov_b32 s13, 0
	s_or_b64 s[4:5], s[4:5], s[14:15]
	s_or_b64 exec, exec, s[6:7]
	v_mov_b32_e32 v9, s13
	s_and_saveexec_b64 s[6:7], s[4:5]
	s_cbranch_execz .LBB20_109
.LBB20_117:                             ;   in Loop: Header=BB20_111 Depth=1
	v_lshrrev_b32_e32 v7, 24, v7
	v_and_or_b32 v9, v7, s12, v8
	s_branch .LBB20_109
.LBB20_118:
	s_or_b64 exec, exec, s[24:25]
                                        ; implicit-def: $vgpr24
                                        ; implicit-def: $vgpr0
                                        ; implicit-def: $vgpr25
                                        ; implicit-def: $vgpr12_vgpr13
.LBB20_119:
	s_andn2_saveexec_b64 s[0:1], s[22:23]
	s_cbranch_execz .LBB20_187
; %bb.120:
	s_ashr_i32 s10, s31, 3
	v_cmp_gt_i32_e32 vcc, s10, v24
	s_and_saveexec_b64 s[0:1], vcc
	s_cbranch_execz .LBB20_187
; %bb.121:
	v_lshlrev_b32_e32 v1, 1, v25
	v_lshlrev_b32_e32 v2, 4, v24
	v_add3_u32 v1, v1, v2, 0
	v_lshlrev_b32_e32 v2, 3, v24
	v_add_co_u32_e32 v2, vcc, v12, v2
	v_addc_co_u32_e32 v3, vcc, 0, v13, vcc
	v_mov_b32_e32 v4, s21
	v_add_co_u32_e32 v6, vcc, s20, v2
	v_addc_co_u32_e32 v7, vcc, v4, v3, vcc
	s_mov_b64 s[2:3], 0
	v_max_f32_e64 v22, s18, s18
	v_max_f32_e64 v23, s19, s19
	s_mov_b32 s11, 0x43800000
	s_mov_b32 s12, 0x3bffffff
	;; [unrolled: 1-line block ×4, first 2 shown]
	s_movk_i32 s15, 0x80
	s_mov_b32 s16, 0xff00
	s_mov_b32 s17, 0x4020c0c
	s_branch .LBB20_124
.LBB20_122:                             ;   in Loop: Header=BB20_124 Depth=1
	s_or_b64 exec, exec, s[6:7]
.LBB20_123:                             ;   in Loop: Header=BB20_124 Depth=1
	s_or_b64 exec, exec, s[0:1]
	v_lshlrev_b32_e32 v4, 16, v20
	v_lshlrev_b32_e32 v3, 24, v18
	v_and_b32_e32 v4, 0xff0000, v4
	v_lshlrev_b32_e32 v2, 8, v2
	v_or_b32_e32 v3, v3, v4
	v_and_b32_e32 v2, 0xff00, v2
	v_and_b32_e32 v4, 0xff, v16
	v_or3_b32 v3, v3, v2, v4
	v_lshlrev_b32_e32 v2, 16, v14
	v_lshlrev_b32_e32 v4, 8, v8
	v_perm_b32 v2, v12, v2, s17
	v_and_or_b32 v2, v4, s16, v2
	v_or_b32_sdwa v2, v2, v10 dst_sel:DWORD dst_unused:UNUSED_PAD src0_sel:DWORD src1_sel:BYTE_0
	v_add_u32_e32 v24, 16, v24
	global_store_dwordx2 v[6:7], v[2:3], off
	v_add_co_u32_e32 v6, vcc, 0x80, v6
	v_cmp_le_i32_e64 s[0:1], s10, v24
	v_add_u32_e32 v1, 0x100, v1
	s_or_b64 s[2:3], s[0:1], s[2:3]
	v_addc_co_u32_e32 v7, vcc, 0, v7, vcc
	s_andn2_b64 exec, exec, s[2:3]
	s_cbranch_execz .LBB20_187
.LBB20_124:                             ; =>This Inner Loop Header: Depth=1
	ds_read_b128 v[2:5], v1
	v_mov_b32_e32 v8, 0x80
	v_mov_b32_e32 v9, 0
	s_waitcnt lgkmcnt(0)
	v_cvt_f32_f16_e32 v10, v2
	v_div_scale_f32 v11, s[0:1], v0, v0, v10
	v_rcp_f32_e32 v12, v11
	v_div_scale_f32 v13, vcc, v10, v0, v10
	v_fma_f32 v14, -v11, v12, 1.0
	v_fmac_f32_e32 v12, v14, v12
	v_mul_f32_e32 v14, v13, v12
	v_fma_f32 v15, -v11, v14, v13
	v_fmac_f32_e32 v14, v15, v12
	v_fma_f32 v11, -v11, v14, v13
	v_div_fmas_f32 v11, v11, v12, v14
	v_div_fixup_f32 v10, v11, v0, v10
	v_max_f32_e32 v10, v10, v22
	v_min_f32_e32 v12, v10, v23
	v_and_b32_e32 v13, 0x7fffffff, v12
	v_cmp_gt_u32_e32 vcc, s11, v13
	v_pk_mov_b32 v[10:11], v[8:9], v[8:9] op_sel:[0,1]
	s_and_saveexec_b64 s[0:1], vcc
	s_cbranch_execz .LBB20_130
; %bb.125:                              ;   in Loop: Header=BB20_124 Depth=1
	v_cmp_lt_u32_e32 vcc, s12, v13
	s_mov_b64 s[4:5], 0
                                        ; implicit-def: $vgpr9
	s_and_saveexec_b64 s[6:7], vcc
	s_xor_b64 s[6:7], exec, s[6:7]
	s_cbranch_execnz .LBB20_170
; %bb.126:                              ;   in Loop: Header=BB20_124 Depth=1
	s_or_saveexec_b64 s[6:7], s[6:7]
                                        ; implicit-def: $sgpr8_sgpr9
	s_xor_b64 exec, exec, s[6:7]
	s_cbranch_execnz .LBB20_171
.LBB20_127:                             ;   in Loop: Header=BB20_124 Depth=1
	s_or_b64 exec, exec, s[6:7]
	v_pk_mov_b32 v[10:11], s[8:9], s[8:9] op_sel:[0,1]
	s_and_saveexec_b64 s[6:7], s[4:5]
.LBB20_128:                             ;   in Loop: Header=BB20_124 Depth=1
	v_lshrrev_b32_e32 v10, 24, v12
	v_and_or_b32 v10, v10, s15, v9
.LBB20_129:                             ;   in Loop: Header=BB20_124 Depth=1
	s_or_b64 exec, exec, s[6:7]
.LBB20_130:                             ;   in Loop: Header=BB20_124 Depth=1
	s_or_b64 exec, exec, s[0:1]
	v_cvt_f32_f16_sdwa v2, v2 dst_sel:DWORD dst_unused:UNUSED_PAD src0_sel:WORD_1
	v_div_scale_f32 v9, s[0:1], v0, v0, v2
	v_rcp_f32_e32 v11, v9
	v_div_scale_f32 v12, vcc, v2, v0, v2
	v_fma_f32 v13, -v9, v11, 1.0
	v_fmac_f32_e32 v11, v13, v11
	v_mul_f32_e32 v13, v12, v11
	v_fma_f32 v14, -v9, v13, v12
	v_fmac_f32_e32 v13, v14, v11
	v_fma_f32 v9, -v9, v13, v12
	v_div_fmas_f32 v9, v9, v11, v13
	v_div_fixup_f32 v2, v9, v0, v2
	v_max_f32_e32 v2, v2, v22
	v_min_f32_e32 v2, v2, v23
	v_and_b32_e32 v9, 0x7fffffff, v2
	v_cmp_gt_u32_e32 vcc, s11, v9
	s_and_saveexec_b64 s[0:1], vcc
	s_cbranch_execz .LBB20_136
; %bb.131:                              ;   in Loop: Header=BB20_124 Depth=1
	v_cmp_lt_u32_e32 vcc, s12, v9
	s_mov_b64 s[4:5], 0
                                        ; implicit-def: $vgpr11
	s_and_saveexec_b64 s[6:7], vcc
	s_xor_b64 s[6:7], exec, s[6:7]
	s_cbranch_execnz .LBB20_172
; %bb.132:                              ;   in Loop: Header=BB20_124 Depth=1
	s_or_saveexec_b64 s[6:7], s[6:7]
                                        ; implicit-def: $sgpr8_sgpr9
	s_xor_b64 exec, exec, s[6:7]
	s_cbranch_execnz .LBB20_173
.LBB20_133:                             ;   in Loop: Header=BB20_124 Depth=1
	s_or_b64 exec, exec, s[6:7]
	v_pk_mov_b32 v[8:9], s[8:9], s[8:9] op_sel:[0,1]
	s_and_saveexec_b64 s[6:7], s[4:5]
.LBB20_134:                             ;   in Loop: Header=BB20_124 Depth=1
	v_lshrrev_b32_e32 v2, 24, v2
	v_and_or_b32 v8, v2, s15, v11
.LBB20_135:                             ;   in Loop: Header=BB20_124 Depth=1
	s_or_b64 exec, exec, s[6:7]
.LBB20_136:                             ;   in Loop: Header=BB20_124 Depth=1
	s_or_b64 exec, exec, s[0:1]
	v_cvt_f32_f16_e32 v2, v3
	v_mov_b32_e32 v12, 0x80
	v_mov_b32_e32 v13, 0
	v_div_scale_f32 v9, s[0:1], v0, v0, v2
	v_rcp_f32_e32 v11, v9
	v_div_scale_f32 v14, vcc, v2, v0, v2
	v_fma_f32 v15, -v9, v11, 1.0
	v_fmac_f32_e32 v11, v15, v11
	v_mul_f32_e32 v15, v14, v11
	v_fma_f32 v16, -v9, v15, v14
	v_fmac_f32_e32 v15, v16, v11
	v_fma_f32 v9, -v9, v15, v14
	v_div_fmas_f32 v9, v9, v11, v15
	v_div_fixup_f32 v2, v9, v0, v2
	v_max_f32_e32 v2, v2, v22
	v_min_f32_e32 v2, v2, v23
	v_and_b32_e32 v9, 0x7fffffff, v2
	v_cmp_gt_u32_e32 vcc, s11, v9
	v_pk_mov_b32 v[14:15], v[12:13], v[12:13] op_sel:[0,1]
	s_and_saveexec_b64 s[0:1], vcc
	s_cbranch_execz .LBB20_142
; %bb.137:                              ;   in Loop: Header=BB20_124 Depth=1
	v_cmp_lt_u32_e32 vcc, s12, v9
	s_mov_b64 s[4:5], 0
                                        ; implicit-def: $vgpr9
	s_and_saveexec_b64 s[6:7], vcc
	s_xor_b64 s[6:7], exec, s[6:7]
	s_cbranch_execnz .LBB20_174
; %bb.138:                              ;   in Loop: Header=BB20_124 Depth=1
	s_or_saveexec_b64 s[6:7], s[6:7]
                                        ; implicit-def: $sgpr8_sgpr9
	s_xor_b64 exec, exec, s[6:7]
	s_cbranch_execnz .LBB20_175
.LBB20_139:                             ;   in Loop: Header=BB20_124 Depth=1
	s_or_b64 exec, exec, s[6:7]
	v_pk_mov_b32 v[14:15], s[8:9], s[8:9] op_sel:[0,1]
	s_and_saveexec_b64 s[6:7], s[4:5]
.LBB20_140:                             ;   in Loop: Header=BB20_124 Depth=1
	v_lshrrev_b32_e32 v2, 24, v2
	v_and_or_b32 v14, v2, s15, v9
.LBB20_141:                             ;   in Loop: Header=BB20_124 Depth=1
	s_or_b64 exec, exec, s[6:7]
.LBB20_142:                             ;   in Loop: Header=BB20_124 Depth=1
	s_or_b64 exec, exec, s[0:1]
	v_cvt_f32_f16_sdwa v2, v3 dst_sel:DWORD dst_unused:UNUSED_PAD src0_sel:WORD_1
	v_div_scale_f32 v3, s[0:1], v0, v0, v2
	v_rcp_f32_e32 v9, v3
	v_div_scale_f32 v11, vcc, v2, v0, v2
	v_fma_f32 v13, -v3, v9, 1.0
	v_fmac_f32_e32 v9, v13, v9
	v_mul_f32_e32 v13, v11, v9
	v_fma_f32 v15, -v3, v13, v11
	v_fmac_f32_e32 v13, v15, v9
	v_fma_f32 v3, -v3, v13, v11
	v_div_fmas_f32 v3, v3, v9, v13
	v_div_fixup_f32 v2, v3, v0, v2
	v_max_f32_e32 v2, v2, v22
	v_min_f32_e32 v2, v2, v23
	v_and_b32_e32 v3, 0x7fffffff, v2
	v_cmp_gt_u32_e32 vcc, s11, v3
	s_and_saveexec_b64 s[0:1], vcc
	s_cbranch_execz .LBB20_148
; %bb.143:                              ;   in Loop: Header=BB20_124 Depth=1
	v_cmp_lt_u32_e32 vcc, s12, v3
	s_mov_b64 s[4:5], 0
                                        ; implicit-def: $vgpr3
	s_and_saveexec_b64 s[6:7], vcc
	s_xor_b64 s[6:7], exec, s[6:7]
	s_cbranch_execnz .LBB20_176
; %bb.144:                              ;   in Loop: Header=BB20_124 Depth=1
	s_or_saveexec_b64 s[6:7], s[6:7]
                                        ; implicit-def: $sgpr8_sgpr9
	s_xor_b64 exec, exec, s[6:7]
	s_cbranch_execnz .LBB20_177
.LBB20_145:                             ;   in Loop: Header=BB20_124 Depth=1
	s_or_b64 exec, exec, s[6:7]
	v_pk_mov_b32 v[12:13], s[8:9], s[8:9] op_sel:[0,1]
	s_and_saveexec_b64 s[6:7], s[4:5]
.LBB20_146:                             ;   in Loop: Header=BB20_124 Depth=1
	v_lshrrev_b32_e32 v2, 24, v2
	v_and_or_b32 v12, v2, s15, v3
.LBB20_147:                             ;   in Loop: Header=BB20_124 Depth=1
	s_or_b64 exec, exec, s[6:7]
.LBB20_148:                             ;   in Loop: Header=BB20_124 Depth=1
	s_or_b64 exec, exec, s[0:1]
	v_cvt_f32_f16_e32 v9, v4
	v_mov_b32_e32 v2, 0x80
	v_mov_b32_e32 v3, 0
	v_div_scale_f32 v11, s[0:1], v0, v0, v9
	v_rcp_f32_e32 v13, v11
	v_div_scale_f32 v15, vcc, v9, v0, v9
	v_fma_f32 v16, -v11, v13, 1.0
	v_fmac_f32_e32 v13, v16, v13
	v_mul_f32_e32 v16, v15, v13
	v_fma_f32 v17, -v11, v16, v15
	v_fmac_f32_e32 v16, v17, v13
	v_fma_f32 v11, -v11, v16, v15
	v_div_fmas_f32 v11, v11, v13, v16
	v_div_fixup_f32 v9, v11, v0, v9
	v_max_f32_e32 v9, v9, v22
	v_min_f32_e32 v9, v9, v23
	v_and_b32_e32 v11, 0x7fffffff, v9
	v_cmp_gt_u32_e32 vcc, s11, v11
	v_pk_mov_b32 v[16:17], v[2:3], v[2:3] op_sel:[0,1]
	s_and_saveexec_b64 s[0:1], vcc
	s_cbranch_execz .LBB20_154
; %bb.149:                              ;   in Loop: Header=BB20_124 Depth=1
	v_cmp_lt_u32_e32 vcc, s12, v11
	s_mov_b64 s[4:5], 0
                                        ; implicit-def: $vgpr3
	s_and_saveexec_b64 s[6:7], vcc
	s_xor_b64 s[6:7], exec, s[6:7]
	s_cbranch_execnz .LBB20_178
; %bb.150:                              ;   in Loop: Header=BB20_124 Depth=1
	s_or_saveexec_b64 s[6:7], s[6:7]
                                        ; implicit-def: $sgpr8_sgpr9
	s_xor_b64 exec, exec, s[6:7]
	s_cbranch_execnz .LBB20_179
.LBB20_151:                             ;   in Loop: Header=BB20_124 Depth=1
	s_or_b64 exec, exec, s[6:7]
	v_pk_mov_b32 v[16:17], s[8:9], s[8:9] op_sel:[0,1]
	s_and_saveexec_b64 s[6:7], s[4:5]
.LBB20_152:                             ;   in Loop: Header=BB20_124 Depth=1
	v_lshrrev_b32_e32 v9, 24, v9
	v_and_or_b32 v16, v9, s15, v3
.LBB20_153:                             ;   in Loop: Header=BB20_124 Depth=1
	s_or_b64 exec, exec, s[6:7]
.LBB20_154:                             ;   in Loop: Header=BB20_124 Depth=1
	s_or_b64 exec, exec, s[0:1]
	v_cvt_f32_f16_sdwa v3, v4 dst_sel:DWORD dst_unused:UNUSED_PAD src0_sel:WORD_1
	v_div_scale_f32 v4, s[0:1], v0, v0, v3
	v_rcp_f32_e32 v9, v4
	v_div_scale_f32 v11, vcc, v3, v0, v3
	v_fma_f32 v13, -v4, v9, 1.0
	v_fmac_f32_e32 v9, v13, v9
	v_mul_f32_e32 v13, v11, v9
	v_fma_f32 v15, -v4, v13, v11
	v_fmac_f32_e32 v13, v15, v9
	v_fma_f32 v4, -v4, v13, v11
	v_div_fmas_f32 v4, v4, v9, v13
	v_div_fixup_f32 v3, v4, v0, v3
	v_max_f32_e32 v3, v3, v22
	v_min_f32_e32 v4, v3, v23
	v_and_b32_e32 v3, 0x7fffffff, v4
	v_cmp_gt_u32_e32 vcc, s11, v3
	s_and_saveexec_b64 s[0:1], vcc
	s_cbranch_execz .LBB20_160
; %bb.155:                              ;   in Loop: Header=BB20_124 Depth=1
	v_cmp_lt_u32_e32 vcc, s12, v3
	s_mov_b64 s[4:5], 0
                                        ; implicit-def: $vgpr9
	s_and_saveexec_b64 s[6:7], vcc
	s_xor_b64 s[6:7], exec, s[6:7]
	s_cbranch_execnz .LBB20_180
; %bb.156:                              ;   in Loop: Header=BB20_124 Depth=1
	s_or_saveexec_b64 s[6:7], s[6:7]
                                        ; implicit-def: $sgpr8_sgpr9
	s_xor_b64 exec, exec, s[6:7]
	s_cbranch_execnz .LBB20_181
.LBB20_157:                             ;   in Loop: Header=BB20_124 Depth=1
	s_or_b64 exec, exec, s[6:7]
	v_pk_mov_b32 v[2:3], s[8:9], s[8:9] op_sel:[0,1]
	s_and_saveexec_b64 s[6:7], s[4:5]
.LBB20_158:                             ;   in Loop: Header=BB20_124 Depth=1
	v_lshrrev_b32_e32 v2, 24, v4
	v_and_or_b32 v2, v2, s15, v9
.LBB20_159:                             ;   in Loop: Header=BB20_124 Depth=1
	s_or_b64 exec, exec, s[6:7]
.LBB20_160:                             ;   in Loop: Header=BB20_124 Depth=1
	s_or_b64 exec, exec, s[0:1]
	v_cvt_f32_f16_e32 v3, v5
	v_mov_b32_e32 v18, 0x80
	v_mov_b32_e32 v19, 0
	v_pk_mov_b32 v[20:21], v[18:19], v[18:19] op_sel:[0,1]
	v_div_scale_f32 v4, s[0:1], v0, v0, v3
	v_rcp_f32_e32 v9, v4
	v_div_scale_f32 v11, vcc, v3, v0, v3
	v_fma_f32 v13, -v4, v9, 1.0
	v_fmac_f32_e32 v9, v13, v9
	v_mul_f32_e32 v13, v11, v9
	v_fma_f32 v15, -v4, v13, v11
	v_fmac_f32_e32 v13, v15, v9
	v_fma_f32 v4, -v4, v13, v11
	v_div_fmas_f32 v4, v4, v9, v13
	v_div_fixup_f32 v3, v4, v0, v3
	v_max_f32_e32 v3, v3, v22
	v_min_f32_e32 v3, v3, v23
	v_and_b32_e32 v4, 0x7fffffff, v3
	v_cmp_gt_u32_e32 vcc, s11, v4
	s_and_saveexec_b64 s[0:1], vcc
	s_cbranch_execz .LBB20_166
; %bb.161:                              ;   in Loop: Header=BB20_124 Depth=1
	v_cmp_lt_u32_e32 vcc, s12, v4
	s_mov_b64 s[4:5], 0
                                        ; implicit-def: $vgpr4
	s_and_saveexec_b64 s[6:7], vcc
	s_xor_b64 s[6:7], exec, s[6:7]
	s_cbranch_execnz .LBB20_182
; %bb.162:                              ;   in Loop: Header=BB20_124 Depth=1
	s_or_saveexec_b64 s[6:7], s[6:7]
                                        ; implicit-def: $sgpr8_sgpr9
	s_xor_b64 exec, exec, s[6:7]
	s_cbranch_execnz .LBB20_183
.LBB20_163:                             ;   in Loop: Header=BB20_124 Depth=1
	s_or_b64 exec, exec, s[6:7]
	v_pk_mov_b32 v[20:21], s[8:9], s[8:9] op_sel:[0,1]
	s_and_saveexec_b64 s[6:7], s[4:5]
.LBB20_164:                             ;   in Loop: Header=BB20_124 Depth=1
	v_lshrrev_b32_e32 v3, 24, v3
	v_and_or_b32 v20, v3, s15, v4
.LBB20_165:                             ;   in Loop: Header=BB20_124 Depth=1
	s_or_b64 exec, exec, s[6:7]
.LBB20_166:                             ;   in Loop: Header=BB20_124 Depth=1
	s_or_b64 exec, exec, s[0:1]
	v_cvt_f32_f16_sdwa v3, v5 dst_sel:DWORD dst_unused:UNUSED_PAD src0_sel:WORD_1
	v_div_scale_f32 v4, s[0:1], v0, v0, v3
	v_rcp_f32_e32 v5, v4
	v_div_scale_f32 v9, vcc, v3, v0, v3
	v_fma_f32 v11, -v4, v5, 1.0
	v_fmac_f32_e32 v5, v11, v5
	v_mul_f32_e32 v11, v9, v5
	v_fma_f32 v13, -v4, v11, v9
	v_fmac_f32_e32 v11, v13, v5
	v_fma_f32 v4, -v4, v11, v9
	v_div_fmas_f32 v4, v4, v5, v11
	v_div_fixup_f32 v3, v4, v0, v3
	v_max_f32_e32 v3, v3, v22
	v_min_f32_e32 v3, v3, v23
	v_and_b32_e32 v4, 0x7fffffff, v3
	v_cmp_gt_u32_e32 vcc, s11, v4
	s_and_saveexec_b64 s[0:1], vcc
	s_cbranch_execz .LBB20_123
; %bb.167:                              ;   in Loop: Header=BB20_124 Depth=1
	v_cmp_lt_u32_e32 vcc, s12, v4
	s_mov_b64 s[4:5], 0
                                        ; implicit-def: $vgpr4
	s_and_saveexec_b64 s[6:7], vcc
	s_xor_b64 s[6:7], exec, s[6:7]
	s_cbranch_execnz .LBB20_184
; %bb.168:                              ;   in Loop: Header=BB20_124 Depth=1
	s_or_saveexec_b64 s[6:7], s[6:7]
                                        ; implicit-def: $sgpr8_sgpr9
	s_xor_b64 exec, exec, s[6:7]
	s_cbranch_execnz .LBB20_185
.LBB20_169:                             ;   in Loop: Header=BB20_124 Depth=1
	s_or_b64 exec, exec, s[6:7]
	v_pk_mov_b32 v[18:19], s[8:9], s[8:9] op_sel:[0,1]
	s_and_saveexec_b64 s[6:7], s[4:5]
	s_cbranch_execz .LBB20_122
	s_branch .LBB20_186
.LBB20_170:                             ;   in Loop: Header=BB20_124 Depth=1
	v_bfe_u32 v9, v12, 20, 1
	v_add3_u32 v9, v12, v9, s13
	s_mov_b64 s[4:5], exec
	v_lshrrev_b32_e32 v9, 20, v9
	s_or_saveexec_b64 s[6:7], s[6:7]
                                        ; implicit-def: $sgpr8_sgpr9
	s_xor_b64 exec, exec, s[6:7]
	s_cbranch_execz .LBB20_127
.LBB20_171:                             ;   in Loop: Header=BB20_124 Depth=1
	v_add_f32_e64 v9, |v12|, s14
	v_and_b32_e32 v9, 0xff, v9
	v_cmp_ne_u32_e32 vcc, 0, v9
	s_andn2_b64 s[4:5], s[4:5], exec
	s_and_b64 s[18:19], vcc, exec
	s_mov_b64 s[8:9], 0
	s_or_b64 s[4:5], s[4:5], s[18:19]
	s_or_b64 exec, exec, s[6:7]
	v_pk_mov_b32 v[10:11], s[8:9], s[8:9] op_sel:[0,1]
	s_and_saveexec_b64 s[6:7], s[4:5]
	s_cbranch_execnz .LBB20_128
	s_branch .LBB20_129
.LBB20_172:                             ;   in Loop: Header=BB20_124 Depth=1
	v_bfe_u32 v8, v2, 20, 1
	v_add3_u32 v8, v2, v8, s13
	s_mov_b64 s[4:5], exec
	v_lshrrev_b32_e32 v11, 20, v8
	s_or_saveexec_b64 s[6:7], s[6:7]
                                        ; implicit-def: $sgpr8_sgpr9
	s_xor_b64 exec, exec, s[6:7]
	s_cbranch_execz .LBB20_133
.LBB20_173:                             ;   in Loop: Header=BB20_124 Depth=1
	v_add_f32_e64 v8, |v2|, s14
	v_and_b32_e32 v11, 0xff, v8
	v_cmp_ne_u32_e32 vcc, 0, v11
	s_andn2_b64 s[4:5], s[4:5], exec
	s_and_b64 s[18:19], vcc, exec
	s_mov_b64 s[8:9], 0
	s_or_b64 s[4:5], s[4:5], s[18:19]
	s_or_b64 exec, exec, s[6:7]
	v_pk_mov_b32 v[8:9], s[8:9], s[8:9] op_sel:[0,1]
	s_and_saveexec_b64 s[6:7], s[4:5]
	s_cbranch_execnz .LBB20_134
	s_branch .LBB20_135
.LBB20_174:                             ;   in Loop: Header=BB20_124 Depth=1
	v_bfe_u32 v9, v2, 20, 1
	v_add3_u32 v9, v2, v9, s13
	s_mov_b64 s[4:5], exec
	v_lshrrev_b32_e32 v9, 20, v9
	s_or_saveexec_b64 s[6:7], s[6:7]
                                        ; implicit-def: $sgpr8_sgpr9
	s_xor_b64 exec, exec, s[6:7]
	s_cbranch_execz .LBB20_139
.LBB20_175:                             ;   in Loop: Header=BB20_124 Depth=1
	v_add_f32_e64 v9, |v2|, s14
	v_and_b32_e32 v9, 0xff, v9
	v_cmp_ne_u32_e32 vcc, 0, v9
	s_andn2_b64 s[4:5], s[4:5], exec
	s_and_b64 s[18:19], vcc, exec
	s_mov_b64 s[8:9], 0
	s_or_b64 s[4:5], s[4:5], s[18:19]
	s_or_b64 exec, exec, s[6:7]
	v_pk_mov_b32 v[14:15], s[8:9], s[8:9] op_sel:[0,1]
	s_and_saveexec_b64 s[6:7], s[4:5]
	s_cbranch_execnz .LBB20_140
	s_branch .LBB20_141
.LBB20_176:                             ;   in Loop: Header=BB20_124 Depth=1
	v_bfe_u32 v3, v2, 20, 1
	v_add3_u32 v3, v2, v3, s13
	s_mov_b64 s[4:5], exec
	v_lshrrev_b32_e32 v3, 20, v3
	s_or_saveexec_b64 s[6:7], s[6:7]
                                        ; implicit-def: $sgpr8_sgpr9
	s_xor_b64 exec, exec, s[6:7]
	s_cbranch_execz .LBB20_145
.LBB20_177:                             ;   in Loop: Header=BB20_124 Depth=1
	v_add_f32_e64 v3, |v2|, s14
	v_and_b32_e32 v3, 0xff, v3
	v_cmp_ne_u32_e32 vcc, 0, v3
	s_andn2_b64 s[4:5], s[4:5], exec
	s_and_b64 s[18:19], vcc, exec
	s_mov_b64 s[8:9], 0
	s_or_b64 s[4:5], s[4:5], s[18:19]
	s_or_b64 exec, exec, s[6:7]
	v_pk_mov_b32 v[12:13], s[8:9], s[8:9] op_sel:[0,1]
	s_and_saveexec_b64 s[6:7], s[4:5]
	s_cbranch_execnz .LBB20_146
	s_branch .LBB20_147
.LBB20_178:                             ;   in Loop: Header=BB20_124 Depth=1
	v_bfe_u32 v3, v9, 20, 1
	v_add3_u32 v3, v9, v3, s13
	s_mov_b64 s[4:5], exec
	v_lshrrev_b32_e32 v3, 20, v3
	s_or_saveexec_b64 s[6:7], s[6:7]
                                        ; implicit-def: $sgpr8_sgpr9
	s_xor_b64 exec, exec, s[6:7]
	s_cbranch_execz .LBB20_151
.LBB20_179:                             ;   in Loop: Header=BB20_124 Depth=1
	v_add_f32_e64 v3, |v9|, s14
	v_and_b32_e32 v3, 0xff, v3
	v_cmp_ne_u32_e32 vcc, 0, v3
	s_andn2_b64 s[4:5], s[4:5], exec
	s_and_b64 s[18:19], vcc, exec
	s_mov_b64 s[8:9], 0
	s_or_b64 s[4:5], s[4:5], s[18:19]
	s_or_b64 exec, exec, s[6:7]
	v_pk_mov_b32 v[16:17], s[8:9], s[8:9] op_sel:[0,1]
	s_and_saveexec_b64 s[6:7], s[4:5]
	s_cbranch_execnz .LBB20_152
	s_branch .LBB20_153
.LBB20_180:                             ;   in Loop: Header=BB20_124 Depth=1
	v_bfe_u32 v2, v4, 20, 1
	v_add3_u32 v2, v4, v2, s13
	s_mov_b64 s[4:5], exec
	v_lshrrev_b32_e32 v9, 20, v2
	s_or_saveexec_b64 s[6:7], s[6:7]
                                        ; implicit-def: $sgpr8_sgpr9
	s_xor_b64 exec, exec, s[6:7]
	s_cbranch_execz .LBB20_157
.LBB20_181:                             ;   in Loop: Header=BB20_124 Depth=1
	v_add_f32_e64 v2, |v4|, s14
	v_and_b32_e32 v9, 0xff, v2
	v_cmp_ne_u32_e32 vcc, 0, v9
	s_andn2_b64 s[4:5], s[4:5], exec
	s_and_b64 s[18:19], vcc, exec
	s_mov_b64 s[8:9], 0
	s_or_b64 s[4:5], s[4:5], s[18:19]
	s_or_b64 exec, exec, s[6:7]
	v_pk_mov_b32 v[2:3], s[8:9], s[8:9] op_sel:[0,1]
	s_and_saveexec_b64 s[6:7], s[4:5]
	s_cbranch_execnz .LBB20_158
	s_branch .LBB20_159
.LBB20_182:                             ;   in Loop: Header=BB20_124 Depth=1
	v_bfe_u32 v4, v3, 20, 1
	v_add3_u32 v4, v3, v4, s13
	s_mov_b64 s[4:5], exec
	v_lshrrev_b32_e32 v4, 20, v4
	s_or_saveexec_b64 s[6:7], s[6:7]
                                        ; implicit-def: $sgpr8_sgpr9
	s_xor_b64 exec, exec, s[6:7]
	s_cbranch_execz .LBB20_163
.LBB20_183:                             ;   in Loop: Header=BB20_124 Depth=1
	v_add_f32_e64 v4, |v3|, s14
	v_and_b32_e32 v4, 0xff, v4
	v_cmp_ne_u32_e32 vcc, 0, v4
	s_andn2_b64 s[4:5], s[4:5], exec
	s_and_b64 s[18:19], vcc, exec
	s_mov_b64 s[8:9], 0
	s_or_b64 s[4:5], s[4:5], s[18:19]
	s_or_b64 exec, exec, s[6:7]
	v_pk_mov_b32 v[20:21], s[8:9], s[8:9] op_sel:[0,1]
	s_and_saveexec_b64 s[6:7], s[4:5]
	s_cbranch_execnz .LBB20_164
	s_branch .LBB20_165
.LBB20_184:                             ;   in Loop: Header=BB20_124 Depth=1
	v_bfe_u32 v4, v3, 20, 1
	v_add3_u32 v4, v3, v4, s13
	s_mov_b64 s[4:5], exec
	v_lshrrev_b32_e32 v4, 20, v4
	s_or_saveexec_b64 s[6:7], s[6:7]
                                        ; implicit-def: $sgpr8_sgpr9
	s_xor_b64 exec, exec, s[6:7]
	s_cbranch_execz .LBB20_169
.LBB20_185:                             ;   in Loop: Header=BB20_124 Depth=1
	v_add_f32_e64 v4, |v3|, s14
	v_and_b32_e32 v4, 0xff, v4
	v_cmp_ne_u32_e32 vcc, 0, v4
	s_andn2_b64 s[4:5], s[4:5], exec
	s_and_b64 s[18:19], vcc, exec
	s_mov_b64 s[8:9], 0
	s_or_b64 s[4:5], s[4:5], s[18:19]
	s_or_b64 exec, exec, s[6:7]
	v_pk_mov_b32 v[18:19], s[8:9], s[8:9] op_sel:[0,1]
	s_and_saveexec_b64 s[6:7], s[4:5]
	s_cbranch_execz .LBB20_122
.LBB20_186:                             ;   in Loop: Header=BB20_124 Depth=1
	v_lshrrev_b32_e32 v3, 24, v3
	v_and_or_b32 v18, v3, s15, v4
	s_branch .LBB20_122
.LBB20_187:
	s_endpgm
.LBB20_188:
	v_bfe_u32 v3, v2, 20, 1
	s_mov_b32 s8, 0x487ffff
	v_add3_u32 v3, v2, v3, s8
	s_mov_b64 s[4:5], exec
	v_lshrrev_b32_e32 v3, 20, v3
	s_or_saveexec_b64 s[6:7], s[6:7]
                                        ; implicit-def: $sgpr8
	s_xor_b64 exec, exec, s[6:7]
	s_cbranch_execz .LBB20_29
.LBB20_189:
	s_mov_b32 s8, 0x46000000
	v_add_f32_e64 v3, |v2|, s8
	v_and_b32_e32 v3, 0xff, v3
	v_cmp_ne_u32_e32 vcc, 0, v3
	s_andn2_b64 s[4:5], s[4:5], exec
	s_and_b64 s[10:11], vcc, exec
	s_mov_b32 s8, 0
	s_or_b64 s[4:5], s[4:5], s[10:11]
	s_or_b64 exec, exec, s[6:7]
	v_mov_b32_e32 v4, s8
	s_and_saveexec_b64 s[6:7], s[4:5]
	s_cbranch_execnz .LBB20_30
	s_branch .LBB20_31
	.section	.rodata,"a",@progbits
	.p2align	6, 0x0
	.amdhsa_kernel _Z33per_token_group_quant_8bit_kernelIN3c104HalfENS0_15Float8_e4m3fnuzELb1ELb1EfEvPKT_PvPT3_iiifffii
		.amdhsa_group_segment_fixed_size 0
		.amdhsa_private_segment_fixed_size 0
		.amdhsa_kernarg_size 56
		.amdhsa_user_sgpr_count 6
		.amdhsa_user_sgpr_private_segment_buffer 1
		.amdhsa_user_sgpr_dispatch_ptr 0
		.amdhsa_user_sgpr_queue_ptr 0
		.amdhsa_user_sgpr_kernarg_segment_ptr 1
		.amdhsa_user_sgpr_dispatch_id 0
		.amdhsa_user_sgpr_flat_scratch_init 0
		.amdhsa_user_sgpr_kernarg_preload_length 0
		.amdhsa_user_sgpr_kernarg_preload_offset 0
		.amdhsa_user_sgpr_private_segment_size 0
		.amdhsa_uses_dynamic_stack 0
		.amdhsa_system_sgpr_private_segment_wavefront_offset 0
		.amdhsa_system_sgpr_workgroup_id_x 1
		.amdhsa_system_sgpr_workgroup_id_y 0
		.amdhsa_system_sgpr_workgroup_id_z 0
		.amdhsa_system_sgpr_workgroup_info 0
		.amdhsa_system_vgpr_workitem_id 0
		.amdhsa_next_free_vgpr 61
		.amdhsa_next_free_sgpr 46
		.amdhsa_accum_offset 64
		.amdhsa_reserve_vcc 1
		.amdhsa_reserve_flat_scratch 0
		.amdhsa_float_round_mode_32 0
		.amdhsa_float_round_mode_16_64 0
		.amdhsa_float_denorm_mode_32 3
		.amdhsa_float_denorm_mode_16_64 3
		.amdhsa_dx10_clamp 1
		.amdhsa_ieee_mode 1
		.amdhsa_fp16_overflow 0
		.amdhsa_tg_split 0
		.amdhsa_exception_fp_ieee_invalid_op 0
		.amdhsa_exception_fp_denorm_src 0
		.amdhsa_exception_fp_ieee_div_zero 0
		.amdhsa_exception_fp_ieee_overflow 0
		.amdhsa_exception_fp_ieee_underflow 0
		.amdhsa_exception_fp_ieee_inexact 0
		.amdhsa_exception_int_div_zero 0
	.end_amdhsa_kernel
	.section	.text._Z33per_token_group_quant_8bit_kernelIN3c104HalfENS0_15Float8_e4m3fnuzELb1ELb1EfEvPKT_PvPT3_iiifffii,"axG",@progbits,_Z33per_token_group_quant_8bit_kernelIN3c104HalfENS0_15Float8_e4m3fnuzELb1ELb1EfEvPKT_PvPT3_iiifffii,comdat
.Lfunc_end20:
	.size	_Z33per_token_group_quant_8bit_kernelIN3c104HalfENS0_15Float8_e4m3fnuzELb1ELb1EfEvPKT_PvPT3_iiifffii, .Lfunc_end20-_Z33per_token_group_quant_8bit_kernelIN3c104HalfENS0_15Float8_e4m3fnuzELb1ELb1EfEvPKT_PvPT3_iiifffii
                                        ; -- End function
	.section	.AMDGPU.csdata,"",@progbits
; Kernel info:
; codeLenInByte = 9472
; NumSgprs: 50
; NumVgprs: 61
; NumAgprs: 0
; TotalNumVgprs: 61
; ScratchSize: 0
; MemoryBound: 0
; FloatMode: 240
; IeeeMode: 1
; LDSByteSize: 0 bytes/workgroup (compile time only)
; SGPRBlocks: 6
; VGPRBlocks: 7
; NumSGPRsForWavesPerEU: 50
; NumVGPRsForWavesPerEU: 61
; AccumOffset: 64
; Occupancy: 8
; WaveLimiterHint : 0
; COMPUTE_PGM_RSRC2:SCRATCH_EN: 0
; COMPUTE_PGM_RSRC2:USER_SGPR: 6
; COMPUTE_PGM_RSRC2:TRAP_HANDLER: 0
; COMPUTE_PGM_RSRC2:TGID_X_EN: 1
; COMPUTE_PGM_RSRC2:TGID_Y_EN: 0
; COMPUTE_PGM_RSRC2:TGID_Z_EN: 0
; COMPUTE_PGM_RSRC2:TIDIG_COMP_CNT: 0
; COMPUTE_PGM_RSRC3_GFX90A:ACCUM_OFFSET: 15
; COMPUTE_PGM_RSRC3_GFX90A:TG_SPLIT: 0
	.section	.text._Z33per_token_group_quant_8bit_kernelIN3c104HalfENS0_15Float8_e4m3fnuzELb1ELb0EfEvPKT_PvPT3_iiifffii,"axG",@progbits,_Z33per_token_group_quant_8bit_kernelIN3c104HalfENS0_15Float8_e4m3fnuzELb1ELb0EfEvPKT_PvPT3_iiifffii,comdat
	.protected	_Z33per_token_group_quant_8bit_kernelIN3c104HalfENS0_15Float8_e4m3fnuzELb1ELb0EfEvPKT_PvPT3_iiifffii ; -- Begin function _Z33per_token_group_quant_8bit_kernelIN3c104HalfENS0_15Float8_e4m3fnuzELb1ELb0EfEvPKT_PvPT3_iiifffii
	.globl	_Z33per_token_group_quant_8bit_kernelIN3c104HalfENS0_15Float8_e4m3fnuzELb1ELb0EfEvPKT_PvPT3_iiifffii
	.p2align	8
	.type	_Z33per_token_group_quant_8bit_kernelIN3c104HalfENS0_15Float8_e4m3fnuzELb1ELb0EfEvPKT_PvPT3_iiifffii,@function
_Z33per_token_group_quant_8bit_kernelIN3c104HalfENS0_15Float8_e4m3fnuzELb1ELb0EfEvPKT_PvPT3_iiifffii: ; @_Z33per_token_group_quant_8bit_kernelIN3c104HalfENS0_15Float8_e4m3fnuzELb1ELb0EfEvPKT_PvPT3_iiifffii
; %bb.0:
	s_load_dword s31, s[4:5], 0x18
	s_load_dwordx2 s[0:1], s[4:5], 0x0
	s_load_dwordx4 s[16:19], s[4:5], 0x20
	s_load_dwordx2 s[2:3], s[4:5], 0x30
	v_lshrrev_b32_e32 v2, 4, v0
	s_waitcnt lgkmcnt(0)
	s_ashr_i32 s8, s31, 31
	v_and_b32_e32 v24, 15, v0
	s_mul_i32 s6, s6, s16
	v_add_co_u32_e32 v7, vcc, s6, v2
	v_addc_co_u32_e64 v8, s[6:7], 0, 0, vcc
	v_mul_lo_u32 v0, v8, s31
	v_mul_lo_u32 v1, v7, s8
	v_mad_u64_u32 v[12:13], s[6:7], v7, s31, 0
	v_add3_u32 v13, v13, v1, v0
	v_lshlrev_b64 v[0:1], 1, v[12:13]
	s_and_b32 s8, s31, 7
	v_mov_b32_e32 v4, s1
	v_add_co_u32_e32 v3, vcc, s0, v0
	s_cmp_eq_u32 s8, 0
	v_addc_co_u32_e32 v4, vcc, v4, v1, vcc
	v_mov_b32_e32 v11, 0
	v_and_b32_e32 v10, 15, v3
	s_cselect_b64 s[6:7], -1, 0
	s_cmp_lg_u32 s8, 0
	v_mul_lo_u32 v25, v2, s31
	v_cmp_ne_u64_e32 vcc, 0, v[10:11]
	s_cselect_b64 s[8:9], -1, 0
	v_lshl_add_u32 v6, v25, 1, 0
	s_or_b64 s[8:9], s[8:9], vcc
                                        ; implicit-def: $vgpr9
	s_and_saveexec_b64 s[10:11], s[8:9]
	s_xor_b64 s[8:9], exec, s[10:11]
	s_cbranch_execz .LBB21_12
; %bb.1:
	v_sub_u32_e32 v2, 0, v3
	v_bfe_u32 v2, v2, 1, 3
	v_min_i32_e32 v2, s31, v2
	v_cmp_gt_i32_e32 vcc, v2, v24
	v_mov_b32_e32 v9, s17
	s_and_saveexec_b64 s[10:11], vcc
	s_cbranch_execz .LBB21_3
; %bb.2:
	v_lshlrev_b32_e32 v5, 1, v24
	v_add_co_u32_e32 v10, vcc, v3, v5
	v_addc_co_u32_e32 v11, vcc, 0, v4, vcc
	global_load_ushort v3, v[10:11], off
	v_max_f32_e64 v9, s17, s17
	v_add_u32_e32 v5, v6, v5
	s_waitcnt vmcnt(0)
	v_cvt_f32_f16_e64 v4, |v3|
	ds_write_b16 v5, v3
	v_max_f32_e32 v9, v9, v4
.LBB21_3:
	s_or_b64 exec, exec, s[10:11]
	v_sub_u32_e32 v10, s31, v2
	v_ashrrev_i32_e32 v4, 31, v10
	v_lshrrev_b32_e32 v4, 29, v4
	v_add_u32_e32 v4, v10, v4
	v_ashrrev_i32_e32 v3, 31, v2
	v_ashrrev_i32_e32 v11, 3, v4
	v_cmp_gt_i32_e32 vcc, v11, v24
	v_lshlrev_b32_e32 v14, 1, v2
	v_lshlrev_b64 v[2:3], 1, v[2:3]
	s_and_saveexec_b64 s[10:11], vcc
	s_cbranch_execz .LBB21_7
; %bb.4:
	v_lshlrev_b32_e32 v4, 4, v24
	v_lshl_add_u32 v5, v25, 1, v4
	v_add_co_u32_e32 v4, vcc, v0, v4
	v_add3_u32 v15, v5, v14, 0
	v_addc_co_u32_e32 v5, vcc, 0, v1, vcc
	v_add_co_u32_e32 v4, vcc, v4, v2
	v_addc_co_u32_e32 v5, vcc, v5, v3, vcc
	v_mov_b32_e32 v16, s1
	v_add_co_u32_e32 v4, vcc, s0, v4
	v_addc_co_u32_e32 v5, vcc, v5, v16, vcc
	v_add_co_u32_e32 v4, vcc, 8, v4
	v_addc_co_u32_e32 v5, vcc, 0, v5, vcc
	s_mov_b64 s[12:13], 0
	v_mov_b32_e32 v16, v24
.LBB21_5:                               ; =>This Inner Loop Header: Depth=1
	global_load_dwordx4 v[18:21], v[4:5], off offset:-8
	v_add_co_u32_e32 v4, vcc, 0x100, v4
	v_add_u32_e32 v16, 16, v16
	v_addc_co_u32_e32 v5, vcc, 0, v5, vcc
	v_cmp_ge_i32_e32 vcc, v16, v11
	s_or_b64 s[12:13], vcc, s[12:13]
	s_waitcnt vmcnt(0)
	v_cvt_f32_f16_e64 v17, |v18|
	v_cvt_f32_f16_sdwa v22, |v18| dst_sel:DWORD dst_unused:UNUSED_PAD src0_sel:WORD_1
	v_cvt_f32_f16_e64 v23, |v19|
	v_cvt_f32_f16_sdwa v26, |v19| dst_sel:DWORD dst_unused:UNUSED_PAD src0_sel:WORD_1
	;; [unrolled: 2-line block ×4, first 2 shown]
	v_max3_f32 v9, v9, v17, v22
	v_max3_f32 v9, v9, v23, v26
	;; [unrolled: 1-line block ×3, first 2 shown]
	ds_write_b128 v15, v[18:21]
	v_add_u32_e32 v15, 0x100, v15
	v_max3_f32 v9, v9, v29, v30
	s_andn2_b64 exec, exec, s[12:13]
	s_cbranch_execnz .LBB21_5
; %bb.6:
	s_or_b64 exec, exec, s[12:13]
.LBB21_7:
	s_or_b64 exec, exec, s[10:11]
	v_lshl_add_u32 v4, v11, 3, v24
	v_cmp_lt_i32_e32 vcc, v4, v10
	s_and_saveexec_b64 s[10:11], vcc
	s_cbranch_execz .LBB21_11
; %bb.8:
	v_lshlrev_b32_e32 v5, 1, v25
	v_lshlrev_b32_e32 v11, 4, v11
	v_add3_u32 v5, v5, v11, v14
	v_lshlrev_b32_e32 v11, 1, v24
	v_add3_u32 v11, v5, v11, 0
	v_add_co_u32_e32 v2, vcc, v0, v2
	v_ashrrev_i32_e32 v5, 31, v4
	v_addc_co_u32_e32 v3, vcc, v1, v3, vcc
	v_lshlrev_b64 v[0:1], 1, v[4:5]
	v_add_co_u32_e32 v0, vcc, v2, v0
	v_addc_co_u32_e32 v1, vcc, v3, v1, vcc
	v_mov_b32_e32 v2, s1
	v_add_co_u32_e32 v0, vcc, s0, v0
	v_addc_co_u32_e32 v1, vcc, v2, v1, vcc
	s_mov_b64 s[12:13], 0
.LBB21_9:                               ; =>This Inner Loop Header: Depth=1
	global_load_ushort v2, v[0:1], off
	v_add_co_u32_e32 v0, vcc, 32, v0
	v_add_u32_e32 v4, 16, v4
	v_addc_co_u32_e32 v1, vcc, 0, v1, vcc
	v_max_f32_e32 v3, v9, v9
	v_cmp_ge_i32_e32 vcc, v4, v10
	s_or_b64 s[12:13], vcc, s[12:13]
	s_waitcnt vmcnt(0)
	v_cvt_f32_f16_e64 v5, |v2|
	ds_write_b16 v11, v2
	v_add_u32_e32 v11, 32, v11
	v_max_f32_e32 v9, v3, v5
	s_andn2_b64 exec, exec, s[12:13]
	s_cbranch_execnz .LBB21_9
; %bb.10:
	s_or_b64 exec, exec, s[12:13]
.LBB21_11:
	s_or_b64 exec, exec, s[10:11]
                                        ; implicit-def: $vgpr0_vgpr1
.LBB21_12:
	s_andn2_saveexec_b64 s[8:9], s[8:9]
	s_cbranch_execz .LBB21_18
; %bb.13:
	s_ashr_i32 s12, s31, 3
	v_cmp_gt_i32_e32 vcc, s12, v24
	v_mov_b32_e32 v9, s17
	s_and_saveexec_b64 s[10:11], vcc
	s_cbranch_execz .LBB21_17
; %bb.14:
	v_lshlrev_b32_e32 v3, 4, v24
	v_add_co_u32_e32 v0, vcc, v0, v3
	v_lshlrev_b32_e32 v2, 1, v25
	v_addc_co_u32_e32 v1, vcc, 0, v1, vcc
	v_add3_u32 v2, v2, v3, 0
	v_mov_b32_e32 v3, s1
	v_add_co_u32_e32 v0, vcc, s0, v0
	v_addc_co_u32_e32 v1, vcc, v1, v3, vcc
	v_add_co_u32_e32 v0, vcc, 8, v0
	v_addc_co_u32_e32 v1, vcc, 0, v1, vcc
	s_mov_b64 s[0:1], 0
	v_mov_b32_e32 v9, s17
	v_mov_b32_e32 v3, v24
.LBB21_15:                              ; =>This Inner Loop Header: Depth=1
	global_load_dwordx4 v[14:17], v[0:1], off offset:-8
	v_add_co_u32_e32 v0, vcc, 0x100, v0
	v_add_u32_e32 v3, 16, v3
	v_addc_co_u32_e32 v1, vcc, 0, v1, vcc
	v_cmp_le_i32_e32 vcc, s12, v3
	s_or_b64 s[0:1], vcc, s[0:1]
	s_waitcnt vmcnt(0)
	v_cvt_f32_f16_e64 v4, |v14|
	v_cvt_f32_f16_sdwa v5, |v14| dst_sel:DWORD dst_unused:UNUSED_PAD src0_sel:WORD_1
	v_cvt_f32_f16_e64 v10, |v15|
	v_cvt_f32_f16_sdwa v11, |v15| dst_sel:DWORD dst_unused:UNUSED_PAD src0_sel:WORD_1
	v_cvt_f32_f16_e64 v18, |v16|
	v_cvt_f32_f16_sdwa v19, |v16| dst_sel:DWORD dst_unused:UNUSED_PAD src0_sel:WORD_1
	v_cvt_f32_f16_e64 v20, |v17|
	v_cvt_f32_f16_sdwa v21, |v17| dst_sel:DWORD dst_unused:UNUSED_PAD src0_sel:WORD_1
	v_max3_f32 v4, v9, v4, v5
	v_max3_f32 v4, v4, v10, v11
	;; [unrolled: 1-line block ×3, first 2 shown]
	ds_write_b128 v2, v[14:17]
	v_add_u32_e32 v2, 0x100, v2
	v_max3_f32 v9, v4, v20, v21
	s_andn2_b64 exec, exec, s[0:1]
	s_cbranch_execnz .LBB21_15
; %bb.16:
	s_or_b64 exec, exec, s[0:1]
.LBB21_17:
	s_or_b64 exec, exec, s[10:11]
.LBB21_18:
	s_or_b64 exec, exec, s[8:9]
	v_mbcnt_lo_u32_b32 v0, -1, 0
	v_mbcnt_hi_u32_b32 v0, -1, v0
	v_and_b32_e32 v2, 0x70, v0
	v_xor_b32_e32 v1, 8, v0
	v_add_u32_e32 v2, 16, v2
	v_cmp_lt_i32_e32 vcc, v1, v2
	v_cndmask_b32_e32 v1, v0, v1, vcc
	v_lshlrev_b32_e32 v1, 2, v1
	ds_bpermute_b32 v1, v1, v9
	v_xor_b32_e32 v4, 4, v0
	v_max_f32_e32 v3, v9, v9
	v_cmp_lt_i32_e32 vcc, v4, v2
	s_load_dwordx2 s[20:21], s[4:5], 0x8
	s_waitcnt lgkmcnt(0)
	v_max_f32_e32 v1, v1, v1
	v_max_f32_e32 v1, v3, v1
	v_cndmask_b32_e32 v3, v0, v4, vcc
	v_lshlrev_b32_e32 v3, 2, v3
	ds_bpermute_b32 v3, v3, v1
	v_xor_b32_e32 v4, 2, v0
	v_cmp_lt_i32_e32 vcc, v4, v2
	s_waitcnt lgkmcnt(0)
	v_max_f32_e32 v3, v3, v3
	v_max_f32_e32 v1, v1, v3
	v_cndmask_b32_e32 v3, v0, v4, vcc
	v_lshlrev_b32_e32 v3, 2, v3
	ds_bpermute_b32 v3, v3, v1
	v_xor_b32_e32 v4, 1, v0
	v_cmp_lt_i32_e32 vcc, v4, v2
	v_cndmask_b32_e32 v0, v0, v4, vcc
	v_lshlrev_b32_e32 v0, 2, v0
	s_waitcnt lgkmcnt(0)
	v_max_f32_e32 v3, v3, v3
	v_max_f32_e32 v1, v1, v3
	ds_bpermute_b32 v0, v0, v1
	s_waitcnt lgkmcnt(0)
	v_max_f32_e32 v0, v0, v0
	v_max_f32_e32 v0, v1, v0
	v_div_scale_f32 v1, s[0:1], s19, s19, v0
	v_rcp_f32_e32 v2, v1
	v_div_scale_f32 v3, vcc, v0, s19, v0
	v_fma_f32 v4, -v1, v2, 1.0
	v_fmac_f32_e32 v2, v4, v2
	v_mul_f32_e32 v4, v3, v2
	v_fma_f32 v5, -v1, v4, v3
	v_fmac_f32_e32 v4, v5, v2
	v_fma_f32 v1, -v1, v4, v3
	v_div_fmas_f32 v1, v1, v2, v4
	v_div_fixup_f32 v0, v1, s19, v0
	v_cmp_eq_u32_e32 vcc, 0, v24
	s_and_saveexec_b64 s[8:9], vcc
	s_cbranch_execz .LBB21_24
; %bb.19:
	s_load_dwordx2 s[4:5], s[4:5], 0x10
	s_ashr_i32 s0, s2, 31
	v_or_b32_e32 v3, s0, v8
	v_mov_b32_e32 v2, 0
	v_cmp_ne_u64_e32 vcc, 0, v[2:3]
                                        ; implicit-def: $vgpr2_vgpr3
	s_and_saveexec_b64 s[10:11], vcc
	s_xor_b64 s[10:11], exec, s[10:11]
	s_cbranch_execz .LBB21_21
; %bb.20:
	s_add_u32 s14, s2, s0
	s_mov_b32 s12, s0
	s_mov_b32 s13, s0
	s_addc_u32 s15, s0, s0
	s_xor_b64 s[14:15], s[14:15], s[12:13]
	v_cvt_f32_u32_e32 v1, s14
	v_cvt_f32_u32_e32 v2, s15
	s_sub_u32 s0, 0, s14
	s_subb_u32 s1, 0, s15
	v_madmk_f32 v1, v2, 0x4f800000, v1
	v_rcp_f32_e32 v1, v1
	v_mul_f32_e32 v1, 0x5f7ffffc, v1
	v_mul_f32_e32 v2, 0x2f800000, v1
	v_trunc_f32_e32 v2, v2
	v_madmk_f32 v1, v2, 0xcf800000, v1
	v_cvt_u32_f32_e32 v2, v2
	v_cvt_u32_f32_e32 v1, v1
	v_mul_lo_u32 v3, s0, v2
	v_mul_hi_u32 v5, s0, v1
	v_mul_lo_u32 v4, s1, v1
	v_add_u32_e32 v3, v5, v3
	v_mul_lo_u32 v9, s0, v1
	v_add_u32_e32 v3, v3, v4
	v_mul_lo_u32 v5, v1, v3
	v_mul_hi_u32 v10, v1, v9
	v_mul_hi_u32 v4, v1, v3
	v_add_co_u32_e32 v5, vcc, v10, v5
	v_addc_co_u32_e32 v4, vcc, 0, v4, vcc
	v_mul_hi_u32 v11, v2, v9
	v_mul_lo_u32 v9, v2, v9
	v_add_co_u32_e32 v5, vcc, v5, v9
	v_mul_hi_u32 v10, v2, v3
	v_addc_co_u32_e32 v4, vcc, v4, v11, vcc
	v_addc_co_u32_e32 v5, vcc, 0, v10, vcc
	v_mul_lo_u32 v3, v2, v3
	v_add_co_u32_e32 v3, vcc, v4, v3
	v_addc_co_u32_e32 v4, vcc, 0, v5, vcc
	v_add_co_u32_e32 v1, vcc, v1, v3
	v_addc_co_u32_e32 v2, vcc, v2, v4, vcc
	v_mul_lo_u32 v3, s0, v2
	v_mul_hi_u32 v4, s0, v1
	v_add_u32_e32 v3, v4, v3
	v_mul_lo_u32 v4, s1, v1
	v_add_u32_e32 v3, v3, v4
	v_mul_lo_u32 v5, s0, v1
	v_mul_hi_u32 v9, v2, v5
	v_mul_lo_u32 v10, v2, v5
	v_mul_lo_u32 v14, v1, v3
	v_mul_hi_u32 v5, v1, v5
	v_mul_hi_u32 v11, v1, v3
	v_add_co_u32_e32 v5, vcc, v5, v14
	v_addc_co_u32_e32 v11, vcc, 0, v11, vcc
	v_add_co_u32_e32 v5, vcc, v5, v10
	v_mul_hi_u32 v4, v2, v3
	v_addc_co_u32_e32 v5, vcc, v11, v9, vcc
	v_addc_co_u32_e32 v4, vcc, 0, v4, vcc
	v_mul_lo_u32 v3, v2, v3
	v_add_co_u32_e32 v3, vcc, v5, v3
	v_addc_co_u32_e32 v4, vcc, 0, v4, vcc
	v_add_co_u32_e32 v1, vcc, v1, v3
	v_addc_co_u32_e32 v4, vcc, v2, v4, vcc
	v_mad_u64_u32 v[2:3], s[0:1], v7, v4, 0
	v_mul_hi_u32 v5, v7, v1
	v_add_co_u32_e32 v9, vcc, v5, v2
	v_addc_co_u32_e32 v10, vcc, 0, v3, vcc
	v_mad_u64_u32 v[2:3], s[0:1], v8, v4, 0
	v_mad_u64_u32 v[4:5], s[0:1], v8, v1, 0
	v_add_co_u32_e32 v1, vcc, v9, v4
	v_addc_co_u32_e32 v1, vcc, v10, v5, vcc
	v_addc_co_u32_e32 v3, vcc, 0, v3, vcc
	v_add_co_u32_e32 v1, vcc, v1, v2
	v_addc_co_u32_e32 v2, vcc, 0, v3, vcc
	v_mul_lo_u32 v4, s15, v1
	v_mul_lo_u32 v5, s14, v2
	v_mad_u64_u32 v[2:3], s[0:1], s14, v1, 0
	v_add3_u32 v3, v3, v5, v4
	v_sub_u32_e32 v4, v8, v3
	v_mov_b32_e32 v5, s15
	v_sub_co_u32_e32 v2, vcc, v7, v2
	v_subb_co_u32_e64 v4, s[0:1], v4, v5, vcc
	v_subrev_co_u32_e64 v5, s[0:1], s14, v2
	v_subbrev_co_u32_e64 v4, s[0:1], 0, v4, s[0:1]
	v_cmp_le_u32_e64 s[0:1], s15, v4
	v_subb_co_u32_e32 v3, vcc, v8, v3, vcc
	v_cndmask_b32_e64 v9, 0, -1, s[0:1]
	v_cmp_le_u32_e64 s[0:1], s14, v5
	v_cmp_le_u32_e32 vcc, s15, v3
	v_cndmask_b32_e64 v5, 0, -1, s[0:1]
	v_cmp_eq_u32_e64 s[0:1], s15, v4
	v_cndmask_b32_e64 v8, 0, -1, vcc
	v_cmp_le_u32_e32 vcc, s14, v2
	v_cndmask_b32_e64 v4, v9, v5, s[0:1]
	v_cndmask_b32_e64 v2, 0, -1, vcc
	v_cmp_eq_u32_e32 vcc, s15, v3
	v_add_co_u32_e64 v5, s[0:1], 2, v1
	v_add_co_u32_e64 v9, s[0:1], 1, v1
	v_cndmask_b32_e32 v2, v8, v2, vcc
	v_cmp_ne_u32_e32 vcc, 0, v4
	v_cndmask_b32_e32 v3, v9, v5, vcc
	v_cmp_ne_u32_e32 vcc, 0, v2
	v_cndmask_b32_e32 v1, v1, v3, vcc
	v_xor_b32_e32 v1, s12, v1
	v_subrev_co_u32_e32 v2, vcc, s12, v1
.LBB21_21:
	s_andn2_saveexec_b64 s[0:1], s[10:11]
	s_cbranch_execz .LBB21_23
; %bb.22:
	v_cvt_f32_u32_e32 v1, s2
	s_sub_i32 s10, 0, s2
	v_rcp_iflag_f32_e32 v1, v1
	v_mul_f32_e32 v1, 0x4f7ffffe, v1
	v_cvt_u32_f32_e32 v1, v1
	v_mul_lo_u32 v2, s10, v1
	v_mul_hi_u32 v2, v1, v2
	v_add_u32_e32 v1, v1, v2
	v_mul_hi_u32 v1, v7, v1
	v_mul_lo_u32 v2, v1, s2
	v_sub_u32_e32 v2, v7, v2
	v_add_u32_e32 v3, 1, v1
	v_subrev_u32_e32 v4, s2, v2
	v_cmp_le_u32_e32 vcc, s2, v2
	v_cndmask_b32_e32 v2, v2, v4, vcc
	v_cndmask_b32_e32 v1, v1, v3, vcc
	v_add_u32_e32 v3, 1, v1
	v_cmp_le_u32_e32 vcc, s2, v2
	v_cndmask_b32_e32 v2, v1, v3, vcc
.LBB21_23:
	s_or_b64 exec, exec, s[0:1]
	v_mul_lo_u32 v1, v2, s2
	v_sub_u32_e32 v1, v7, v1
	v_mad_u64_u32 v[2:3], s[0:1], v1, s3, v[2:3]
	v_ashrrev_i32_e32 v3, 31, v2
	v_lshlrev_b64 v[2:3], 2, v[2:3]
	s_waitcnt lgkmcnt(0)
	v_mov_b32_e32 v1, s5
	v_add_co_u32_e32 v2, vcc, s4, v2
	v_addc_co_u32_e32 v3, vcc, v1, v3, vcc
	global_store_dword v[2:3], v0, off
.LBB21_24:
	s_or_b64 exec, exec, s[8:9]
	v_and_b32_e32 v2, 15, v6
	v_mov_b32_e32 v3, 0
	v_cmp_ne_u64_e32 vcc, 0, v[2:3]
	s_xor_b64 s[0:1], s[6:7], -1
	s_or_b64 s[0:1], s[0:1], vcc
	s_barrier
	s_and_saveexec_b64 s[2:3], s[0:1]
	s_xor_b64 s[22:23], exec, s[2:3]
	s_cbranch_execz .LBB21_119
; %bb.25:
	v_mov_b32_e32 v2, s21
	v_add_co_u32_e32 v1, vcc, s20, v12
	v_addc_co_u32_e32 v30, vcc, v2, v13, vcc
	v_sub_u32_e32 v2, 0, v6
	v_bfe_u32 v2, v2, 1, 3
	v_min_i32_e32 v27, s31, v2
	v_cmp_gt_i32_e32 vcc, v27, v24
	s_and_saveexec_b64 s[0:1], vcc
	s_cbranch_execz .LBB21_33
; %bb.26:
	v_lshl_add_u32 v2, v24, 1, v6
	ds_read_u16 v2, v2
	v_max_f32_e64 v3, s18, s18
	v_max_f32_e64 v4, s19, s19
	s_waitcnt lgkmcnt(0)
	v_cvt_f32_f16_e32 v2, v2
	v_div_scale_f32 v5, s[2:3], v0, v0, v2
	v_rcp_f32_e32 v6, v5
	v_div_scale_f32 v7, vcc, v2, v0, v2
	s_mov_b32 s2, 0x43800000
	v_fma_f32 v8, -v5, v6, 1.0
	v_fmac_f32_e32 v6, v8, v6
	v_mul_f32_e32 v8, v7, v6
	v_fma_f32 v9, -v5, v8, v7
	v_fmac_f32_e32 v8, v9, v6
	v_fma_f32 v5, -v5, v8, v7
	v_div_fmas_f32 v5, v5, v6, v8
	v_div_fixup_f32 v2, v5, v0, v2
	v_max_f32_e32 v2, v2, v3
	v_min_f32_e32 v2, v2, v4
	v_and_b32_e32 v3, 0x7fffffff, v2
	v_cmp_gt_u32_e32 vcc, s2, v3
	v_mov_b32_e32 v4, 0x80
	s_and_saveexec_b64 s[2:3], vcc
	s_cbranch_execz .LBB21_32
; %bb.27:
	s_mov_b32 s4, 0x3bffffff
	v_cmp_lt_u32_e32 vcc, s4, v3
	s_mov_b64 s[4:5], 0
                                        ; implicit-def: $vgpr3
	s_and_saveexec_b64 s[6:7], vcc
	s_xor_b64 s[6:7], exec, s[6:7]
	s_cbranch_execnz .LBB21_188
; %bb.28:
	s_or_saveexec_b64 s[6:7], s[6:7]
                                        ; implicit-def: $sgpr8
	s_xor_b64 exec, exec, s[6:7]
	s_cbranch_execnz .LBB21_189
.LBB21_29:
	s_or_b64 exec, exec, s[6:7]
	v_mov_b32_e32 v4, s8
	s_and_saveexec_b64 s[6:7], s[4:5]
.LBB21_30:
	v_lshrrev_b32_e32 v2, 24, v2
	s_movk_i32 s4, 0x80
	v_and_or_b32 v4, v2, s4, v3
.LBB21_31:
	s_or_b64 exec, exec, s[6:7]
.LBB21_32:
	s_or_b64 exec, exec, s[2:3]
	v_add_co_u32_e32 v2, vcc, v1, v24
	v_addc_co_u32_e32 v3, vcc, 0, v30, vcc
	global_store_byte v[2:3], v4, off
.LBB21_33:
	s_or_b64 exec, exec, s[0:1]
	v_sub_u32_e32 v26, s31, v27
	v_ashrrev_i32_e32 v2, 31, v26
	v_lshrrev_b32_e32 v2, 29, v2
	v_add_u32_e32 v2, v26, v2
	v_ashrrev_i32_e32 v31, 3, v2
	v_ashrrev_i32_e32 v28, 31, v27
	v_cmp_gt_i32_e32 vcc, v31, v24
	v_lshlrev_b32_e32 v29, 1, v27
	s_and_saveexec_b64 s[2:3], vcc
	s_cbranch_execz .LBB21_100
; %bb.34:
	v_lshlrev_b32_e32 v2, 4, v24
	v_lshl_add_u32 v2, v25, 1, v2
	v_lshlrev_b32_e32 v3, 1, v27
	v_add3_u32 v32, v2, v3, 0
	v_add_co_u32_e32 v2, vcc, v27, v12
	v_addc_co_u32_e32 v3, vcc, v28, v13, vcc
	v_lshlrev_b32_e32 v4, 3, v24
	v_add_co_u32_e32 v2, vcc, v2, v4
	v_addc_co_u32_e32 v3, vcc, 0, v3, vcc
	v_mov_b32_e32 v4, s21
	v_add_co_u32_e32 v6, vcc, s20, v2
	v_addc_co_u32_e32 v7, vcc, v4, v3, vcc
	s_mov_b64 s[4:5], 0
	v_max_f32_e64 v33, s18, s18
	v_max_f32_e64 v34, s19, s19
	s_mov_b32 s12, 0x43800000
	s_mov_b32 s13, 0x3bffffff
	s_mov_b32 s14, 0x487ffff
	s_mov_b32 s15, 0x46000000
	s_movk_i32 s16, 0x80
	s_mov_b32 s17, 0xff00
	s_mov_b32 s24, 0x4020c0c
	v_mov_b32_e32 v35, v24
	s_branch .LBB21_37
.LBB21_35:                              ;   in Loop: Header=BB21_37 Depth=1
	s_or_b64 exec, exec, s[8:9]
.LBB21_36:                              ;   in Loop: Header=BB21_37 Depth=1
	s_or_b64 exec, exec, s[0:1]
	v_lshlrev_b32_e32 v4, 16, v22
	v_lshlrev_b32_e32 v3, 24, v20
	v_and_b32_e32 v4, 0xff0000, v4
	v_lshlrev_b32_e32 v2, 8, v2
	v_or_b32_e32 v3, v3, v4
	v_and_b32_e32 v2, 0xff00, v2
	v_and_b32_e32 v4, 0xff, v18
	v_or3_b32 v3, v3, v2, v4
	v_lshlrev_b32_e32 v2, 16, v16
	v_lshlrev_b32_e32 v4, 8, v8
	v_perm_b32 v2, v14, v2, s24
	v_and_or_b32 v2, v4, s17, v2
	v_or_b32_sdwa v2, v2, v10 dst_sel:DWORD dst_unused:UNUSED_PAD src0_sel:DWORD src1_sel:BYTE_0
	v_add_u32_e32 v35, 16, v35
	global_store_dwordx2 v[6:7], v[2:3], off
	v_add_co_u32_e32 v6, vcc, 0x80, v6
	v_cmp_ge_i32_e64 s[0:1], v35, v31
	v_add_u32_e32 v32, 0x100, v32
	s_or_b64 s[4:5], s[0:1], s[4:5]
	v_addc_co_u32_e32 v7, vcc, 0, v7, vcc
	s_andn2_b64 exec, exec, s[4:5]
	s_cbranch_execz .LBB21_100
.LBB21_37:                              ; =>This Inner Loop Header: Depth=1
	ds_read_b128 v[2:5], v32
	v_mov_b32_e32 v8, 0x80
	v_mov_b32_e32 v9, 0
	s_waitcnt lgkmcnt(0)
	v_cvt_f32_f16_e32 v10, v2
	v_div_scale_f32 v11, s[0:1], v0, v0, v10
	v_rcp_f32_e32 v14, v11
	v_div_scale_f32 v15, vcc, v10, v0, v10
	v_fma_f32 v16, -v11, v14, 1.0
	v_fmac_f32_e32 v14, v16, v14
	v_mul_f32_e32 v16, v15, v14
	v_fma_f32 v17, -v11, v16, v15
	v_fmac_f32_e32 v16, v17, v14
	v_fma_f32 v11, -v11, v16, v15
	v_div_fmas_f32 v11, v11, v14, v16
	v_div_fixup_f32 v10, v11, v0, v10
	v_max_f32_e32 v10, v10, v33
	v_min_f32_e32 v14, v10, v34
	v_and_b32_e32 v15, 0x7fffffff, v14
	v_cmp_gt_u32_e32 vcc, s12, v15
	v_pk_mov_b32 v[10:11], v[8:9], v[8:9] op_sel:[0,1]
	s_and_saveexec_b64 s[0:1], vcc
	s_cbranch_execz .LBB21_43
; %bb.38:                               ;   in Loop: Header=BB21_37 Depth=1
	v_cmp_lt_u32_e32 vcc, s13, v15
	s_mov_b64 s[6:7], 0
                                        ; implicit-def: $vgpr9
	s_and_saveexec_b64 s[8:9], vcc
	s_xor_b64 s[8:9], exec, s[8:9]
	s_cbranch_execnz .LBB21_83
; %bb.39:                               ;   in Loop: Header=BB21_37 Depth=1
	s_or_saveexec_b64 s[8:9], s[8:9]
                                        ; implicit-def: $sgpr10_sgpr11
	s_xor_b64 exec, exec, s[8:9]
	s_cbranch_execnz .LBB21_84
.LBB21_40:                              ;   in Loop: Header=BB21_37 Depth=1
	s_or_b64 exec, exec, s[8:9]
	v_pk_mov_b32 v[10:11], s[10:11], s[10:11] op_sel:[0,1]
	s_and_saveexec_b64 s[8:9], s[6:7]
.LBB21_41:                              ;   in Loop: Header=BB21_37 Depth=1
	v_lshrrev_b32_e32 v10, 24, v14
	v_and_or_b32 v10, v10, s16, v9
.LBB21_42:                              ;   in Loop: Header=BB21_37 Depth=1
	s_or_b64 exec, exec, s[8:9]
.LBB21_43:                              ;   in Loop: Header=BB21_37 Depth=1
	s_or_b64 exec, exec, s[0:1]
	v_cvt_f32_f16_sdwa v2, v2 dst_sel:DWORD dst_unused:UNUSED_PAD src0_sel:WORD_1
	v_div_scale_f32 v9, s[0:1], v0, v0, v2
	v_rcp_f32_e32 v11, v9
	v_div_scale_f32 v14, vcc, v2, v0, v2
	v_fma_f32 v15, -v9, v11, 1.0
	v_fmac_f32_e32 v11, v15, v11
	v_mul_f32_e32 v15, v14, v11
	v_fma_f32 v16, -v9, v15, v14
	v_fmac_f32_e32 v15, v16, v11
	v_fma_f32 v9, -v9, v15, v14
	v_div_fmas_f32 v9, v9, v11, v15
	v_div_fixup_f32 v2, v9, v0, v2
	v_max_f32_e32 v2, v2, v33
	v_min_f32_e32 v2, v2, v34
	v_and_b32_e32 v9, 0x7fffffff, v2
	v_cmp_gt_u32_e32 vcc, s12, v9
	s_and_saveexec_b64 s[0:1], vcc
	s_cbranch_execz .LBB21_49
; %bb.44:                               ;   in Loop: Header=BB21_37 Depth=1
	v_cmp_lt_u32_e32 vcc, s13, v9
	s_mov_b64 s[6:7], 0
                                        ; implicit-def: $vgpr11
	s_and_saveexec_b64 s[8:9], vcc
	s_xor_b64 s[8:9], exec, s[8:9]
	s_cbranch_execnz .LBB21_85
; %bb.45:                               ;   in Loop: Header=BB21_37 Depth=1
	s_or_saveexec_b64 s[8:9], s[8:9]
                                        ; implicit-def: $sgpr10_sgpr11
	s_xor_b64 exec, exec, s[8:9]
	s_cbranch_execnz .LBB21_86
.LBB21_46:                              ;   in Loop: Header=BB21_37 Depth=1
	s_or_b64 exec, exec, s[8:9]
	v_pk_mov_b32 v[8:9], s[10:11], s[10:11] op_sel:[0,1]
	s_and_saveexec_b64 s[8:9], s[6:7]
.LBB21_47:                              ;   in Loop: Header=BB21_37 Depth=1
	v_lshrrev_b32_e32 v2, 24, v2
	v_and_or_b32 v8, v2, s16, v11
.LBB21_48:                              ;   in Loop: Header=BB21_37 Depth=1
	s_or_b64 exec, exec, s[8:9]
.LBB21_49:                              ;   in Loop: Header=BB21_37 Depth=1
	s_or_b64 exec, exec, s[0:1]
	v_cvt_f32_f16_e32 v2, v3
	v_mov_b32_e32 v14, 0x80
	v_mov_b32_e32 v15, 0
	v_div_scale_f32 v9, s[0:1], v0, v0, v2
	v_rcp_f32_e32 v11, v9
	v_div_scale_f32 v16, vcc, v2, v0, v2
	v_fma_f32 v17, -v9, v11, 1.0
	v_fmac_f32_e32 v11, v17, v11
	v_mul_f32_e32 v17, v16, v11
	v_fma_f32 v18, -v9, v17, v16
	v_fmac_f32_e32 v17, v18, v11
	v_fma_f32 v9, -v9, v17, v16
	v_div_fmas_f32 v9, v9, v11, v17
	v_div_fixup_f32 v2, v9, v0, v2
	v_max_f32_e32 v2, v2, v33
	v_min_f32_e32 v2, v2, v34
	v_and_b32_e32 v9, 0x7fffffff, v2
	v_cmp_gt_u32_e32 vcc, s12, v9
	v_pk_mov_b32 v[16:17], v[14:15], v[14:15] op_sel:[0,1]
	s_and_saveexec_b64 s[0:1], vcc
	s_cbranch_execz .LBB21_55
; %bb.50:                               ;   in Loop: Header=BB21_37 Depth=1
	v_cmp_lt_u32_e32 vcc, s13, v9
	s_mov_b64 s[6:7], 0
                                        ; implicit-def: $vgpr9
	s_and_saveexec_b64 s[8:9], vcc
	s_xor_b64 s[8:9], exec, s[8:9]
	s_cbranch_execnz .LBB21_87
; %bb.51:                               ;   in Loop: Header=BB21_37 Depth=1
	s_or_saveexec_b64 s[8:9], s[8:9]
                                        ; implicit-def: $sgpr10_sgpr11
	s_xor_b64 exec, exec, s[8:9]
	s_cbranch_execnz .LBB21_88
.LBB21_52:                              ;   in Loop: Header=BB21_37 Depth=1
	s_or_b64 exec, exec, s[8:9]
	v_pk_mov_b32 v[16:17], s[10:11], s[10:11] op_sel:[0,1]
	s_and_saveexec_b64 s[8:9], s[6:7]
.LBB21_53:                              ;   in Loop: Header=BB21_37 Depth=1
	v_lshrrev_b32_e32 v2, 24, v2
	v_and_or_b32 v16, v2, s16, v9
.LBB21_54:                              ;   in Loop: Header=BB21_37 Depth=1
	s_or_b64 exec, exec, s[8:9]
.LBB21_55:                              ;   in Loop: Header=BB21_37 Depth=1
	s_or_b64 exec, exec, s[0:1]
	v_cvt_f32_f16_sdwa v2, v3 dst_sel:DWORD dst_unused:UNUSED_PAD src0_sel:WORD_1
	v_div_scale_f32 v3, s[0:1], v0, v0, v2
	v_rcp_f32_e32 v9, v3
	v_div_scale_f32 v11, vcc, v2, v0, v2
	v_fma_f32 v15, -v3, v9, 1.0
	v_fmac_f32_e32 v9, v15, v9
	v_mul_f32_e32 v15, v11, v9
	v_fma_f32 v17, -v3, v15, v11
	v_fmac_f32_e32 v15, v17, v9
	v_fma_f32 v3, -v3, v15, v11
	v_div_fmas_f32 v3, v3, v9, v15
	v_div_fixup_f32 v2, v3, v0, v2
	v_max_f32_e32 v2, v2, v33
	v_min_f32_e32 v2, v2, v34
	v_and_b32_e32 v3, 0x7fffffff, v2
	v_cmp_gt_u32_e32 vcc, s12, v3
	s_and_saveexec_b64 s[0:1], vcc
	s_cbranch_execz .LBB21_61
; %bb.56:                               ;   in Loop: Header=BB21_37 Depth=1
	v_cmp_lt_u32_e32 vcc, s13, v3
	s_mov_b64 s[6:7], 0
                                        ; implicit-def: $vgpr3
	s_and_saveexec_b64 s[8:9], vcc
	s_xor_b64 s[8:9], exec, s[8:9]
	s_cbranch_execnz .LBB21_89
; %bb.57:                               ;   in Loop: Header=BB21_37 Depth=1
	s_or_saveexec_b64 s[8:9], s[8:9]
                                        ; implicit-def: $sgpr10_sgpr11
	s_xor_b64 exec, exec, s[8:9]
	s_cbranch_execnz .LBB21_90
.LBB21_58:                              ;   in Loop: Header=BB21_37 Depth=1
	s_or_b64 exec, exec, s[8:9]
	v_pk_mov_b32 v[14:15], s[10:11], s[10:11] op_sel:[0,1]
	s_and_saveexec_b64 s[8:9], s[6:7]
.LBB21_59:                              ;   in Loop: Header=BB21_37 Depth=1
	v_lshrrev_b32_e32 v2, 24, v2
	v_and_or_b32 v14, v2, s16, v3
.LBB21_60:                              ;   in Loop: Header=BB21_37 Depth=1
	s_or_b64 exec, exec, s[8:9]
.LBB21_61:                              ;   in Loop: Header=BB21_37 Depth=1
	s_or_b64 exec, exec, s[0:1]
	v_cvt_f32_f16_e32 v9, v4
	v_mov_b32_e32 v2, 0x80
	v_mov_b32_e32 v3, 0
	v_div_scale_f32 v11, s[0:1], v0, v0, v9
	v_rcp_f32_e32 v15, v11
	v_div_scale_f32 v17, vcc, v9, v0, v9
	v_fma_f32 v18, -v11, v15, 1.0
	v_fmac_f32_e32 v15, v18, v15
	v_mul_f32_e32 v18, v17, v15
	v_fma_f32 v19, -v11, v18, v17
	v_fmac_f32_e32 v18, v19, v15
	v_fma_f32 v11, -v11, v18, v17
	v_div_fmas_f32 v11, v11, v15, v18
	v_div_fixup_f32 v9, v11, v0, v9
	v_max_f32_e32 v9, v9, v33
	v_min_f32_e32 v9, v9, v34
	v_and_b32_e32 v11, 0x7fffffff, v9
	v_cmp_gt_u32_e32 vcc, s12, v11
	v_pk_mov_b32 v[18:19], v[2:3], v[2:3] op_sel:[0,1]
	s_and_saveexec_b64 s[0:1], vcc
	s_cbranch_execz .LBB21_67
; %bb.62:                               ;   in Loop: Header=BB21_37 Depth=1
	v_cmp_lt_u32_e32 vcc, s13, v11
	s_mov_b64 s[6:7], 0
                                        ; implicit-def: $vgpr3
	s_and_saveexec_b64 s[8:9], vcc
	s_xor_b64 s[8:9], exec, s[8:9]
	s_cbranch_execnz .LBB21_91
; %bb.63:                               ;   in Loop: Header=BB21_37 Depth=1
	s_or_saveexec_b64 s[8:9], s[8:9]
                                        ; implicit-def: $sgpr10_sgpr11
	s_xor_b64 exec, exec, s[8:9]
	s_cbranch_execnz .LBB21_92
.LBB21_64:                              ;   in Loop: Header=BB21_37 Depth=1
	s_or_b64 exec, exec, s[8:9]
	v_pk_mov_b32 v[18:19], s[10:11], s[10:11] op_sel:[0,1]
	s_and_saveexec_b64 s[8:9], s[6:7]
.LBB21_65:                              ;   in Loop: Header=BB21_37 Depth=1
	v_lshrrev_b32_e32 v9, 24, v9
	v_and_or_b32 v18, v9, s16, v3
.LBB21_66:                              ;   in Loop: Header=BB21_37 Depth=1
	s_or_b64 exec, exec, s[8:9]
.LBB21_67:                              ;   in Loop: Header=BB21_37 Depth=1
	s_or_b64 exec, exec, s[0:1]
	v_cvt_f32_f16_sdwa v3, v4 dst_sel:DWORD dst_unused:UNUSED_PAD src0_sel:WORD_1
	v_div_scale_f32 v4, s[0:1], v0, v0, v3
	v_rcp_f32_e32 v9, v4
	v_div_scale_f32 v11, vcc, v3, v0, v3
	v_fma_f32 v15, -v4, v9, 1.0
	v_fmac_f32_e32 v9, v15, v9
	v_mul_f32_e32 v15, v11, v9
	v_fma_f32 v17, -v4, v15, v11
	v_fmac_f32_e32 v15, v17, v9
	v_fma_f32 v4, -v4, v15, v11
	v_div_fmas_f32 v4, v4, v9, v15
	v_div_fixup_f32 v3, v4, v0, v3
	v_max_f32_e32 v3, v3, v33
	v_min_f32_e32 v4, v3, v34
	v_and_b32_e32 v3, 0x7fffffff, v4
	v_cmp_gt_u32_e32 vcc, s12, v3
	s_and_saveexec_b64 s[0:1], vcc
	s_cbranch_execz .LBB21_73
; %bb.68:                               ;   in Loop: Header=BB21_37 Depth=1
	v_cmp_lt_u32_e32 vcc, s13, v3
	s_mov_b64 s[6:7], 0
                                        ; implicit-def: $vgpr9
	s_and_saveexec_b64 s[8:9], vcc
	s_xor_b64 s[8:9], exec, s[8:9]
	s_cbranch_execnz .LBB21_93
; %bb.69:                               ;   in Loop: Header=BB21_37 Depth=1
	s_or_saveexec_b64 s[8:9], s[8:9]
                                        ; implicit-def: $sgpr10_sgpr11
	s_xor_b64 exec, exec, s[8:9]
	s_cbranch_execnz .LBB21_94
.LBB21_70:                              ;   in Loop: Header=BB21_37 Depth=1
	s_or_b64 exec, exec, s[8:9]
	v_pk_mov_b32 v[2:3], s[10:11], s[10:11] op_sel:[0,1]
	s_and_saveexec_b64 s[8:9], s[6:7]
.LBB21_71:                              ;   in Loop: Header=BB21_37 Depth=1
	v_lshrrev_b32_e32 v2, 24, v4
	v_and_or_b32 v2, v2, s16, v9
.LBB21_72:                              ;   in Loop: Header=BB21_37 Depth=1
	s_or_b64 exec, exec, s[8:9]
.LBB21_73:                              ;   in Loop: Header=BB21_37 Depth=1
	s_or_b64 exec, exec, s[0:1]
	v_cvt_f32_f16_e32 v3, v5
	v_mov_b32_e32 v20, 0x80
	v_mov_b32_e32 v21, 0
	v_pk_mov_b32 v[22:23], v[20:21], v[20:21] op_sel:[0,1]
	v_div_scale_f32 v4, s[0:1], v0, v0, v3
	v_rcp_f32_e32 v9, v4
	v_div_scale_f32 v11, vcc, v3, v0, v3
	v_fma_f32 v15, -v4, v9, 1.0
	v_fmac_f32_e32 v9, v15, v9
	v_mul_f32_e32 v15, v11, v9
	v_fma_f32 v17, -v4, v15, v11
	v_fmac_f32_e32 v15, v17, v9
	v_fma_f32 v4, -v4, v15, v11
	v_div_fmas_f32 v4, v4, v9, v15
	v_div_fixup_f32 v3, v4, v0, v3
	v_max_f32_e32 v3, v3, v33
	v_min_f32_e32 v3, v3, v34
	v_and_b32_e32 v4, 0x7fffffff, v3
	v_cmp_gt_u32_e32 vcc, s12, v4
	s_and_saveexec_b64 s[0:1], vcc
	s_cbranch_execz .LBB21_79
; %bb.74:                               ;   in Loop: Header=BB21_37 Depth=1
	v_cmp_lt_u32_e32 vcc, s13, v4
	s_mov_b64 s[6:7], 0
                                        ; implicit-def: $vgpr4
	s_and_saveexec_b64 s[8:9], vcc
	s_xor_b64 s[8:9], exec, s[8:9]
	s_cbranch_execnz .LBB21_95
; %bb.75:                               ;   in Loop: Header=BB21_37 Depth=1
	s_or_saveexec_b64 s[8:9], s[8:9]
                                        ; implicit-def: $sgpr10_sgpr11
	s_xor_b64 exec, exec, s[8:9]
	s_cbranch_execnz .LBB21_96
.LBB21_76:                              ;   in Loop: Header=BB21_37 Depth=1
	s_or_b64 exec, exec, s[8:9]
	v_pk_mov_b32 v[22:23], s[10:11], s[10:11] op_sel:[0,1]
	s_and_saveexec_b64 s[8:9], s[6:7]
.LBB21_77:                              ;   in Loop: Header=BB21_37 Depth=1
	v_lshrrev_b32_e32 v3, 24, v3
	v_and_or_b32 v22, v3, s16, v4
.LBB21_78:                              ;   in Loop: Header=BB21_37 Depth=1
	s_or_b64 exec, exec, s[8:9]
.LBB21_79:                              ;   in Loop: Header=BB21_37 Depth=1
	s_or_b64 exec, exec, s[0:1]
	v_cvt_f32_f16_sdwa v3, v5 dst_sel:DWORD dst_unused:UNUSED_PAD src0_sel:WORD_1
	v_div_scale_f32 v4, s[0:1], v0, v0, v3
	v_rcp_f32_e32 v5, v4
	v_div_scale_f32 v9, vcc, v3, v0, v3
	v_fma_f32 v11, -v4, v5, 1.0
	v_fmac_f32_e32 v5, v11, v5
	v_mul_f32_e32 v11, v9, v5
	v_fma_f32 v15, -v4, v11, v9
	v_fmac_f32_e32 v11, v15, v5
	v_fma_f32 v4, -v4, v11, v9
	v_div_fmas_f32 v4, v4, v5, v11
	v_div_fixup_f32 v3, v4, v0, v3
	v_max_f32_e32 v3, v3, v33
	v_min_f32_e32 v3, v3, v34
	v_and_b32_e32 v4, 0x7fffffff, v3
	v_cmp_gt_u32_e32 vcc, s12, v4
	s_and_saveexec_b64 s[0:1], vcc
	s_cbranch_execz .LBB21_36
; %bb.80:                               ;   in Loop: Header=BB21_37 Depth=1
	v_cmp_lt_u32_e32 vcc, s13, v4
	s_mov_b64 s[6:7], 0
                                        ; implicit-def: $vgpr4
	s_and_saveexec_b64 s[8:9], vcc
	s_xor_b64 s[8:9], exec, s[8:9]
	s_cbranch_execnz .LBB21_97
; %bb.81:                               ;   in Loop: Header=BB21_37 Depth=1
	s_or_saveexec_b64 s[8:9], s[8:9]
                                        ; implicit-def: $sgpr10_sgpr11
	s_xor_b64 exec, exec, s[8:9]
	s_cbranch_execnz .LBB21_98
.LBB21_82:                              ;   in Loop: Header=BB21_37 Depth=1
	s_or_b64 exec, exec, s[8:9]
	v_pk_mov_b32 v[20:21], s[10:11], s[10:11] op_sel:[0,1]
	s_and_saveexec_b64 s[8:9], s[6:7]
	s_cbranch_execz .LBB21_35
	s_branch .LBB21_99
.LBB21_83:                              ;   in Loop: Header=BB21_37 Depth=1
	v_bfe_u32 v9, v14, 20, 1
	v_add3_u32 v9, v14, v9, s14
	s_mov_b64 s[6:7], exec
	v_lshrrev_b32_e32 v9, 20, v9
	s_or_saveexec_b64 s[8:9], s[8:9]
                                        ; implicit-def: $sgpr10_sgpr11
	s_xor_b64 exec, exec, s[8:9]
	s_cbranch_execz .LBB21_40
.LBB21_84:                              ;   in Loop: Header=BB21_37 Depth=1
	v_add_f32_e64 v9, |v14|, s15
	v_and_b32_e32 v9, 0xff, v9
	v_cmp_ne_u32_e32 vcc, 0, v9
	s_andn2_b64 s[6:7], s[6:7], exec
	s_and_b64 s[26:27], vcc, exec
	s_mov_b64 s[10:11], 0
	s_or_b64 s[6:7], s[6:7], s[26:27]
	s_or_b64 exec, exec, s[8:9]
	v_pk_mov_b32 v[10:11], s[10:11], s[10:11] op_sel:[0,1]
	s_and_saveexec_b64 s[8:9], s[6:7]
	s_cbranch_execnz .LBB21_41
	s_branch .LBB21_42
.LBB21_85:                              ;   in Loop: Header=BB21_37 Depth=1
	v_bfe_u32 v8, v2, 20, 1
	v_add3_u32 v8, v2, v8, s14
	s_mov_b64 s[6:7], exec
	v_lshrrev_b32_e32 v11, 20, v8
	s_or_saveexec_b64 s[8:9], s[8:9]
                                        ; implicit-def: $sgpr10_sgpr11
	s_xor_b64 exec, exec, s[8:9]
	s_cbranch_execz .LBB21_46
.LBB21_86:                              ;   in Loop: Header=BB21_37 Depth=1
	v_add_f32_e64 v8, |v2|, s15
	v_and_b32_e32 v11, 0xff, v8
	v_cmp_ne_u32_e32 vcc, 0, v11
	s_andn2_b64 s[6:7], s[6:7], exec
	s_and_b64 s[26:27], vcc, exec
	s_mov_b64 s[10:11], 0
	s_or_b64 s[6:7], s[6:7], s[26:27]
	s_or_b64 exec, exec, s[8:9]
	v_pk_mov_b32 v[8:9], s[10:11], s[10:11] op_sel:[0,1]
	s_and_saveexec_b64 s[8:9], s[6:7]
	s_cbranch_execnz .LBB21_47
	s_branch .LBB21_48
.LBB21_87:                              ;   in Loop: Header=BB21_37 Depth=1
	v_bfe_u32 v9, v2, 20, 1
	v_add3_u32 v9, v2, v9, s14
	s_mov_b64 s[6:7], exec
	v_lshrrev_b32_e32 v9, 20, v9
	s_or_saveexec_b64 s[8:9], s[8:9]
                                        ; implicit-def: $sgpr10_sgpr11
	s_xor_b64 exec, exec, s[8:9]
	s_cbranch_execz .LBB21_52
.LBB21_88:                              ;   in Loop: Header=BB21_37 Depth=1
	v_add_f32_e64 v9, |v2|, s15
	v_and_b32_e32 v9, 0xff, v9
	v_cmp_ne_u32_e32 vcc, 0, v9
	s_andn2_b64 s[6:7], s[6:7], exec
	s_and_b64 s[26:27], vcc, exec
	s_mov_b64 s[10:11], 0
	s_or_b64 s[6:7], s[6:7], s[26:27]
	s_or_b64 exec, exec, s[8:9]
	v_pk_mov_b32 v[16:17], s[10:11], s[10:11] op_sel:[0,1]
	s_and_saveexec_b64 s[8:9], s[6:7]
	s_cbranch_execnz .LBB21_53
	s_branch .LBB21_54
.LBB21_89:                              ;   in Loop: Header=BB21_37 Depth=1
	v_bfe_u32 v3, v2, 20, 1
	v_add3_u32 v3, v2, v3, s14
	s_mov_b64 s[6:7], exec
	v_lshrrev_b32_e32 v3, 20, v3
	s_or_saveexec_b64 s[8:9], s[8:9]
                                        ; implicit-def: $sgpr10_sgpr11
	s_xor_b64 exec, exec, s[8:9]
	s_cbranch_execz .LBB21_58
.LBB21_90:                              ;   in Loop: Header=BB21_37 Depth=1
	v_add_f32_e64 v3, |v2|, s15
	v_and_b32_e32 v3, 0xff, v3
	v_cmp_ne_u32_e32 vcc, 0, v3
	s_andn2_b64 s[6:7], s[6:7], exec
	s_and_b64 s[26:27], vcc, exec
	s_mov_b64 s[10:11], 0
	s_or_b64 s[6:7], s[6:7], s[26:27]
	s_or_b64 exec, exec, s[8:9]
	v_pk_mov_b32 v[14:15], s[10:11], s[10:11] op_sel:[0,1]
	s_and_saveexec_b64 s[8:9], s[6:7]
	s_cbranch_execnz .LBB21_59
	s_branch .LBB21_60
.LBB21_91:                              ;   in Loop: Header=BB21_37 Depth=1
	v_bfe_u32 v3, v9, 20, 1
	v_add3_u32 v3, v9, v3, s14
	s_mov_b64 s[6:7], exec
	v_lshrrev_b32_e32 v3, 20, v3
	s_or_saveexec_b64 s[8:9], s[8:9]
                                        ; implicit-def: $sgpr10_sgpr11
	s_xor_b64 exec, exec, s[8:9]
	s_cbranch_execz .LBB21_64
.LBB21_92:                              ;   in Loop: Header=BB21_37 Depth=1
	v_add_f32_e64 v3, |v9|, s15
	v_and_b32_e32 v3, 0xff, v3
	v_cmp_ne_u32_e32 vcc, 0, v3
	s_andn2_b64 s[6:7], s[6:7], exec
	s_and_b64 s[26:27], vcc, exec
	s_mov_b64 s[10:11], 0
	s_or_b64 s[6:7], s[6:7], s[26:27]
	s_or_b64 exec, exec, s[8:9]
	v_pk_mov_b32 v[18:19], s[10:11], s[10:11] op_sel:[0,1]
	s_and_saveexec_b64 s[8:9], s[6:7]
	s_cbranch_execnz .LBB21_65
	s_branch .LBB21_66
.LBB21_93:                              ;   in Loop: Header=BB21_37 Depth=1
	v_bfe_u32 v2, v4, 20, 1
	v_add3_u32 v2, v4, v2, s14
	s_mov_b64 s[6:7], exec
	v_lshrrev_b32_e32 v9, 20, v2
	s_or_saveexec_b64 s[8:9], s[8:9]
                                        ; implicit-def: $sgpr10_sgpr11
	s_xor_b64 exec, exec, s[8:9]
	s_cbranch_execz .LBB21_70
.LBB21_94:                              ;   in Loop: Header=BB21_37 Depth=1
	v_add_f32_e64 v2, |v4|, s15
	v_and_b32_e32 v9, 0xff, v2
	v_cmp_ne_u32_e32 vcc, 0, v9
	s_andn2_b64 s[6:7], s[6:7], exec
	s_and_b64 s[26:27], vcc, exec
	s_mov_b64 s[10:11], 0
	s_or_b64 s[6:7], s[6:7], s[26:27]
	s_or_b64 exec, exec, s[8:9]
	v_pk_mov_b32 v[2:3], s[10:11], s[10:11] op_sel:[0,1]
	s_and_saveexec_b64 s[8:9], s[6:7]
	s_cbranch_execnz .LBB21_71
	s_branch .LBB21_72
.LBB21_95:                              ;   in Loop: Header=BB21_37 Depth=1
	v_bfe_u32 v4, v3, 20, 1
	v_add3_u32 v4, v3, v4, s14
	s_mov_b64 s[6:7], exec
	v_lshrrev_b32_e32 v4, 20, v4
	s_or_saveexec_b64 s[8:9], s[8:9]
                                        ; implicit-def: $sgpr10_sgpr11
	s_xor_b64 exec, exec, s[8:9]
	s_cbranch_execz .LBB21_76
.LBB21_96:                              ;   in Loop: Header=BB21_37 Depth=1
	v_add_f32_e64 v4, |v3|, s15
	v_and_b32_e32 v4, 0xff, v4
	v_cmp_ne_u32_e32 vcc, 0, v4
	s_andn2_b64 s[6:7], s[6:7], exec
	s_and_b64 s[26:27], vcc, exec
	s_mov_b64 s[10:11], 0
	s_or_b64 s[6:7], s[6:7], s[26:27]
	s_or_b64 exec, exec, s[8:9]
	v_pk_mov_b32 v[22:23], s[10:11], s[10:11] op_sel:[0,1]
	s_and_saveexec_b64 s[8:9], s[6:7]
	s_cbranch_execnz .LBB21_77
	s_branch .LBB21_78
.LBB21_97:                              ;   in Loop: Header=BB21_37 Depth=1
	v_bfe_u32 v4, v3, 20, 1
	v_add3_u32 v4, v3, v4, s14
	s_mov_b64 s[6:7], exec
	v_lshrrev_b32_e32 v4, 20, v4
	s_or_saveexec_b64 s[8:9], s[8:9]
                                        ; implicit-def: $sgpr10_sgpr11
	s_xor_b64 exec, exec, s[8:9]
	s_cbranch_execz .LBB21_82
.LBB21_98:                              ;   in Loop: Header=BB21_37 Depth=1
	v_add_f32_e64 v4, |v3|, s15
	v_and_b32_e32 v4, 0xff, v4
	v_cmp_ne_u32_e32 vcc, 0, v4
	s_andn2_b64 s[6:7], s[6:7], exec
	s_and_b64 s[26:27], vcc, exec
	s_mov_b64 s[10:11], 0
	s_or_b64 s[6:7], s[6:7], s[26:27]
	s_or_b64 exec, exec, s[8:9]
	v_pk_mov_b32 v[20:21], s[10:11], s[10:11] op_sel:[0,1]
	s_and_saveexec_b64 s[8:9], s[6:7]
	s_cbranch_execz .LBB21_35
.LBB21_99:                              ;   in Loop: Header=BB21_37 Depth=1
	v_lshrrev_b32_e32 v3, 24, v3
	v_and_or_b32 v20, v3, s16, v4
	s_branch .LBB21_35
.LBB21_100:
	s_or_b64 exec, exec, s[2:3]
	v_lshlrev_b32_e32 v4, 3, v31
	v_add_u32_e32 v2, v4, v24
	v_cmp_lt_i32_e32 vcc, v2, v26
	s_and_saveexec_b64 s[24:25], vcc
	s_cbranch_execz .LBB21_118
; %bb.101:
	v_add_u32_e32 v3, 16, v2
	v_max_i32_e32 v5, v3, v26
	v_xad_u32 v5, v24, -1, v5
	v_sub_u32_e32 v4, v5, v4
	v_cmp_lt_u32_e32 vcc, 47, v4
	s_mov_b64 s[0:1], 0
                                        ; implicit-def: $vgpr20
	s_and_saveexec_b64 s[2:3], vcc
	s_xor_b64 s[26:27], exec, s[2:3]
	s_cbranch_execnz .LBB21_104
; %bb.102:
	s_andn2_saveexec_b64 s[2:3], s[26:27]
	s_cbranch_execnz .LBB21_107
.LBB21_103:
	s_or_b64 exec, exec, s[2:3]
	s_and_b64 exec, exec, s[0:1]
	s_cbranch_execnz .LBB21_108
	s_branch .LBB21_118
.LBB21_104:
	v_lshrrev_b32_e32 v4, 4, v4
	v_lshlrev_b32_e32 v20, 1, v25
	v_lshlrev_b32_e32 v8, 4, v31
	;; [unrolled: 1-line block ×3, first 2 shown]
	v_add_u32_e32 v21, 1, v4
	v_add_u32_e32 v5, 48, v2
	;; [unrolled: 1-line block ×3, first 2 shown]
	v_add3_u32 v8, v20, v8, v29
	v_lshlrev_b32_e32 v9, 1, v24
	v_add_co_u32_e32 v23, vcc, v1, v27
	v_and_b32_e32 v22, 0x1ffffffc, v21
	s_mov_b32 s0, s18
	s_mov_b32 s1, s18
	;; [unrolled: 1-line block ×8, first 2 shown]
	v_add3_u32 v24, v8, v9, 0
	v_pk_mov_b32 v[10:11], v[4:5], v[4:5] op_sel:[0,1]
	v_addc_co_u32_e32 v30, vcc, v30, v28, vcc
	v_mov_b32_e32 v1, v0
	v_mov_b32_e32 v6, v0
	;; [unrolled: 1-line block ×3, first 2 shown]
	s_mov_b64 s[28:29], 0
	v_max_f32_e64 v25, s3, s3
	v_max_f32_e64 v31, s2, s2
	;; [unrolled: 1-line block ×8, first 2 shown]
	s_mov_b32 s33, 0x43800000
	s_brev_b32 s34, 60
	s_mov_b32 s35, 0x487ffff
	s_mov_b32 s30, 0x46000000
	s_movk_i32 s36, 0x80
	v_mov_b32_e32 v38, 0xffffff80
	v_mov_b32_e32 v39, 0
	;; [unrolled: 1-line block ×3, first 2 shown]
	v_pk_mov_b32 v[8:9], v[2:3], v[2:3] op_sel:[0,1]
.LBB21_105:                             ; =>This Inner Loop Header: Depth=1
	ds_read_u16 v41, v24
	ds_read_u16 v42, v24 offset:32
	ds_read_u16 v43, v24 offset:64
	ds_read_u16 v44, v24 offset:96
	v_ashrrev_i32_e32 v3, 31, v11
	v_ashrrev_i32_e32 v5, 31, v9
	;; [unrolled: 1-line block ×3, first 2 shown]
	v_add_co_u32_e32 v4, vcc, v23, v9
	v_add_co_u32_e64 v16, s[2:3], v23, v11
	v_add_co_u32_e64 v18, s[4:5], v23, v8
	s_waitcnt lgkmcnt(3)
	v_cvt_f32_f16_e32 v41, v41
	v_addc_co_u32_e64 v19, s[4:5], v30, v17, s[4:5]
	v_addc_co_u32_e32 v5, vcc, v30, v5, vcc
	v_addc_co_u32_e64 v17, vcc, v30, v3, s[2:3]
	s_waitcnt lgkmcnt(0)
	v_cvt_f32_f16_e32 v3, v44
	v_cvt_f32_f16_e32 v42, v42
	;; [unrolled: 1-line block ×3, first 2 shown]
	v_ashrrev_i32_e32 v15, 31, v10
	v_add_co_u32_e64 v14, s[0:1], v23, v10
	v_addc_co_u32_e64 v15, vcc, v30, v15, s[0:1]
	v_div_scale_f32 v44, s[0:1], v0, v0, v41
	v_div_scale_f32 v46, s[0:1], v1, v1, v42
	;; [unrolled: 1-line block ×3, first 2 shown]
	v_rcp_f32_e32 v51, v44
	v_div_scale_f32 v48, s[2:3], v6, v6, v43
	v_rcp_f32_e32 v52, v46
	v_rcp_f32_e32 v54, v50
	;; [unrolled: 1-line block ×3, first 2 shown]
	v_fma_f32 v55, -v44, v51, 1.0
	v_div_scale_f32 v45, vcc, v41, v0, v41
	v_fma_f32 v56, -v46, v52, 1.0
	v_fmac_f32_e32 v51, v55, v51
	v_fma_f32 v55, -v50, v54, 1.0
	v_div_scale_f32 v47, s[0:1], v42, v1, v42
	v_fma_f32 v57, -v48, v53, 1.0
	v_fmac_f32_e32 v52, v56, v52
	v_fmac_f32_e32 v54, v55, v54
	v_mul_f32_e32 v55, v45, v51
	v_fmac_f32_e32 v53, v57, v53
	v_mul_f32_e32 v56, v47, v52
	v_fma_f32 v57, -v44, v55, v45
	v_div_scale_f32 v49, s[2:3], v43, v6, v43
	v_fmac_f32_e32 v55, v57, v51
	v_fma_f32 v57, -v46, v56, v47
	v_fmac_f32_e32 v56, v57, v52
	v_mul_f32_e32 v57, v49, v53
	v_fma_f32 v58, -v48, v57, v49
	v_fmac_f32_e32 v57, v58, v53
	v_div_scale_f32 v58, s[4:5], v3, v7, v3
	v_mul_f32_e32 v59, v58, v54
	v_fma_f32 v44, -v44, v55, v45
	v_fma_f32 v60, -v50, v59, v58
	;; [unrolled: 1-line block ×3, first 2 shown]
	v_div_fmas_f32 v44, v44, v51, v55
	s_mov_b64 vcc, s[0:1]
	v_fmac_f32_e32 v59, v60, v54
	v_fma_f32 v46, -v48, v57, v49
	v_div_fixup_f32 v41, v44, v0, v41
	v_div_fmas_f32 v44, v45, v52, v56
	s_mov_b64 vcc, s[2:3]
	v_fma_f32 v47, -v50, v59, v58
	v_div_fixup_f32 v42, v44, v1, v42
	v_div_fmas_f32 v44, v46, v53, v57
	v_max_f32_e32 v41, v41, v33
	s_mov_b64 vcc, s[4:5]
	v_div_fixup_f32 v43, v44, v6, v43
	v_div_fmas_f32 v44, v47, v54, v59
	v_max_f32_e32 v42, v42, v32
	v_min_f32_e32 v41, v41, v34
	v_div_fixup_f32 v3, v44, v7, v3
	v_max_f32_e32 v43, v43, v31
	v_min_f32_e32 v45, v42, v35
	v_and_b32_e32 v42, 0x7fffffff, v41
	v_bfe_u32 v44, v41, 20, 1
	v_lshrrev_b32_e32 v46, 24, v41
	v_max_f32_e32 v3, v3, v25
	v_min_f32_e32 v47, v43, v36
	v_and_b32_e32 v43, 0x7fffffff, v45
	v_cmp_gt_u32_e32 vcc, s33, v42
	v_cmp_gt_u32_e64 s[0:1], s34, v42
	v_bfe_u32 v48, v45, 20, 1
	v_add3_u32 v41, v41, v44, s35
	v_min_f32_e32 v3, v3, v37
	v_and_b32_e32 v44, 0x7fffffff, v47
	v_cmp_gt_u32_e64 s[2:3], s33, v43
	v_cmp_gt_u32_e64 s[4:5], s34, v43
	v_bfe_u32 v50, v47, 20, 1
	v_add3_u32 v48, v45, v48, s35
	v_lshrrev_b32_e32 v41, 20, v41
	v_pk_add_f32 v[42:43], v[42:43], s[30:31] op_sel_hi:[1,0]
	s_xor_b64 s[8:9], s[0:1], vcc
	v_lshrrev_b32_e32 v49, 24, v45
	v_lshrrev_b32_e32 v51, 24, v47
	v_and_b32_e32 v45, 0x7fffffff, v3
	v_cmp_gt_u32_e64 s[10:11], s33, v44
	v_cmp_gt_u32_e64 s[12:13], s34, v44
	v_bfe_u32 v52, v3, 20, 1
	v_add3_u32 v47, v47, v50, s35
	v_lshrrev_b32_e32 v48, 20, v48
	v_cndmask_b32_e64 v41, v42, v41, s[8:9]
	s_xor_b64 s[8:9], s[4:5], s[2:3]
	v_cmp_eq_u32_sdwa s[38:39], v43, v39 src0_sel:BYTE_0 src1_sel:DWORD
	v_cmp_eq_u32_sdwa s[40:41], v42, v39 src0_sel:BYTE_0 src1_sel:DWORD
	v_lshrrev_b32_e32 v42, 24, v3
	v_cmp_gt_u32_e64 s[14:15], s33, v45
	v_cmp_gt_u32_e64 s[16:17], s34, v45
	v_add3_u32 v3, v3, v52, s35
	v_lshrrev_b32_e32 v47, 20, v47
	v_pk_add_f32 v[44:45], v[44:45], s[30:31] op_sel_hi:[1,0]
	v_cndmask_b32_e64 v43, v43, v48, s[8:9]
	v_and_or_b32 v41, v46, s36, v41
	s_xor_b64 s[8:9], s[12:13], s[10:11]
	v_lshrrev_b32_e32 v3, 20, v3
	v_cmp_eq_u32_sdwa s[44:45], v44, v39 src0_sel:BYTE_0 src1_sel:DWORD
	v_cndmask_b32_e64 v44, v44, v47, s[8:9]
	v_cndmask_b32_e32 v41, v38, v41, vcc
	s_xor_b64 vcc, s[16:17], s[14:15]
	s_and_b64 s[0:1], s[0:1], s[40:41]
	v_cndmask_b32_e32 v3, v45, v3, vcc
	v_and_or_b32 v44, v51, s36, v44
	v_cmp_eq_u32_sdwa s[42:43], v45, v39 src0_sel:BYTE_0 src1_sel:DWORD
	v_and_or_b32 v43, v49, s36, v43
	v_cndmask_b32_e64 v41, v41, 0, s[0:1]
	v_and_or_b32 v3, v42, s36, v3
	v_cndmask_b32_e64 v42, v38, v44, s[10:11]
	s_and_b64 s[0:1], s[12:13], s[44:45]
	v_cndmask_b32_e64 v43, v38, v43, s[2:3]
	s_and_b64 s[2:3], s[4:5], s[38:39]
	global_store_byte v[18:19], v41, off
	v_cndmask_b32_e64 v3, v38, v3, s[14:15]
	v_cndmask_b32_e64 v18, v42, 0, s[0:1]
	s_and_b64 s[0:1], s[16:17], s[42:43]
	v_cndmask_b32_e64 v43, v43, 0, s[2:3]
	v_cndmask_b32_e64 v3, v3, 0, s[0:1]
	v_add_u32_e32 v40, -4, v40
	v_lshlrev_b16_e32 v19, 8, v43
	v_lshlrev_b16_e32 v3, 8, v3
	v_cmp_eq_u32_e64 s[6:7], 0, v40
	v_lshrrev_b32_e32 v19, 8, v19
	v_or_b32_sdwa v3, v18, v3 dst_sel:DWORD dst_unused:UNUSED_PAD src0_sel:BYTE_0 src1_sel:DWORD
	v_add_u32_e32 v11, 64, v11
	v_add_u32_e32 v10, 64, v10
	;; [unrolled: 1-line block ×5, first 2 shown]
	s_or_b64 s[28:29], s[6:7], s[28:29]
	global_store_byte v[4:5], v19, off
	global_store_byte v[14:15], v3, off
	v_lshrrev_b32_e32 v3, 8, v3
	global_store_byte v[16:17], v3, off
	s_andn2_b64 exec, exec, s[28:29]
	s_cbranch_execnz .LBB21_105
; %bb.106:
	s_or_b64 exec, exec, s[28:29]
	v_cmp_ne_u32_e32 vcc, v21, v22
	v_lshl_add_u32 v2, v22, 4, v2
	s_and_b64 s[0:1], vcc, exec
                                        ; implicit-def: $vgpr25
	s_andn2_saveexec_b64 s[2:3], s[26:27]
	s_cbranch_execz .LBB21_103
.LBB21_107:
	v_lshlrev_b32_e32 v20, 1, v25
	s_or_b64 s[0:1], s[0:1], exec
	s_or_b64 exec, exec, s[2:3]
	s_and_b64 exec, exec, s[0:1]
	s_cbranch_execz .LBB21_118
.LBB21_108:
	v_add_co_u32_e32 v3, vcc, v27, v12
	v_addc_co_u32_e32 v4, vcc, v28, v13, vcc
	v_ashrrev_i32_e32 v5, 31, v2
	v_add_co_u32_e32 v3, vcc, v3, v2
	v_addc_co_u32_e32 v5, vcc, v4, v5, vcc
	v_lshl_add_u32 v1, v2, 1, v20
	v_mov_b32_e32 v6, s21
	v_add_co_u32_e32 v4, vcc, s20, v3
	v_add3_u32 v1, v1, v29, 0
	v_addc_co_u32_e32 v5, vcc, v6, v5, vcc
	s_mov_b64 s[0:1], 0
	v_max_f32_e64 v3, s18, s18
	v_max_f32_e64 v6, s19, s19
	s_mov_b32 s8, 0x43800000
	s_mov_b32 s9, 0x3bffffff
	;; [unrolled: 1-line block ×4, first 2 shown]
	s_movk_i32 s12, 0x80
	s_branch .LBB21_111
.LBB21_109:                             ;   in Loop: Header=BB21_111 Depth=1
	s_or_b64 exec, exec, s[6:7]
.LBB21_110:                             ;   in Loop: Header=BB21_111 Depth=1
	s_or_b64 exec, exec, s[2:3]
	v_add_u32_e32 v2, 16, v2
	v_cmp_ge_i32_e32 vcc, v2, v26
	global_store_byte v[4:5], v9, off
	s_or_b64 s[0:1], vcc, s[0:1]
	v_add_co_u32_e32 v4, vcc, 16, v4
	v_add_u32_e32 v1, 32, v1
	v_addc_co_u32_e32 v5, vcc, 0, v5, vcc
	s_andn2_b64 exec, exec, s[0:1]
	s_cbranch_execz .LBB21_118
.LBB21_111:                             ; =>This Inner Loop Header: Depth=1
	ds_read_u16 v7, v1
	s_waitcnt lgkmcnt(0)
	v_cvt_f32_f16_e32 v7, v7
	v_div_scale_f32 v8, s[2:3], v0, v0, v7
	v_rcp_f32_e32 v9, v8
	v_div_scale_f32 v10, vcc, v7, v0, v7
	v_fma_f32 v11, -v8, v9, 1.0
	v_fmac_f32_e32 v9, v11, v9
	v_mul_f32_e32 v11, v10, v9
	v_fma_f32 v12, -v8, v11, v10
	v_fmac_f32_e32 v11, v12, v9
	v_fma_f32 v8, -v8, v11, v10
	v_div_fmas_f32 v8, v8, v9, v11
	v_div_fixup_f32 v7, v8, v0, v7
	v_max_f32_e32 v7, v7, v3
	v_min_f32_e32 v7, v7, v6
	v_and_b32_e32 v8, 0x7fffffff, v7
	v_cmp_gt_u32_e32 vcc, s8, v8
	v_mov_b32_e32 v9, 0x80
	s_and_saveexec_b64 s[2:3], vcc
	s_cbranch_execz .LBB21_110
; %bb.112:                              ;   in Loop: Header=BB21_111 Depth=1
	v_cmp_lt_u32_e32 vcc, s9, v8
	s_mov_b64 s[4:5], 0
                                        ; implicit-def: $vgpr8
	s_and_saveexec_b64 s[6:7], vcc
	s_xor_b64 s[6:7], exec, s[6:7]
	s_cbranch_execnz .LBB21_115
; %bb.113:                              ;   in Loop: Header=BB21_111 Depth=1
	s_or_saveexec_b64 s[6:7], s[6:7]
                                        ; implicit-def: $sgpr13
	s_xor_b64 exec, exec, s[6:7]
	s_cbranch_execnz .LBB21_116
.LBB21_114:                             ;   in Loop: Header=BB21_111 Depth=1
	s_or_b64 exec, exec, s[6:7]
	v_mov_b32_e32 v9, s13
	s_and_saveexec_b64 s[6:7], s[4:5]
	s_cbranch_execz .LBB21_109
	s_branch .LBB21_117
.LBB21_115:                             ;   in Loop: Header=BB21_111 Depth=1
	v_bfe_u32 v8, v7, 20, 1
	v_add3_u32 v8, v7, v8, s10
	s_mov_b64 s[4:5], exec
	v_lshrrev_b32_e32 v8, 20, v8
	s_or_saveexec_b64 s[6:7], s[6:7]
                                        ; implicit-def: $sgpr13
	s_xor_b64 exec, exec, s[6:7]
	s_cbranch_execz .LBB21_114
.LBB21_116:                             ;   in Loop: Header=BB21_111 Depth=1
	v_add_f32_e64 v8, |v7|, s11
	v_and_b32_e32 v8, 0xff, v8
	v_cmp_ne_u32_e32 vcc, 0, v8
	s_andn2_b64 s[4:5], s[4:5], exec
	s_and_b64 s[14:15], vcc, exec
	s_mov_b32 s13, 0
	s_or_b64 s[4:5], s[4:5], s[14:15]
	s_or_b64 exec, exec, s[6:7]
	v_mov_b32_e32 v9, s13
	s_and_saveexec_b64 s[6:7], s[4:5]
	s_cbranch_execz .LBB21_109
.LBB21_117:                             ;   in Loop: Header=BB21_111 Depth=1
	v_lshrrev_b32_e32 v7, 24, v7
	v_and_or_b32 v9, v7, s12, v8
	s_branch .LBB21_109
.LBB21_118:
	s_or_b64 exec, exec, s[24:25]
                                        ; implicit-def: $vgpr24
                                        ; implicit-def: $vgpr0
                                        ; implicit-def: $vgpr25
                                        ; implicit-def: $vgpr12_vgpr13
.LBB21_119:
	s_andn2_saveexec_b64 s[0:1], s[22:23]
	s_cbranch_execz .LBB21_187
; %bb.120:
	s_ashr_i32 s10, s31, 3
	v_cmp_gt_i32_e32 vcc, s10, v24
	s_and_saveexec_b64 s[0:1], vcc
	s_cbranch_execz .LBB21_187
; %bb.121:
	v_lshlrev_b32_e32 v1, 1, v25
	v_lshlrev_b32_e32 v2, 4, v24
	v_add3_u32 v1, v1, v2, 0
	v_lshlrev_b32_e32 v2, 3, v24
	v_add_co_u32_e32 v2, vcc, v12, v2
	v_addc_co_u32_e32 v3, vcc, 0, v13, vcc
	v_mov_b32_e32 v4, s21
	v_add_co_u32_e32 v6, vcc, s20, v2
	v_addc_co_u32_e32 v7, vcc, v4, v3, vcc
	s_mov_b64 s[2:3], 0
	v_max_f32_e64 v22, s18, s18
	v_max_f32_e64 v23, s19, s19
	s_mov_b32 s11, 0x43800000
	s_mov_b32 s12, 0x3bffffff
	;; [unrolled: 1-line block ×4, first 2 shown]
	s_movk_i32 s15, 0x80
	s_mov_b32 s16, 0xff00
	s_mov_b32 s17, 0x4020c0c
	s_branch .LBB21_124
.LBB21_122:                             ;   in Loop: Header=BB21_124 Depth=1
	s_or_b64 exec, exec, s[6:7]
.LBB21_123:                             ;   in Loop: Header=BB21_124 Depth=1
	s_or_b64 exec, exec, s[0:1]
	v_lshlrev_b32_e32 v4, 16, v20
	v_lshlrev_b32_e32 v3, 24, v18
	v_and_b32_e32 v4, 0xff0000, v4
	v_lshlrev_b32_e32 v2, 8, v2
	v_or_b32_e32 v3, v3, v4
	v_and_b32_e32 v2, 0xff00, v2
	v_and_b32_e32 v4, 0xff, v16
	v_or3_b32 v3, v3, v2, v4
	v_lshlrev_b32_e32 v2, 16, v14
	v_lshlrev_b32_e32 v4, 8, v8
	v_perm_b32 v2, v12, v2, s17
	v_and_or_b32 v2, v4, s16, v2
	v_or_b32_sdwa v2, v2, v10 dst_sel:DWORD dst_unused:UNUSED_PAD src0_sel:DWORD src1_sel:BYTE_0
	v_add_u32_e32 v24, 16, v24
	global_store_dwordx2 v[6:7], v[2:3], off
	v_add_co_u32_e32 v6, vcc, 0x80, v6
	v_cmp_le_i32_e64 s[0:1], s10, v24
	v_add_u32_e32 v1, 0x100, v1
	s_or_b64 s[2:3], s[0:1], s[2:3]
	v_addc_co_u32_e32 v7, vcc, 0, v7, vcc
	s_andn2_b64 exec, exec, s[2:3]
	s_cbranch_execz .LBB21_187
.LBB21_124:                             ; =>This Inner Loop Header: Depth=1
	ds_read_b128 v[2:5], v1
	v_mov_b32_e32 v8, 0x80
	v_mov_b32_e32 v9, 0
	s_waitcnt lgkmcnt(0)
	v_cvt_f32_f16_e32 v10, v2
	v_div_scale_f32 v11, s[0:1], v0, v0, v10
	v_rcp_f32_e32 v12, v11
	v_div_scale_f32 v13, vcc, v10, v0, v10
	v_fma_f32 v14, -v11, v12, 1.0
	v_fmac_f32_e32 v12, v14, v12
	v_mul_f32_e32 v14, v13, v12
	v_fma_f32 v15, -v11, v14, v13
	v_fmac_f32_e32 v14, v15, v12
	v_fma_f32 v11, -v11, v14, v13
	v_div_fmas_f32 v11, v11, v12, v14
	v_div_fixup_f32 v10, v11, v0, v10
	v_max_f32_e32 v10, v10, v22
	v_min_f32_e32 v12, v10, v23
	v_and_b32_e32 v13, 0x7fffffff, v12
	v_cmp_gt_u32_e32 vcc, s11, v13
	v_pk_mov_b32 v[10:11], v[8:9], v[8:9] op_sel:[0,1]
	s_and_saveexec_b64 s[0:1], vcc
	s_cbranch_execz .LBB21_130
; %bb.125:                              ;   in Loop: Header=BB21_124 Depth=1
	v_cmp_lt_u32_e32 vcc, s12, v13
	s_mov_b64 s[4:5], 0
                                        ; implicit-def: $vgpr9
	s_and_saveexec_b64 s[6:7], vcc
	s_xor_b64 s[6:7], exec, s[6:7]
	s_cbranch_execnz .LBB21_170
; %bb.126:                              ;   in Loop: Header=BB21_124 Depth=1
	s_or_saveexec_b64 s[6:7], s[6:7]
                                        ; implicit-def: $sgpr8_sgpr9
	s_xor_b64 exec, exec, s[6:7]
	s_cbranch_execnz .LBB21_171
.LBB21_127:                             ;   in Loop: Header=BB21_124 Depth=1
	s_or_b64 exec, exec, s[6:7]
	v_pk_mov_b32 v[10:11], s[8:9], s[8:9] op_sel:[0,1]
	s_and_saveexec_b64 s[6:7], s[4:5]
.LBB21_128:                             ;   in Loop: Header=BB21_124 Depth=1
	v_lshrrev_b32_e32 v10, 24, v12
	v_and_or_b32 v10, v10, s15, v9
.LBB21_129:                             ;   in Loop: Header=BB21_124 Depth=1
	s_or_b64 exec, exec, s[6:7]
.LBB21_130:                             ;   in Loop: Header=BB21_124 Depth=1
	s_or_b64 exec, exec, s[0:1]
	v_cvt_f32_f16_sdwa v2, v2 dst_sel:DWORD dst_unused:UNUSED_PAD src0_sel:WORD_1
	v_div_scale_f32 v9, s[0:1], v0, v0, v2
	v_rcp_f32_e32 v11, v9
	v_div_scale_f32 v12, vcc, v2, v0, v2
	v_fma_f32 v13, -v9, v11, 1.0
	v_fmac_f32_e32 v11, v13, v11
	v_mul_f32_e32 v13, v12, v11
	v_fma_f32 v14, -v9, v13, v12
	v_fmac_f32_e32 v13, v14, v11
	v_fma_f32 v9, -v9, v13, v12
	v_div_fmas_f32 v9, v9, v11, v13
	v_div_fixup_f32 v2, v9, v0, v2
	v_max_f32_e32 v2, v2, v22
	v_min_f32_e32 v2, v2, v23
	v_and_b32_e32 v9, 0x7fffffff, v2
	v_cmp_gt_u32_e32 vcc, s11, v9
	s_and_saveexec_b64 s[0:1], vcc
	s_cbranch_execz .LBB21_136
; %bb.131:                              ;   in Loop: Header=BB21_124 Depth=1
	v_cmp_lt_u32_e32 vcc, s12, v9
	s_mov_b64 s[4:5], 0
                                        ; implicit-def: $vgpr11
	s_and_saveexec_b64 s[6:7], vcc
	s_xor_b64 s[6:7], exec, s[6:7]
	s_cbranch_execnz .LBB21_172
; %bb.132:                              ;   in Loop: Header=BB21_124 Depth=1
	s_or_saveexec_b64 s[6:7], s[6:7]
                                        ; implicit-def: $sgpr8_sgpr9
	s_xor_b64 exec, exec, s[6:7]
	s_cbranch_execnz .LBB21_173
.LBB21_133:                             ;   in Loop: Header=BB21_124 Depth=1
	s_or_b64 exec, exec, s[6:7]
	v_pk_mov_b32 v[8:9], s[8:9], s[8:9] op_sel:[0,1]
	s_and_saveexec_b64 s[6:7], s[4:5]
.LBB21_134:                             ;   in Loop: Header=BB21_124 Depth=1
	v_lshrrev_b32_e32 v2, 24, v2
	v_and_or_b32 v8, v2, s15, v11
.LBB21_135:                             ;   in Loop: Header=BB21_124 Depth=1
	s_or_b64 exec, exec, s[6:7]
.LBB21_136:                             ;   in Loop: Header=BB21_124 Depth=1
	s_or_b64 exec, exec, s[0:1]
	v_cvt_f32_f16_e32 v2, v3
	v_mov_b32_e32 v12, 0x80
	v_mov_b32_e32 v13, 0
	v_div_scale_f32 v9, s[0:1], v0, v0, v2
	v_rcp_f32_e32 v11, v9
	v_div_scale_f32 v14, vcc, v2, v0, v2
	v_fma_f32 v15, -v9, v11, 1.0
	v_fmac_f32_e32 v11, v15, v11
	v_mul_f32_e32 v15, v14, v11
	v_fma_f32 v16, -v9, v15, v14
	v_fmac_f32_e32 v15, v16, v11
	v_fma_f32 v9, -v9, v15, v14
	v_div_fmas_f32 v9, v9, v11, v15
	v_div_fixup_f32 v2, v9, v0, v2
	v_max_f32_e32 v2, v2, v22
	v_min_f32_e32 v2, v2, v23
	v_and_b32_e32 v9, 0x7fffffff, v2
	v_cmp_gt_u32_e32 vcc, s11, v9
	v_pk_mov_b32 v[14:15], v[12:13], v[12:13] op_sel:[0,1]
	s_and_saveexec_b64 s[0:1], vcc
	s_cbranch_execz .LBB21_142
; %bb.137:                              ;   in Loop: Header=BB21_124 Depth=1
	v_cmp_lt_u32_e32 vcc, s12, v9
	s_mov_b64 s[4:5], 0
                                        ; implicit-def: $vgpr9
	s_and_saveexec_b64 s[6:7], vcc
	s_xor_b64 s[6:7], exec, s[6:7]
	s_cbranch_execnz .LBB21_174
; %bb.138:                              ;   in Loop: Header=BB21_124 Depth=1
	s_or_saveexec_b64 s[6:7], s[6:7]
                                        ; implicit-def: $sgpr8_sgpr9
	s_xor_b64 exec, exec, s[6:7]
	s_cbranch_execnz .LBB21_175
.LBB21_139:                             ;   in Loop: Header=BB21_124 Depth=1
	s_or_b64 exec, exec, s[6:7]
	v_pk_mov_b32 v[14:15], s[8:9], s[8:9] op_sel:[0,1]
	s_and_saveexec_b64 s[6:7], s[4:5]
.LBB21_140:                             ;   in Loop: Header=BB21_124 Depth=1
	v_lshrrev_b32_e32 v2, 24, v2
	v_and_or_b32 v14, v2, s15, v9
.LBB21_141:                             ;   in Loop: Header=BB21_124 Depth=1
	s_or_b64 exec, exec, s[6:7]
.LBB21_142:                             ;   in Loop: Header=BB21_124 Depth=1
	s_or_b64 exec, exec, s[0:1]
	v_cvt_f32_f16_sdwa v2, v3 dst_sel:DWORD dst_unused:UNUSED_PAD src0_sel:WORD_1
	v_div_scale_f32 v3, s[0:1], v0, v0, v2
	v_rcp_f32_e32 v9, v3
	v_div_scale_f32 v11, vcc, v2, v0, v2
	v_fma_f32 v13, -v3, v9, 1.0
	v_fmac_f32_e32 v9, v13, v9
	v_mul_f32_e32 v13, v11, v9
	v_fma_f32 v15, -v3, v13, v11
	v_fmac_f32_e32 v13, v15, v9
	v_fma_f32 v3, -v3, v13, v11
	v_div_fmas_f32 v3, v3, v9, v13
	v_div_fixup_f32 v2, v3, v0, v2
	v_max_f32_e32 v2, v2, v22
	v_min_f32_e32 v2, v2, v23
	v_and_b32_e32 v3, 0x7fffffff, v2
	v_cmp_gt_u32_e32 vcc, s11, v3
	s_and_saveexec_b64 s[0:1], vcc
	s_cbranch_execz .LBB21_148
; %bb.143:                              ;   in Loop: Header=BB21_124 Depth=1
	v_cmp_lt_u32_e32 vcc, s12, v3
	s_mov_b64 s[4:5], 0
                                        ; implicit-def: $vgpr3
	s_and_saveexec_b64 s[6:7], vcc
	s_xor_b64 s[6:7], exec, s[6:7]
	s_cbranch_execnz .LBB21_176
; %bb.144:                              ;   in Loop: Header=BB21_124 Depth=1
	s_or_saveexec_b64 s[6:7], s[6:7]
                                        ; implicit-def: $sgpr8_sgpr9
	s_xor_b64 exec, exec, s[6:7]
	s_cbranch_execnz .LBB21_177
.LBB21_145:                             ;   in Loop: Header=BB21_124 Depth=1
	s_or_b64 exec, exec, s[6:7]
	v_pk_mov_b32 v[12:13], s[8:9], s[8:9] op_sel:[0,1]
	s_and_saveexec_b64 s[6:7], s[4:5]
.LBB21_146:                             ;   in Loop: Header=BB21_124 Depth=1
	v_lshrrev_b32_e32 v2, 24, v2
	v_and_or_b32 v12, v2, s15, v3
.LBB21_147:                             ;   in Loop: Header=BB21_124 Depth=1
	s_or_b64 exec, exec, s[6:7]
.LBB21_148:                             ;   in Loop: Header=BB21_124 Depth=1
	s_or_b64 exec, exec, s[0:1]
	v_cvt_f32_f16_e32 v9, v4
	v_mov_b32_e32 v2, 0x80
	v_mov_b32_e32 v3, 0
	v_div_scale_f32 v11, s[0:1], v0, v0, v9
	v_rcp_f32_e32 v13, v11
	v_div_scale_f32 v15, vcc, v9, v0, v9
	v_fma_f32 v16, -v11, v13, 1.0
	v_fmac_f32_e32 v13, v16, v13
	v_mul_f32_e32 v16, v15, v13
	v_fma_f32 v17, -v11, v16, v15
	v_fmac_f32_e32 v16, v17, v13
	v_fma_f32 v11, -v11, v16, v15
	v_div_fmas_f32 v11, v11, v13, v16
	v_div_fixup_f32 v9, v11, v0, v9
	v_max_f32_e32 v9, v9, v22
	v_min_f32_e32 v9, v9, v23
	v_and_b32_e32 v11, 0x7fffffff, v9
	v_cmp_gt_u32_e32 vcc, s11, v11
	v_pk_mov_b32 v[16:17], v[2:3], v[2:3] op_sel:[0,1]
	s_and_saveexec_b64 s[0:1], vcc
	s_cbranch_execz .LBB21_154
; %bb.149:                              ;   in Loop: Header=BB21_124 Depth=1
	v_cmp_lt_u32_e32 vcc, s12, v11
	s_mov_b64 s[4:5], 0
                                        ; implicit-def: $vgpr3
	s_and_saveexec_b64 s[6:7], vcc
	s_xor_b64 s[6:7], exec, s[6:7]
	s_cbranch_execnz .LBB21_178
; %bb.150:                              ;   in Loop: Header=BB21_124 Depth=1
	s_or_saveexec_b64 s[6:7], s[6:7]
                                        ; implicit-def: $sgpr8_sgpr9
	s_xor_b64 exec, exec, s[6:7]
	s_cbranch_execnz .LBB21_179
.LBB21_151:                             ;   in Loop: Header=BB21_124 Depth=1
	s_or_b64 exec, exec, s[6:7]
	v_pk_mov_b32 v[16:17], s[8:9], s[8:9] op_sel:[0,1]
	s_and_saveexec_b64 s[6:7], s[4:5]
.LBB21_152:                             ;   in Loop: Header=BB21_124 Depth=1
	v_lshrrev_b32_e32 v9, 24, v9
	v_and_or_b32 v16, v9, s15, v3
.LBB21_153:                             ;   in Loop: Header=BB21_124 Depth=1
	s_or_b64 exec, exec, s[6:7]
.LBB21_154:                             ;   in Loop: Header=BB21_124 Depth=1
	s_or_b64 exec, exec, s[0:1]
	v_cvt_f32_f16_sdwa v3, v4 dst_sel:DWORD dst_unused:UNUSED_PAD src0_sel:WORD_1
	v_div_scale_f32 v4, s[0:1], v0, v0, v3
	v_rcp_f32_e32 v9, v4
	v_div_scale_f32 v11, vcc, v3, v0, v3
	v_fma_f32 v13, -v4, v9, 1.0
	v_fmac_f32_e32 v9, v13, v9
	v_mul_f32_e32 v13, v11, v9
	v_fma_f32 v15, -v4, v13, v11
	v_fmac_f32_e32 v13, v15, v9
	v_fma_f32 v4, -v4, v13, v11
	v_div_fmas_f32 v4, v4, v9, v13
	v_div_fixup_f32 v3, v4, v0, v3
	v_max_f32_e32 v3, v3, v22
	v_min_f32_e32 v4, v3, v23
	v_and_b32_e32 v3, 0x7fffffff, v4
	v_cmp_gt_u32_e32 vcc, s11, v3
	s_and_saveexec_b64 s[0:1], vcc
	s_cbranch_execz .LBB21_160
; %bb.155:                              ;   in Loop: Header=BB21_124 Depth=1
	v_cmp_lt_u32_e32 vcc, s12, v3
	s_mov_b64 s[4:5], 0
                                        ; implicit-def: $vgpr9
	s_and_saveexec_b64 s[6:7], vcc
	s_xor_b64 s[6:7], exec, s[6:7]
	s_cbranch_execnz .LBB21_180
; %bb.156:                              ;   in Loop: Header=BB21_124 Depth=1
	s_or_saveexec_b64 s[6:7], s[6:7]
                                        ; implicit-def: $sgpr8_sgpr9
	s_xor_b64 exec, exec, s[6:7]
	s_cbranch_execnz .LBB21_181
.LBB21_157:                             ;   in Loop: Header=BB21_124 Depth=1
	s_or_b64 exec, exec, s[6:7]
	v_pk_mov_b32 v[2:3], s[8:9], s[8:9] op_sel:[0,1]
	s_and_saveexec_b64 s[6:7], s[4:5]
.LBB21_158:                             ;   in Loop: Header=BB21_124 Depth=1
	v_lshrrev_b32_e32 v2, 24, v4
	v_and_or_b32 v2, v2, s15, v9
.LBB21_159:                             ;   in Loop: Header=BB21_124 Depth=1
	s_or_b64 exec, exec, s[6:7]
.LBB21_160:                             ;   in Loop: Header=BB21_124 Depth=1
	s_or_b64 exec, exec, s[0:1]
	v_cvt_f32_f16_e32 v3, v5
	v_mov_b32_e32 v18, 0x80
	v_mov_b32_e32 v19, 0
	v_pk_mov_b32 v[20:21], v[18:19], v[18:19] op_sel:[0,1]
	v_div_scale_f32 v4, s[0:1], v0, v0, v3
	v_rcp_f32_e32 v9, v4
	v_div_scale_f32 v11, vcc, v3, v0, v3
	v_fma_f32 v13, -v4, v9, 1.0
	v_fmac_f32_e32 v9, v13, v9
	v_mul_f32_e32 v13, v11, v9
	v_fma_f32 v15, -v4, v13, v11
	v_fmac_f32_e32 v13, v15, v9
	v_fma_f32 v4, -v4, v13, v11
	v_div_fmas_f32 v4, v4, v9, v13
	v_div_fixup_f32 v3, v4, v0, v3
	v_max_f32_e32 v3, v3, v22
	v_min_f32_e32 v3, v3, v23
	v_and_b32_e32 v4, 0x7fffffff, v3
	v_cmp_gt_u32_e32 vcc, s11, v4
	s_and_saveexec_b64 s[0:1], vcc
	s_cbranch_execz .LBB21_166
; %bb.161:                              ;   in Loop: Header=BB21_124 Depth=1
	v_cmp_lt_u32_e32 vcc, s12, v4
	s_mov_b64 s[4:5], 0
                                        ; implicit-def: $vgpr4
	s_and_saveexec_b64 s[6:7], vcc
	s_xor_b64 s[6:7], exec, s[6:7]
	s_cbranch_execnz .LBB21_182
; %bb.162:                              ;   in Loop: Header=BB21_124 Depth=1
	s_or_saveexec_b64 s[6:7], s[6:7]
                                        ; implicit-def: $sgpr8_sgpr9
	s_xor_b64 exec, exec, s[6:7]
	s_cbranch_execnz .LBB21_183
.LBB21_163:                             ;   in Loop: Header=BB21_124 Depth=1
	s_or_b64 exec, exec, s[6:7]
	v_pk_mov_b32 v[20:21], s[8:9], s[8:9] op_sel:[0,1]
	s_and_saveexec_b64 s[6:7], s[4:5]
.LBB21_164:                             ;   in Loop: Header=BB21_124 Depth=1
	v_lshrrev_b32_e32 v3, 24, v3
	v_and_or_b32 v20, v3, s15, v4
.LBB21_165:                             ;   in Loop: Header=BB21_124 Depth=1
	s_or_b64 exec, exec, s[6:7]
.LBB21_166:                             ;   in Loop: Header=BB21_124 Depth=1
	s_or_b64 exec, exec, s[0:1]
	v_cvt_f32_f16_sdwa v3, v5 dst_sel:DWORD dst_unused:UNUSED_PAD src0_sel:WORD_1
	v_div_scale_f32 v4, s[0:1], v0, v0, v3
	v_rcp_f32_e32 v5, v4
	v_div_scale_f32 v9, vcc, v3, v0, v3
	v_fma_f32 v11, -v4, v5, 1.0
	v_fmac_f32_e32 v5, v11, v5
	v_mul_f32_e32 v11, v9, v5
	v_fma_f32 v13, -v4, v11, v9
	v_fmac_f32_e32 v11, v13, v5
	v_fma_f32 v4, -v4, v11, v9
	v_div_fmas_f32 v4, v4, v5, v11
	v_div_fixup_f32 v3, v4, v0, v3
	v_max_f32_e32 v3, v3, v22
	v_min_f32_e32 v3, v3, v23
	v_and_b32_e32 v4, 0x7fffffff, v3
	v_cmp_gt_u32_e32 vcc, s11, v4
	s_and_saveexec_b64 s[0:1], vcc
	s_cbranch_execz .LBB21_123
; %bb.167:                              ;   in Loop: Header=BB21_124 Depth=1
	v_cmp_lt_u32_e32 vcc, s12, v4
	s_mov_b64 s[4:5], 0
                                        ; implicit-def: $vgpr4
	s_and_saveexec_b64 s[6:7], vcc
	s_xor_b64 s[6:7], exec, s[6:7]
	s_cbranch_execnz .LBB21_184
; %bb.168:                              ;   in Loop: Header=BB21_124 Depth=1
	s_or_saveexec_b64 s[6:7], s[6:7]
                                        ; implicit-def: $sgpr8_sgpr9
	s_xor_b64 exec, exec, s[6:7]
	s_cbranch_execnz .LBB21_185
.LBB21_169:                             ;   in Loop: Header=BB21_124 Depth=1
	s_or_b64 exec, exec, s[6:7]
	v_pk_mov_b32 v[18:19], s[8:9], s[8:9] op_sel:[0,1]
	s_and_saveexec_b64 s[6:7], s[4:5]
	s_cbranch_execz .LBB21_122
	s_branch .LBB21_186
.LBB21_170:                             ;   in Loop: Header=BB21_124 Depth=1
	v_bfe_u32 v9, v12, 20, 1
	v_add3_u32 v9, v12, v9, s13
	s_mov_b64 s[4:5], exec
	v_lshrrev_b32_e32 v9, 20, v9
	s_or_saveexec_b64 s[6:7], s[6:7]
                                        ; implicit-def: $sgpr8_sgpr9
	s_xor_b64 exec, exec, s[6:7]
	s_cbranch_execz .LBB21_127
.LBB21_171:                             ;   in Loop: Header=BB21_124 Depth=1
	v_add_f32_e64 v9, |v12|, s14
	v_and_b32_e32 v9, 0xff, v9
	v_cmp_ne_u32_e32 vcc, 0, v9
	s_andn2_b64 s[4:5], s[4:5], exec
	s_and_b64 s[18:19], vcc, exec
	s_mov_b64 s[8:9], 0
	s_or_b64 s[4:5], s[4:5], s[18:19]
	s_or_b64 exec, exec, s[6:7]
	v_pk_mov_b32 v[10:11], s[8:9], s[8:9] op_sel:[0,1]
	s_and_saveexec_b64 s[6:7], s[4:5]
	s_cbranch_execnz .LBB21_128
	s_branch .LBB21_129
.LBB21_172:                             ;   in Loop: Header=BB21_124 Depth=1
	v_bfe_u32 v8, v2, 20, 1
	v_add3_u32 v8, v2, v8, s13
	s_mov_b64 s[4:5], exec
	v_lshrrev_b32_e32 v11, 20, v8
	s_or_saveexec_b64 s[6:7], s[6:7]
                                        ; implicit-def: $sgpr8_sgpr9
	s_xor_b64 exec, exec, s[6:7]
	s_cbranch_execz .LBB21_133
.LBB21_173:                             ;   in Loop: Header=BB21_124 Depth=1
	v_add_f32_e64 v8, |v2|, s14
	v_and_b32_e32 v11, 0xff, v8
	v_cmp_ne_u32_e32 vcc, 0, v11
	s_andn2_b64 s[4:5], s[4:5], exec
	s_and_b64 s[18:19], vcc, exec
	s_mov_b64 s[8:9], 0
	s_or_b64 s[4:5], s[4:5], s[18:19]
	s_or_b64 exec, exec, s[6:7]
	v_pk_mov_b32 v[8:9], s[8:9], s[8:9] op_sel:[0,1]
	s_and_saveexec_b64 s[6:7], s[4:5]
	s_cbranch_execnz .LBB21_134
	s_branch .LBB21_135
.LBB21_174:                             ;   in Loop: Header=BB21_124 Depth=1
	v_bfe_u32 v9, v2, 20, 1
	v_add3_u32 v9, v2, v9, s13
	s_mov_b64 s[4:5], exec
	v_lshrrev_b32_e32 v9, 20, v9
	s_or_saveexec_b64 s[6:7], s[6:7]
                                        ; implicit-def: $sgpr8_sgpr9
	s_xor_b64 exec, exec, s[6:7]
	s_cbranch_execz .LBB21_139
.LBB21_175:                             ;   in Loop: Header=BB21_124 Depth=1
	v_add_f32_e64 v9, |v2|, s14
	v_and_b32_e32 v9, 0xff, v9
	v_cmp_ne_u32_e32 vcc, 0, v9
	s_andn2_b64 s[4:5], s[4:5], exec
	s_and_b64 s[18:19], vcc, exec
	s_mov_b64 s[8:9], 0
	s_or_b64 s[4:5], s[4:5], s[18:19]
	s_or_b64 exec, exec, s[6:7]
	v_pk_mov_b32 v[14:15], s[8:9], s[8:9] op_sel:[0,1]
	s_and_saveexec_b64 s[6:7], s[4:5]
	s_cbranch_execnz .LBB21_140
	s_branch .LBB21_141
.LBB21_176:                             ;   in Loop: Header=BB21_124 Depth=1
	v_bfe_u32 v3, v2, 20, 1
	v_add3_u32 v3, v2, v3, s13
	s_mov_b64 s[4:5], exec
	v_lshrrev_b32_e32 v3, 20, v3
	s_or_saveexec_b64 s[6:7], s[6:7]
                                        ; implicit-def: $sgpr8_sgpr9
	s_xor_b64 exec, exec, s[6:7]
	s_cbranch_execz .LBB21_145
.LBB21_177:                             ;   in Loop: Header=BB21_124 Depth=1
	v_add_f32_e64 v3, |v2|, s14
	v_and_b32_e32 v3, 0xff, v3
	v_cmp_ne_u32_e32 vcc, 0, v3
	s_andn2_b64 s[4:5], s[4:5], exec
	s_and_b64 s[18:19], vcc, exec
	s_mov_b64 s[8:9], 0
	s_or_b64 s[4:5], s[4:5], s[18:19]
	s_or_b64 exec, exec, s[6:7]
	v_pk_mov_b32 v[12:13], s[8:9], s[8:9] op_sel:[0,1]
	s_and_saveexec_b64 s[6:7], s[4:5]
	s_cbranch_execnz .LBB21_146
	s_branch .LBB21_147
.LBB21_178:                             ;   in Loop: Header=BB21_124 Depth=1
	v_bfe_u32 v3, v9, 20, 1
	v_add3_u32 v3, v9, v3, s13
	s_mov_b64 s[4:5], exec
	v_lshrrev_b32_e32 v3, 20, v3
	s_or_saveexec_b64 s[6:7], s[6:7]
                                        ; implicit-def: $sgpr8_sgpr9
	s_xor_b64 exec, exec, s[6:7]
	s_cbranch_execz .LBB21_151
.LBB21_179:                             ;   in Loop: Header=BB21_124 Depth=1
	v_add_f32_e64 v3, |v9|, s14
	v_and_b32_e32 v3, 0xff, v3
	v_cmp_ne_u32_e32 vcc, 0, v3
	s_andn2_b64 s[4:5], s[4:5], exec
	s_and_b64 s[18:19], vcc, exec
	s_mov_b64 s[8:9], 0
	s_or_b64 s[4:5], s[4:5], s[18:19]
	s_or_b64 exec, exec, s[6:7]
	v_pk_mov_b32 v[16:17], s[8:9], s[8:9] op_sel:[0,1]
	s_and_saveexec_b64 s[6:7], s[4:5]
	s_cbranch_execnz .LBB21_152
	s_branch .LBB21_153
.LBB21_180:                             ;   in Loop: Header=BB21_124 Depth=1
	v_bfe_u32 v2, v4, 20, 1
	v_add3_u32 v2, v4, v2, s13
	s_mov_b64 s[4:5], exec
	v_lshrrev_b32_e32 v9, 20, v2
	s_or_saveexec_b64 s[6:7], s[6:7]
                                        ; implicit-def: $sgpr8_sgpr9
	s_xor_b64 exec, exec, s[6:7]
	s_cbranch_execz .LBB21_157
.LBB21_181:                             ;   in Loop: Header=BB21_124 Depth=1
	v_add_f32_e64 v2, |v4|, s14
	v_and_b32_e32 v9, 0xff, v2
	v_cmp_ne_u32_e32 vcc, 0, v9
	s_andn2_b64 s[4:5], s[4:5], exec
	s_and_b64 s[18:19], vcc, exec
	s_mov_b64 s[8:9], 0
	s_or_b64 s[4:5], s[4:5], s[18:19]
	s_or_b64 exec, exec, s[6:7]
	v_pk_mov_b32 v[2:3], s[8:9], s[8:9] op_sel:[0,1]
	s_and_saveexec_b64 s[6:7], s[4:5]
	s_cbranch_execnz .LBB21_158
	s_branch .LBB21_159
.LBB21_182:                             ;   in Loop: Header=BB21_124 Depth=1
	v_bfe_u32 v4, v3, 20, 1
	v_add3_u32 v4, v3, v4, s13
	s_mov_b64 s[4:5], exec
	v_lshrrev_b32_e32 v4, 20, v4
	s_or_saveexec_b64 s[6:7], s[6:7]
                                        ; implicit-def: $sgpr8_sgpr9
	s_xor_b64 exec, exec, s[6:7]
	s_cbranch_execz .LBB21_163
.LBB21_183:                             ;   in Loop: Header=BB21_124 Depth=1
	v_add_f32_e64 v4, |v3|, s14
	v_and_b32_e32 v4, 0xff, v4
	v_cmp_ne_u32_e32 vcc, 0, v4
	s_andn2_b64 s[4:5], s[4:5], exec
	s_and_b64 s[18:19], vcc, exec
	s_mov_b64 s[8:9], 0
	s_or_b64 s[4:5], s[4:5], s[18:19]
	s_or_b64 exec, exec, s[6:7]
	v_pk_mov_b32 v[20:21], s[8:9], s[8:9] op_sel:[0,1]
	s_and_saveexec_b64 s[6:7], s[4:5]
	s_cbranch_execnz .LBB21_164
	s_branch .LBB21_165
.LBB21_184:                             ;   in Loop: Header=BB21_124 Depth=1
	v_bfe_u32 v4, v3, 20, 1
	v_add3_u32 v4, v3, v4, s13
	s_mov_b64 s[4:5], exec
	v_lshrrev_b32_e32 v4, 20, v4
	s_or_saveexec_b64 s[6:7], s[6:7]
                                        ; implicit-def: $sgpr8_sgpr9
	s_xor_b64 exec, exec, s[6:7]
	s_cbranch_execz .LBB21_169
.LBB21_185:                             ;   in Loop: Header=BB21_124 Depth=1
	v_add_f32_e64 v4, |v3|, s14
	v_and_b32_e32 v4, 0xff, v4
	v_cmp_ne_u32_e32 vcc, 0, v4
	s_andn2_b64 s[4:5], s[4:5], exec
	s_and_b64 s[18:19], vcc, exec
	s_mov_b64 s[8:9], 0
	s_or_b64 s[4:5], s[4:5], s[18:19]
	s_or_b64 exec, exec, s[6:7]
	v_pk_mov_b32 v[18:19], s[8:9], s[8:9] op_sel:[0,1]
	s_and_saveexec_b64 s[6:7], s[4:5]
	s_cbranch_execz .LBB21_122
.LBB21_186:                             ;   in Loop: Header=BB21_124 Depth=1
	v_lshrrev_b32_e32 v3, 24, v3
	v_and_or_b32 v18, v3, s15, v4
	s_branch .LBB21_122
.LBB21_187:
	s_endpgm
.LBB21_188:
	v_bfe_u32 v3, v2, 20, 1
	s_mov_b32 s8, 0x487ffff
	v_add3_u32 v3, v2, v3, s8
	s_mov_b64 s[4:5], exec
	v_lshrrev_b32_e32 v3, 20, v3
	s_or_saveexec_b64 s[6:7], s[6:7]
                                        ; implicit-def: $sgpr8
	s_xor_b64 exec, exec, s[6:7]
	s_cbranch_execz .LBB21_29
.LBB21_189:
	s_mov_b32 s8, 0x46000000
	v_add_f32_e64 v3, |v2|, s8
	v_and_b32_e32 v3, 0xff, v3
	v_cmp_ne_u32_e32 vcc, 0, v3
	s_andn2_b64 s[4:5], s[4:5], exec
	s_and_b64 s[10:11], vcc, exec
	s_mov_b32 s8, 0
	s_or_b64 s[4:5], s[4:5], s[10:11]
	s_or_b64 exec, exec, s[6:7]
	v_mov_b32_e32 v4, s8
	s_and_saveexec_b64 s[6:7], s[4:5]
	s_cbranch_execnz .LBB21_30
	s_branch .LBB21_31
	.section	.rodata,"a",@progbits
	.p2align	6, 0x0
	.amdhsa_kernel _Z33per_token_group_quant_8bit_kernelIN3c104HalfENS0_15Float8_e4m3fnuzELb1ELb0EfEvPKT_PvPT3_iiifffii
		.amdhsa_group_segment_fixed_size 0
		.amdhsa_private_segment_fixed_size 0
		.amdhsa_kernarg_size 56
		.amdhsa_user_sgpr_count 6
		.amdhsa_user_sgpr_private_segment_buffer 1
		.amdhsa_user_sgpr_dispatch_ptr 0
		.amdhsa_user_sgpr_queue_ptr 0
		.amdhsa_user_sgpr_kernarg_segment_ptr 1
		.amdhsa_user_sgpr_dispatch_id 0
		.amdhsa_user_sgpr_flat_scratch_init 0
		.amdhsa_user_sgpr_kernarg_preload_length 0
		.amdhsa_user_sgpr_kernarg_preload_offset 0
		.amdhsa_user_sgpr_private_segment_size 0
		.amdhsa_uses_dynamic_stack 0
		.amdhsa_system_sgpr_private_segment_wavefront_offset 0
		.amdhsa_system_sgpr_workgroup_id_x 1
		.amdhsa_system_sgpr_workgroup_id_y 0
		.amdhsa_system_sgpr_workgroup_id_z 0
		.amdhsa_system_sgpr_workgroup_info 0
		.amdhsa_system_vgpr_workitem_id 0
		.amdhsa_next_free_vgpr 61
		.amdhsa_next_free_sgpr 46
		.amdhsa_accum_offset 64
		.amdhsa_reserve_vcc 1
		.amdhsa_reserve_flat_scratch 0
		.amdhsa_float_round_mode_32 0
		.amdhsa_float_round_mode_16_64 0
		.amdhsa_float_denorm_mode_32 3
		.amdhsa_float_denorm_mode_16_64 3
		.amdhsa_dx10_clamp 1
		.amdhsa_ieee_mode 1
		.amdhsa_fp16_overflow 0
		.amdhsa_tg_split 0
		.amdhsa_exception_fp_ieee_invalid_op 0
		.amdhsa_exception_fp_denorm_src 0
		.amdhsa_exception_fp_ieee_div_zero 0
		.amdhsa_exception_fp_ieee_overflow 0
		.amdhsa_exception_fp_ieee_underflow 0
		.amdhsa_exception_fp_ieee_inexact 0
		.amdhsa_exception_int_div_zero 0
	.end_amdhsa_kernel
	.section	.text._Z33per_token_group_quant_8bit_kernelIN3c104HalfENS0_15Float8_e4m3fnuzELb1ELb0EfEvPKT_PvPT3_iiifffii,"axG",@progbits,_Z33per_token_group_quant_8bit_kernelIN3c104HalfENS0_15Float8_e4m3fnuzELb1ELb0EfEvPKT_PvPT3_iiifffii,comdat
.Lfunc_end21:
	.size	_Z33per_token_group_quant_8bit_kernelIN3c104HalfENS0_15Float8_e4m3fnuzELb1ELb0EfEvPKT_PvPT3_iiifffii, .Lfunc_end21-_Z33per_token_group_quant_8bit_kernelIN3c104HalfENS0_15Float8_e4m3fnuzELb1ELb0EfEvPKT_PvPT3_iiifffii
                                        ; -- End function
	.section	.AMDGPU.csdata,"",@progbits
; Kernel info:
; codeLenInByte = 9356
; NumSgprs: 50
; NumVgprs: 61
; NumAgprs: 0
; TotalNumVgprs: 61
; ScratchSize: 0
; MemoryBound: 0
; FloatMode: 240
; IeeeMode: 1
; LDSByteSize: 0 bytes/workgroup (compile time only)
; SGPRBlocks: 6
; VGPRBlocks: 7
; NumSGPRsForWavesPerEU: 50
; NumVGPRsForWavesPerEU: 61
; AccumOffset: 64
; Occupancy: 8
; WaveLimiterHint : 0
; COMPUTE_PGM_RSRC2:SCRATCH_EN: 0
; COMPUTE_PGM_RSRC2:USER_SGPR: 6
; COMPUTE_PGM_RSRC2:TRAP_HANDLER: 0
; COMPUTE_PGM_RSRC2:TGID_X_EN: 1
; COMPUTE_PGM_RSRC2:TGID_Y_EN: 0
; COMPUTE_PGM_RSRC2:TGID_Z_EN: 0
; COMPUTE_PGM_RSRC2:TIDIG_COMP_CNT: 0
; COMPUTE_PGM_RSRC3_GFX90A:ACCUM_OFFSET: 15
; COMPUTE_PGM_RSRC3_GFX90A:TG_SPLIT: 0
	.section	.text._Z33per_token_group_quant_8bit_kernelIN3c104HalfENS0_15Float8_e4m3fnuzELb0ELb1EfEvPKT_PvPT3_iiifffii,"axG",@progbits,_Z33per_token_group_quant_8bit_kernelIN3c104HalfENS0_15Float8_e4m3fnuzELb0ELb1EfEvPKT_PvPT3_iiifffii,comdat
	.protected	_Z33per_token_group_quant_8bit_kernelIN3c104HalfENS0_15Float8_e4m3fnuzELb0ELb1EfEvPKT_PvPT3_iiifffii ; -- Begin function _Z33per_token_group_quant_8bit_kernelIN3c104HalfENS0_15Float8_e4m3fnuzELb0ELb1EfEvPKT_PvPT3_iiifffii
	.globl	_Z33per_token_group_quant_8bit_kernelIN3c104HalfENS0_15Float8_e4m3fnuzELb0ELb1EfEvPKT_PvPT3_iiifffii
	.p2align	8
	.type	_Z33per_token_group_quant_8bit_kernelIN3c104HalfENS0_15Float8_e4m3fnuzELb0ELb1EfEvPKT_PvPT3_iiifffii,@function
_Z33per_token_group_quant_8bit_kernelIN3c104HalfENS0_15Float8_e4m3fnuzELb0ELb1EfEvPKT_PvPT3_iiifffii: ; @_Z33per_token_group_quant_8bit_kernelIN3c104HalfENS0_15Float8_e4m3fnuzELb0ELb1EfEvPKT_PvPT3_iiifffii
; %bb.0:
	s_load_dword s31, s[4:5], 0x18
	s_load_dwordx4 s[16:19], s[4:5], 0x20
	s_load_dwordx2 s[2:3], s[4:5], 0x0
	v_lshrrev_b32_e32 v4, 4, v0
	v_and_b32_e32 v24, 15, v0
	s_waitcnt lgkmcnt(0)
	s_ashr_i32 s7, s31, 31
	s_mul_i32 s6, s6, s16
	v_add_co_u32_e32 v2, vcc, s6, v4
	v_addc_co_u32_e64 v3, s[0:1], 0, 0, vcc
	v_mul_lo_u32 v0, v3, s31
	v_mul_lo_u32 v1, v2, s7
	v_mad_u64_u32 v[12:13], s[0:1], v2, s31, 0
	v_add3_u32 v13, v13, v1, v0
	v_lshlrev_b64 v[0:1], 1, v[12:13]
	s_and_b32 s6, s31, 7
	v_mov_b32_e32 v6, s3
	v_add_co_u32_e32 v5, vcc, s2, v0
	s_cmp_eq_u32 s6, 0
	v_addc_co_u32_e32 v6, vcc, v6, v1, vcc
	v_mov_b32_e32 v11, 0
	v_and_b32_e32 v10, 15, v5
	s_cselect_b64 s[0:1], -1, 0
	s_cmp_lg_u32 s6, 0
	v_mul_lo_u32 v25, v4, s31
	v_cmp_ne_u64_e32 vcc, 0, v[10:11]
	s_cselect_b64 s[6:7], -1, 0
	v_lshl_add_u32 v8, v25, 1, 0
	s_or_b64 s[6:7], s[6:7], vcc
                                        ; implicit-def: $vgpr9
	s_and_saveexec_b64 s[8:9], s[6:7]
	s_xor_b64 s[6:7], exec, s[8:9]
	s_cbranch_execz .LBB22_12
; %bb.1:
	v_sub_u32_e32 v4, 0, v5
	v_bfe_u32 v4, v4, 1, 3
	v_min_i32_e32 v4, s31, v4
	v_cmp_gt_i32_e32 vcc, v4, v24
	v_mov_b32_e32 v9, s17
	s_and_saveexec_b64 s[8:9], vcc
	s_cbranch_execz .LBB22_3
; %bb.2:
	v_lshlrev_b32_e32 v7, 1, v24
	v_add_co_u32_e32 v10, vcc, v5, v7
	v_addc_co_u32_e32 v11, vcc, 0, v6, vcc
	global_load_ushort v5, v[10:11], off
	v_max_f32_e64 v9, s17, s17
	v_add_u32_e32 v7, v8, v7
	s_waitcnt vmcnt(0)
	v_cvt_f32_f16_e64 v6, |v5|
	ds_write_b16 v7, v5
	v_max_f32_e32 v9, v9, v6
.LBB22_3:
	s_or_b64 exec, exec, s[8:9]
	v_sub_u32_e32 v10, s31, v4
	v_ashrrev_i32_e32 v6, 31, v10
	v_lshrrev_b32_e32 v6, 29, v6
	v_add_u32_e32 v6, v10, v6
	v_ashrrev_i32_e32 v5, 31, v4
	v_ashrrev_i32_e32 v11, 3, v6
	v_cmp_gt_i32_e32 vcc, v11, v24
	v_lshlrev_b32_e32 v14, 1, v4
	v_lshlrev_b64 v[4:5], 1, v[4:5]
	s_and_saveexec_b64 s[8:9], vcc
	s_cbranch_execz .LBB22_7
; %bb.4:
	v_lshlrev_b32_e32 v6, 4, v24
	v_lshl_add_u32 v7, v25, 1, v6
	v_add_co_u32_e32 v6, vcc, v0, v6
	v_add3_u32 v15, v7, v14, 0
	v_addc_co_u32_e32 v7, vcc, 0, v1, vcc
	v_add_co_u32_e32 v6, vcc, v6, v4
	v_addc_co_u32_e32 v7, vcc, v7, v5, vcc
	v_mov_b32_e32 v16, s3
	v_add_co_u32_e32 v6, vcc, s2, v6
	v_addc_co_u32_e32 v7, vcc, v7, v16, vcc
	v_add_co_u32_e32 v6, vcc, 8, v6
	v_addc_co_u32_e32 v7, vcc, 0, v7, vcc
	s_mov_b64 s[10:11], 0
	v_mov_b32_e32 v16, v24
.LBB22_5:                               ; =>This Inner Loop Header: Depth=1
	global_load_dwordx4 v[18:21], v[6:7], off offset:-8
	v_add_co_u32_e32 v6, vcc, 0x100, v6
	v_add_u32_e32 v16, 16, v16
	v_addc_co_u32_e32 v7, vcc, 0, v7, vcc
	v_cmp_ge_i32_e32 vcc, v16, v11
	s_or_b64 s[10:11], vcc, s[10:11]
	s_waitcnt vmcnt(0)
	v_cvt_f32_f16_e64 v17, |v18|
	v_cvt_f32_f16_sdwa v22, |v18| dst_sel:DWORD dst_unused:UNUSED_PAD src0_sel:WORD_1
	v_cvt_f32_f16_e64 v23, |v19|
	v_cvt_f32_f16_sdwa v26, |v19| dst_sel:DWORD dst_unused:UNUSED_PAD src0_sel:WORD_1
	;; [unrolled: 2-line block ×4, first 2 shown]
	v_max3_f32 v9, v9, v17, v22
	v_max3_f32 v9, v9, v23, v26
	;; [unrolled: 1-line block ×3, first 2 shown]
	ds_write_b128 v15, v[18:21]
	v_add_u32_e32 v15, 0x100, v15
	v_max3_f32 v9, v9, v29, v30
	s_andn2_b64 exec, exec, s[10:11]
	s_cbranch_execnz .LBB22_5
; %bb.6:
	s_or_b64 exec, exec, s[10:11]
.LBB22_7:
	s_or_b64 exec, exec, s[8:9]
	v_lshl_add_u32 v6, v11, 3, v24
	v_cmp_lt_i32_e32 vcc, v6, v10
	s_and_saveexec_b64 s[8:9], vcc
	s_cbranch_execz .LBB22_11
; %bb.8:
	v_lshlrev_b32_e32 v7, 1, v25
	v_lshlrev_b32_e32 v11, 4, v11
	v_add3_u32 v7, v7, v11, v14
	v_lshlrev_b32_e32 v11, 1, v24
	v_add3_u32 v11, v7, v11, 0
	v_add_co_u32_e32 v4, vcc, v0, v4
	v_ashrrev_i32_e32 v7, 31, v6
	v_addc_co_u32_e32 v5, vcc, v1, v5, vcc
	v_lshlrev_b64 v[0:1], 1, v[6:7]
	v_add_co_u32_e32 v0, vcc, v4, v0
	v_addc_co_u32_e32 v1, vcc, v5, v1, vcc
	v_mov_b32_e32 v4, s3
	v_add_co_u32_e32 v0, vcc, s2, v0
	v_addc_co_u32_e32 v1, vcc, v4, v1, vcc
	s_mov_b64 s[10:11], 0
.LBB22_9:                               ; =>This Inner Loop Header: Depth=1
	global_load_ushort v4, v[0:1], off
	v_add_co_u32_e32 v0, vcc, 32, v0
	v_add_u32_e32 v6, 16, v6
	v_addc_co_u32_e32 v1, vcc, 0, v1, vcc
	v_max_f32_e32 v5, v9, v9
	v_cmp_ge_i32_e32 vcc, v6, v10
	s_or_b64 s[10:11], vcc, s[10:11]
	s_waitcnt vmcnt(0)
	v_cvt_f32_f16_e64 v7, |v4|
	ds_write_b16 v11, v4
	v_add_u32_e32 v11, 32, v11
	v_max_f32_e32 v9, v5, v7
	s_andn2_b64 exec, exec, s[10:11]
	s_cbranch_execnz .LBB22_9
; %bb.10:
	s_or_b64 exec, exec, s[10:11]
.LBB22_11:
	s_or_b64 exec, exec, s[8:9]
                                        ; implicit-def: $vgpr0_vgpr1
.LBB22_12:
	s_andn2_saveexec_b64 s[6:7], s[6:7]
	s_cbranch_execz .LBB22_18
; %bb.13:
	s_ashr_i32 s10, s31, 3
	v_cmp_gt_i32_e32 vcc, s10, v24
	v_mov_b32_e32 v9, s17
	s_and_saveexec_b64 s[8:9], vcc
	s_cbranch_execz .LBB22_17
; %bb.14:
	v_lshlrev_b32_e32 v5, 4, v24
	v_add_co_u32_e32 v0, vcc, v0, v5
	v_lshlrev_b32_e32 v4, 1, v25
	v_addc_co_u32_e32 v1, vcc, 0, v1, vcc
	v_add3_u32 v4, v4, v5, 0
	v_mov_b32_e32 v5, s3
	v_add_co_u32_e32 v0, vcc, s2, v0
	v_addc_co_u32_e32 v1, vcc, v1, v5, vcc
	v_add_co_u32_e32 v0, vcc, 8, v0
	v_addc_co_u32_e32 v1, vcc, 0, v1, vcc
	s_mov_b64 s[2:3], 0
	v_mov_b32_e32 v9, s17
	v_mov_b32_e32 v5, v24
.LBB22_15:                              ; =>This Inner Loop Header: Depth=1
	global_load_dwordx4 v[14:17], v[0:1], off offset:-8
	v_add_co_u32_e32 v0, vcc, 0x100, v0
	v_add_u32_e32 v5, 16, v5
	v_addc_co_u32_e32 v1, vcc, 0, v1, vcc
	v_cmp_le_i32_e32 vcc, s10, v5
	s_or_b64 s[2:3], vcc, s[2:3]
	s_waitcnt vmcnt(0)
	v_cvt_f32_f16_e64 v6, |v14|
	v_cvt_f32_f16_sdwa v7, |v14| dst_sel:DWORD dst_unused:UNUSED_PAD src0_sel:WORD_1
	v_cvt_f32_f16_e64 v10, |v15|
	v_cvt_f32_f16_sdwa v11, |v15| dst_sel:DWORD dst_unused:UNUSED_PAD src0_sel:WORD_1
	;; [unrolled: 2-line block ×4, first 2 shown]
	v_max3_f32 v6, v9, v6, v7
	v_max3_f32 v6, v6, v10, v11
	;; [unrolled: 1-line block ×3, first 2 shown]
	ds_write_b128 v4, v[14:17]
	v_add_u32_e32 v4, 0x100, v4
	v_max3_f32 v9, v6, v20, v21
	s_andn2_b64 exec, exec, s[2:3]
	s_cbranch_execnz .LBB22_15
; %bb.16:
	s_or_b64 exec, exec, s[2:3]
.LBB22_17:
	s_or_b64 exec, exec, s[8:9]
.LBB22_18:
	s_or_b64 exec, exec, s[6:7]
	v_mbcnt_lo_u32_b32 v0, -1, 0
	v_mbcnt_hi_u32_b32 v0, -1, v0
	v_and_b32_e32 v4, 0x70, v0
	v_xor_b32_e32 v1, 8, v0
	v_add_u32_e32 v4, 16, v4
	v_cmp_lt_i32_e32 vcc, v1, v4
	v_cndmask_b32_e32 v1, v0, v1, vcc
	v_lshlrev_b32_e32 v1, 2, v1
	ds_bpermute_b32 v1, v1, v9
	v_xor_b32_e32 v6, 4, v0
	v_max_f32_e32 v5, v9, v9
	v_cmp_lt_i32_e32 vcc, v6, v4
	s_load_dwordx2 s[20:21], s[4:5], 0x8
	s_waitcnt lgkmcnt(0)
	v_max_f32_e32 v1, v1, v1
	v_max_f32_e32 v1, v5, v1
	v_cndmask_b32_e32 v5, v0, v6, vcc
	v_lshlrev_b32_e32 v5, 2, v5
	ds_bpermute_b32 v5, v5, v1
	v_xor_b32_e32 v6, 2, v0
	v_cmp_lt_i32_e32 vcc, v6, v4
	s_waitcnt lgkmcnt(0)
	v_max_f32_e32 v5, v5, v5
	v_max_f32_e32 v1, v1, v5
	v_cndmask_b32_e32 v5, v0, v6, vcc
	v_lshlrev_b32_e32 v5, 2, v5
	ds_bpermute_b32 v5, v5, v1
	v_xor_b32_e32 v6, 1, v0
	v_cmp_lt_i32_e32 vcc, v6, v4
	v_cndmask_b32_e32 v0, v0, v6, vcc
	v_lshlrev_b32_e32 v0, 2, v0
	s_waitcnt lgkmcnt(0)
	v_max_f32_e32 v5, v5, v5
	v_max_f32_e32 v1, v1, v5
	ds_bpermute_b32 v0, v0, v1
	s_waitcnt lgkmcnt(0)
	v_max_f32_e32 v0, v0, v0
	v_max_f32_e32 v0, v1, v0
	v_div_scale_f32 v1, s[2:3], s19, s19, v0
	v_rcp_f32_e32 v4, v1
	v_div_scale_f32 v5, vcc, v0, s19, v0
	s_mov_b32 s2, 0x2edbe6ff
	v_fma_f32 v6, -v1, v4, 1.0
	v_fmac_f32_e32 v4, v6, v4
	v_mul_f32_e32 v6, v5, v4
	v_fma_f32 v7, -v1, v6, v5
	v_fmac_f32_e32 v6, v7, v4
	v_fma_f32 v1, -v1, v6, v5
	v_div_fmas_f32 v1, v1, v4, v6
	v_div_fixup_f32 v0, v1, s19, v0
	v_max_f32_e64 v0, |v0|, s2
	s_mov_b32 s2, 0x800000
	v_mov_b32_e32 v1, 0x4f800000
	v_cmp_gt_f32_e32 vcc, s2, v0
	v_cndmask_b32_e32 v1, 1.0, v1, vcc
	v_mul_f32_e32 v0, v0, v1
	v_log_f32_e32 v0, v0
	v_mov_b32_e32 v1, 0x42000000
	v_cndmask_b32_e32 v1, 0, v1, vcc
	s_mov_b32 s2, 0xc2fc0000
	v_sub_f32_e32 v0, v0, v1
	v_ceil_f32_e32 v0, v0
	v_mov_b32_e32 v1, 0x42800000
	v_cmp_gt_f32_e32 vcc, s2, v0
	v_cndmask_b32_e32 v1, 0, v1, vcc
	v_add_f32_e32 v0, v0, v1
	v_exp_f32_e32 v0, v0
	v_mov_b32_e32 v1, 0x1f800000
	v_cndmask_b32_e32 v1, 1.0, v1, vcc
	v_cmp_eq_u32_e32 vcc, 0, v24
	v_mul_f32_e32 v0, v0, v1
	s_and_saveexec_b64 s[2:3], vcc
	s_cbranch_execz .LBB22_20
; %bb.19:
	s_load_dwordx2 s[4:5], s[4:5], 0x10
	v_lshlrev_b64 v[2:3], 2, v[2:3]
	s_waitcnt lgkmcnt(0)
	v_mov_b32_e32 v1, s5
	v_add_co_u32_e32 v2, vcc, s4, v2
	v_addc_co_u32_e32 v3, vcc, v1, v3, vcc
	global_store_dword v[2:3], v0, off
.LBB22_20:
	s_or_b64 exec, exec, s[2:3]
	v_and_b32_e32 v2, 15, v8
	v_mov_b32_e32 v3, 0
	v_cmp_ne_u64_e32 vcc, 0, v[2:3]
	s_xor_b64 s[0:1], s[0:1], -1
	s_or_b64 s[0:1], s[0:1], vcc
	s_barrier
	s_and_saveexec_b64 s[2:3], s[0:1]
	s_xor_b64 s[22:23], exec, s[2:3]
	s_cbranch_execz .LBB22_115
; %bb.21:
	v_mov_b32_e32 v2, s21
	v_add_co_u32_e32 v1, vcc, s20, v12
	v_addc_co_u32_e32 v30, vcc, v2, v13, vcc
	v_sub_u32_e32 v2, 0, v8
	v_bfe_u32 v2, v2, 1, 3
	v_min_i32_e32 v27, s31, v2
	v_cmp_gt_i32_e32 vcc, v27, v24
	s_and_saveexec_b64 s[0:1], vcc
	s_cbranch_execz .LBB22_29
; %bb.22:
	v_lshl_add_u32 v2, v24, 1, v8
	ds_read_u16 v2, v2
	v_max_f32_e64 v3, s18, s18
	v_max_f32_e64 v4, s19, s19
	s_waitcnt lgkmcnt(0)
	v_cvt_f32_f16_e32 v2, v2
	v_div_scale_f32 v5, s[2:3], v0, v0, v2
	v_rcp_f32_e32 v6, v5
	v_div_scale_f32 v7, vcc, v2, v0, v2
	s_mov_b32 s2, 0x43800000
	v_fma_f32 v8, -v5, v6, 1.0
	v_fmac_f32_e32 v6, v8, v6
	v_mul_f32_e32 v8, v7, v6
	v_fma_f32 v9, -v5, v8, v7
	v_fmac_f32_e32 v8, v9, v6
	v_fma_f32 v5, -v5, v8, v7
	v_div_fmas_f32 v5, v5, v6, v8
	v_div_fixup_f32 v2, v5, v0, v2
	v_max_f32_e32 v2, v2, v3
	v_min_f32_e32 v2, v2, v4
	v_and_b32_e32 v3, 0x7fffffff, v2
	v_cmp_gt_u32_e32 vcc, s2, v3
	v_mov_b32_e32 v4, 0x80
	s_and_saveexec_b64 s[2:3], vcc
	s_cbranch_execz .LBB22_28
; %bb.23:
	s_mov_b32 s4, 0x3bffffff
	v_cmp_lt_u32_e32 vcc, s4, v3
	s_mov_b64 s[4:5], 0
                                        ; implicit-def: $vgpr3
	s_and_saveexec_b64 s[6:7], vcc
	s_xor_b64 s[6:7], exec, s[6:7]
	s_cbranch_execnz .LBB22_184
; %bb.24:
	s_or_saveexec_b64 s[6:7], s[6:7]
                                        ; implicit-def: $sgpr8
	s_xor_b64 exec, exec, s[6:7]
	s_cbranch_execnz .LBB22_185
.LBB22_25:
	s_or_b64 exec, exec, s[6:7]
	v_mov_b32_e32 v4, s8
	s_and_saveexec_b64 s[6:7], s[4:5]
.LBB22_26:
	v_lshrrev_b32_e32 v2, 24, v2
	s_movk_i32 s4, 0x80
	v_and_or_b32 v4, v2, s4, v3
.LBB22_27:
	s_or_b64 exec, exec, s[6:7]
.LBB22_28:
	s_or_b64 exec, exec, s[2:3]
	v_add_co_u32_e32 v2, vcc, v1, v24
	v_addc_co_u32_e32 v3, vcc, 0, v30, vcc
	global_store_byte v[2:3], v4, off
.LBB22_29:
	s_or_b64 exec, exec, s[0:1]
	v_sub_u32_e32 v26, s31, v27
	v_ashrrev_i32_e32 v2, 31, v26
	v_lshrrev_b32_e32 v2, 29, v2
	v_add_u32_e32 v2, v26, v2
	v_ashrrev_i32_e32 v31, 3, v2
	v_ashrrev_i32_e32 v28, 31, v27
	v_cmp_gt_i32_e32 vcc, v31, v24
	v_lshlrev_b32_e32 v29, 1, v27
	s_and_saveexec_b64 s[2:3], vcc
	s_cbranch_execz .LBB22_96
; %bb.30:
	v_lshlrev_b32_e32 v2, 4, v24
	v_lshl_add_u32 v2, v25, 1, v2
	v_lshlrev_b32_e32 v3, 1, v27
	v_add3_u32 v32, v2, v3, 0
	v_add_co_u32_e32 v2, vcc, v27, v12
	v_addc_co_u32_e32 v3, vcc, v28, v13, vcc
	v_lshlrev_b32_e32 v4, 3, v24
	v_add_co_u32_e32 v2, vcc, v2, v4
	v_addc_co_u32_e32 v3, vcc, 0, v3, vcc
	v_mov_b32_e32 v4, s21
	v_add_co_u32_e32 v6, vcc, s20, v2
	v_addc_co_u32_e32 v7, vcc, v4, v3, vcc
	s_mov_b64 s[4:5], 0
	v_max_f32_e64 v33, s18, s18
	v_max_f32_e64 v34, s19, s19
	s_mov_b32 s12, 0x43800000
	s_mov_b32 s13, 0x3bffffff
	;; [unrolled: 1-line block ×4, first 2 shown]
	s_movk_i32 s16, 0x80
	s_mov_b32 s17, 0xff00
	s_mov_b32 s24, 0x4020c0c
	v_mov_b32_e32 v35, v24
	s_branch .LBB22_33
.LBB22_31:                              ;   in Loop: Header=BB22_33 Depth=1
	s_or_b64 exec, exec, s[8:9]
.LBB22_32:                              ;   in Loop: Header=BB22_33 Depth=1
	s_or_b64 exec, exec, s[0:1]
	v_lshlrev_b32_e32 v4, 16, v22
	v_lshlrev_b32_e32 v3, 24, v20
	v_and_b32_e32 v4, 0xff0000, v4
	v_lshlrev_b32_e32 v2, 8, v2
	v_or_b32_e32 v3, v3, v4
	v_and_b32_e32 v2, 0xff00, v2
	v_and_b32_e32 v4, 0xff, v18
	v_or3_b32 v3, v3, v2, v4
	v_lshlrev_b32_e32 v2, 16, v16
	v_lshlrev_b32_e32 v4, 8, v8
	v_perm_b32 v2, v14, v2, s24
	v_and_or_b32 v2, v4, s17, v2
	v_or_b32_sdwa v2, v2, v10 dst_sel:DWORD dst_unused:UNUSED_PAD src0_sel:DWORD src1_sel:BYTE_0
	v_add_u32_e32 v35, 16, v35
	global_store_dwordx2 v[6:7], v[2:3], off
	v_add_co_u32_e32 v6, vcc, 0x80, v6
	v_cmp_ge_i32_e64 s[0:1], v35, v31
	v_add_u32_e32 v32, 0x100, v32
	s_or_b64 s[4:5], s[0:1], s[4:5]
	v_addc_co_u32_e32 v7, vcc, 0, v7, vcc
	s_andn2_b64 exec, exec, s[4:5]
	s_cbranch_execz .LBB22_96
.LBB22_33:                              ; =>This Inner Loop Header: Depth=1
	ds_read_b128 v[2:5], v32
	v_mov_b32_e32 v8, 0x80
	v_mov_b32_e32 v9, 0
	s_waitcnt lgkmcnt(0)
	v_cvt_f32_f16_e32 v10, v2
	v_div_scale_f32 v11, s[0:1], v0, v0, v10
	v_rcp_f32_e32 v14, v11
	v_div_scale_f32 v15, vcc, v10, v0, v10
	v_fma_f32 v16, -v11, v14, 1.0
	v_fmac_f32_e32 v14, v16, v14
	v_mul_f32_e32 v16, v15, v14
	v_fma_f32 v17, -v11, v16, v15
	v_fmac_f32_e32 v16, v17, v14
	v_fma_f32 v11, -v11, v16, v15
	v_div_fmas_f32 v11, v11, v14, v16
	v_div_fixup_f32 v10, v11, v0, v10
	v_max_f32_e32 v10, v10, v33
	v_min_f32_e32 v14, v10, v34
	v_and_b32_e32 v15, 0x7fffffff, v14
	v_cmp_gt_u32_e32 vcc, s12, v15
	v_pk_mov_b32 v[10:11], v[8:9], v[8:9] op_sel:[0,1]
	s_and_saveexec_b64 s[0:1], vcc
	s_cbranch_execz .LBB22_39
; %bb.34:                               ;   in Loop: Header=BB22_33 Depth=1
	v_cmp_lt_u32_e32 vcc, s13, v15
	s_mov_b64 s[6:7], 0
                                        ; implicit-def: $vgpr9
	s_and_saveexec_b64 s[8:9], vcc
	s_xor_b64 s[8:9], exec, s[8:9]
	s_cbranch_execnz .LBB22_79
; %bb.35:                               ;   in Loop: Header=BB22_33 Depth=1
	s_or_saveexec_b64 s[8:9], s[8:9]
                                        ; implicit-def: $sgpr10_sgpr11
	s_xor_b64 exec, exec, s[8:9]
	s_cbranch_execnz .LBB22_80
.LBB22_36:                              ;   in Loop: Header=BB22_33 Depth=1
	s_or_b64 exec, exec, s[8:9]
	v_pk_mov_b32 v[10:11], s[10:11], s[10:11] op_sel:[0,1]
	s_and_saveexec_b64 s[8:9], s[6:7]
.LBB22_37:                              ;   in Loop: Header=BB22_33 Depth=1
	v_lshrrev_b32_e32 v10, 24, v14
	v_and_or_b32 v10, v10, s16, v9
.LBB22_38:                              ;   in Loop: Header=BB22_33 Depth=1
	s_or_b64 exec, exec, s[8:9]
.LBB22_39:                              ;   in Loop: Header=BB22_33 Depth=1
	s_or_b64 exec, exec, s[0:1]
	v_cvt_f32_f16_sdwa v2, v2 dst_sel:DWORD dst_unused:UNUSED_PAD src0_sel:WORD_1
	v_div_scale_f32 v9, s[0:1], v0, v0, v2
	v_rcp_f32_e32 v11, v9
	v_div_scale_f32 v14, vcc, v2, v0, v2
	v_fma_f32 v15, -v9, v11, 1.0
	v_fmac_f32_e32 v11, v15, v11
	v_mul_f32_e32 v15, v14, v11
	v_fma_f32 v16, -v9, v15, v14
	v_fmac_f32_e32 v15, v16, v11
	v_fma_f32 v9, -v9, v15, v14
	v_div_fmas_f32 v9, v9, v11, v15
	v_div_fixup_f32 v2, v9, v0, v2
	v_max_f32_e32 v2, v2, v33
	v_min_f32_e32 v2, v2, v34
	v_and_b32_e32 v9, 0x7fffffff, v2
	v_cmp_gt_u32_e32 vcc, s12, v9
	s_and_saveexec_b64 s[0:1], vcc
	s_cbranch_execz .LBB22_45
; %bb.40:                               ;   in Loop: Header=BB22_33 Depth=1
	v_cmp_lt_u32_e32 vcc, s13, v9
	s_mov_b64 s[6:7], 0
                                        ; implicit-def: $vgpr11
	s_and_saveexec_b64 s[8:9], vcc
	s_xor_b64 s[8:9], exec, s[8:9]
	s_cbranch_execnz .LBB22_81
; %bb.41:                               ;   in Loop: Header=BB22_33 Depth=1
	s_or_saveexec_b64 s[8:9], s[8:9]
                                        ; implicit-def: $sgpr10_sgpr11
	s_xor_b64 exec, exec, s[8:9]
	s_cbranch_execnz .LBB22_82
.LBB22_42:                              ;   in Loop: Header=BB22_33 Depth=1
	s_or_b64 exec, exec, s[8:9]
	v_pk_mov_b32 v[8:9], s[10:11], s[10:11] op_sel:[0,1]
	s_and_saveexec_b64 s[8:9], s[6:7]
.LBB22_43:                              ;   in Loop: Header=BB22_33 Depth=1
	v_lshrrev_b32_e32 v2, 24, v2
	v_and_or_b32 v8, v2, s16, v11
.LBB22_44:                              ;   in Loop: Header=BB22_33 Depth=1
	s_or_b64 exec, exec, s[8:9]
.LBB22_45:                              ;   in Loop: Header=BB22_33 Depth=1
	s_or_b64 exec, exec, s[0:1]
	v_cvt_f32_f16_e32 v2, v3
	v_mov_b32_e32 v14, 0x80
	v_mov_b32_e32 v15, 0
	v_div_scale_f32 v9, s[0:1], v0, v0, v2
	v_rcp_f32_e32 v11, v9
	v_div_scale_f32 v16, vcc, v2, v0, v2
	v_fma_f32 v17, -v9, v11, 1.0
	v_fmac_f32_e32 v11, v17, v11
	v_mul_f32_e32 v17, v16, v11
	v_fma_f32 v18, -v9, v17, v16
	v_fmac_f32_e32 v17, v18, v11
	v_fma_f32 v9, -v9, v17, v16
	v_div_fmas_f32 v9, v9, v11, v17
	v_div_fixup_f32 v2, v9, v0, v2
	v_max_f32_e32 v2, v2, v33
	v_min_f32_e32 v2, v2, v34
	v_and_b32_e32 v9, 0x7fffffff, v2
	v_cmp_gt_u32_e32 vcc, s12, v9
	v_pk_mov_b32 v[16:17], v[14:15], v[14:15] op_sel:[0,1]
	s_and_saveexec_b64 s[0:1], vcc
	s_cbranch_execz .LBB22_51
; %bb.46:                               ;   in Loop: Header=BB22_33 Depth=1
	v_cmp_lt_u32_e32 vcc, s13, v9
	s_mov_b64 s[6:7], 0
                                        ; implicit-def: $vgpr9
	s_and_saveexec_b64 s[8:9], vcc
	s_xor_b64 s[8:9], exec, s[8:9]
	s_cbranch_execnz .LBB22_83
; %bb.47:                               ;   in Loop: Header=BB22_33 Depth=1
	s_or_saveexec_b64 s[8:9], s[8:9]
                                        ; implicit-def: $sgpr10_sgpr11
	s_xor_b64 exec, exec, s[8:9]
	s_cbranch_execnz .LBB22_84
.LBB22_48:                              ;   in Loop: Header=BB22_33 Depth=1
	s_or_b64 exec, exec, s[8:9]
	v_pk_mov_b32 v[16:17], s[10:11], s[10:11] op_sel:[0,1]
	s_and_saveexec_b64 s[8:9], s[6:7]
.LBB22_49:                              ;   in Loop: Header=BB22_33 Depth=1
	v_lshrrev_b32_e32 v2, 24, v2
	v_and_or_b32 v16, v2, s16, v9
.LBB22_50:                              ;   in Loop: Header=BB22_33 Depth=1
	s_or_b64 exec, exec, s[8:9]
.LBB22_51:                              ;   in Loop: Header=BB22_33 Depth=1
	s_or_b64 exec, exec, s[0:1]
	v_cvt_f32_f16_sdwa v2, v3 dst_sel:DWORD dst_unused:UNUSED_PAD src0_sel:WORD_1
	v_div_scale_f32 v3, s[0:1], v0, v0, v2
	v_rcp_f32_e32 v9, v3
	v_div_scale_f32 v11, vcc, v2, v0, v2
	v_fma_f32 v15, -v3, v9, 1.0
	v_fmac_f32_e32 v9, v15, v9
	v_mul_f32_e32 v15, v11, v9
	v_fma_f32 v17, -v3, v15, v11
	v_fmac_f32_e32 v15, v17, v9
	v_fma_f32 v3, -v3, v15, v11
	v_div_fmas_f32 v3, v3, v9, v15
	v_div_fixup_f32 v2, v3, v0, v2
	v_max_f32_e32 v2, v2, v33
	v_min_f32_e32 v2, v2, v34
	v_and_b32_e32 v3, 0x7fffffff, v2
	v_cmp_gt_u32_e32 vcc, s12, v3
	s_and_saveexec_b64 s[0:1], vcc
	s_cbranch_execz .LBB22_57
; %bb.52:                               ;   in Loop: Header=BB22_33 Depth=1
	v_cmp_lt_u32_e32 vcc, s13, v3
	s_mov_b64 s[6:7], 0
                                        ; implicit-def: $vgpr3
	s_and_saveexec_b64 s[8:9], vcc
	s_xor_b64 s[8:9], exec, s[8:9]
	s_cbranch_execnz .LBB22_85
; %bb.53:                               ;   in Loop: Header=BB22_33 Depth=1
	s_or_saveexec_b64 s[8:9], s[8:9]
                                        ; implicit-def: $sgpr10_sgpr11
	s_xor_b64 exec, exec, s[8:9]
	s_cbranch_execnz .LBB22_86
.LBB22_54:                              ;   in Loop: Header=BB22_33 Depth=1
	s_or_b64 exec, exec, s[8:9]
	v_pk_mov_b32 v[14:15], s[10:11], s[10:11] op_sel:[0,1]
	s_and_saveexec_b64 s[8:9], s[6:7]
.LBB22_55:                              ;   in Loop: Header=BB22_33 Depth=1
	v_lshrrev_b32_e32 v2, 24, v2
	v_and_or_b32 v14, v2, s16, v3
.LBB22_56:                              ;   in Loop: Header=BB22_33 Depth=1
	s_or_b64 exec, exec, s[8:9]
.LBB22_57:                              ;   in Loop: Header=BB22_33 Depth=1
	s_or_b64 exec, exec, s[0:1]
	v_cvt_f32_f16_e32 v9, v4
	v_mov_b32_e32 v2, 0x80
	v_mov_b32_e32 v3, 0
	v_div_scale_f32 v11, s[0:1], v0, v0, v9
	v_rcp_f32_e32 v15, v11
	v_div_scale_f32 v17, vcc, v9, v0, v9
	v_fma_f32 v18, -v11, v15, 1.0
	v_fmac_f32_e32 v15, v18, v15
	v_mul_f32_e32 v18, v17, v15
	v_fma_f32 v19, -v11, v18, v17
	v_fmac_f32_e32 v18, v19, v15
	v_fma_f32 v11, -v11, v18, v17
	v_div_fmas_f32 v11, v11, v15, v18
	v_div_fixup_f32 v9, v11, v0, v9
	v_max_f32_e32 v9, v9, v33
	v_min_f32_e32 v9, v9, v34
	v_and_b32_e32 v11, 0x7fffffff, v9
	v_cmp_gt_u32_e32 vcc, s12, v11
	v_pk_mov_b32 v[18:19], v[2:3], v[2:3] op_sel:[0,1]
	s_and_saveexec_b64 s[0:1], vcc
	s_cbranch_execz .LBB22_63
; %bb.58:                               ;   in Loop: Header=BB22_33 Depth=1
	v_cmp_lt_u32_e32 vcc, s13, v11
	s_mov_b64 s[6:7], 0
                                        ; implicit-def: $vgpr3
	s_and_saveexec_b64 s[8:9], vcc
	s_xor_b64 s[8:9], exec, s[8:9]
	s_cbranch_execnz .LBB22_87
; %bb.59:                               ;   in Loop: Header=BB22_33 Depth=1
	s_or_saveexec_b64 s[8:9], s[8:9]
                                        ; implicit-def: $sgpr10_sgpr11
	s_xor_b64 exec, exec, s[8:9]
	s_cbranch_execnz .LBB22_88
.LBB22_60:                              ;   in Loop: Header=BB22_33 Depth=1
	s_or_b64 exec, exec, s[8:9]
	v_pk_mov_b32 v[18:19], s[10:11], s[10:11] op_sel:[0,1]
	s_and_saveexec_b64 s[8:9], s[6:7]
.LBB22_61:                              ;   in Loop: Header=BB22_33 Depth=1
	v_lshrrev_b32_e32 v9, 24, v9
	v_and_or_b32 v18, v9, s16, v3
.LBB22_62:                              ;   in Loop: Header=BB22_33 Depth=1
	s_or_b64 exec, exec, s[8:9]
.LBB22_63:                              ;   in Loop: Header=BB22_33 Depth=1
	s_or_b64 exec, exec, s[0:1]
	v_cvt_f32_f16_sdwa v3, v4 dst_sel:DWORD dst_unused:UNUSED_PAD src0_sel:WORD_1
	v_div_scale_f32 v4, s[0:1], v0, v0, v3
	v_rcp_f32_e32 v9, v4
	v_div_scale_f32 v11, vcc, v3, v0, v3
	v_fma_f32 v15, -v4, v9, 1.0
	v_fmac_f32_e32 v9, v15, v9
	v_mul_f32_e32 v15, v11, v9
	v_fma_f32 v17, -v4, v15, v11
	v_fmac_f32_e32 v15, v17, v9
	v_fma_f32 v4, -v4, v15, v11
	v_div_fmas_f32 v4, v4, v9, v15
	v_div_fixup_f32 v3, v4, v0, v3
	v_max_f32_e32 v3, v3, v33
	v_min_f32_e32 v4, v3, v34
	v_and_b32_e32 v3, 0x7fffffff, v4
	v_cmp_gt_u32_e32 vcc, s12, v3
	s_and_saveexec_b64 s[0:1], vcc
	s_cbranch_execz .LBB22_69
; %bb.64:                               ;   in Loop: Header=BB22_33 Depth=1
	v_cmp_lt_u32_e32 vcc, s13, v3
	s_mov_b64 s[6:7], 0
                                        ; implicit-def: $vgpr9
	s_and_saveexec_b64 s[8:9], vcc
	s_xor_b64 s[8:9], exec, s[8:9]
	s_cbranch_execnz .LBB22_89
; %bb.65:                               ;   in Loop: Header=BB22_33 Depth=1
	s_or_saveexec_b64 s[8:9], s[8:9]
                                        ; implicit-def: $sgpr10_sgpr11
	s_xor_b64 exec, exec, s[8:9]
	s_cbranch_execnz .LBB22_90
.LBB22_66:                              ;   in Loop: Header=BB22_33 Depth=1
	s_or_b64 exec, exec, s[8:9]
	v_pk_mov_b32 v[2:3], s[10:11], s[10:11] op_sel:[0,1]
	s_and_saveexec_b64 s[8:9], s[6:7]
.LBB22_67:                              ;   in Loop: Header=BB22_33 Depth=1
	v_lshrrev_b32_e32 v2, 24, v4
	v_and_or_b32 v2, v2, s16, v9
.LBB22_68:                              ;   in Loop: Header=BB22_33 Depth=1
	s_or_b64 exec, exec, s[8:9]
.LBB22_69:                              ;   in Loop: Header=BB22_33 Depth=1
	s_or_b64 exec, exec, s[0:1]
	v_cvt_f32_f16_e32 v3, v5
	v_mov_b32_e32 v20, 0x80
	v_mov_b32_e32 v21, 0
	v_pk_mov_b32 v[22:23], v[20:21], v[20:21] op_sel:[0,1]
	v_div_scale_f32 v4, s[0:1], v0, v0, v3
	v_rcp_f32_e32 v9, v4
	v_div_scale_f32 v11, vcc, v3, v0, v3
	v_fma_f32 v15, -v4, v9, 1.0
	v_fmac_f32_e32 v9, v15, v9
	v_mul_f32_e32 v15, v11, v9
	v_fma_f32 v17, -v4, v15, v11
	v_fmac_f32_e32 v15, v17, v9
	v_fma_f32 v4, -v4, v15, v11
	v_div_fmas_f32 v4, v4, v9, v15
	v_div_fixup_f32 v3, v4, v0, v3
	v_max_f32_e32 v3, v3, v33
	v_min_f32_e32 v3, v3, v34
	v_and_b32_e32 v4, 0x7fffffff, v3
	v_cmp_gt_u32_e32 vcc, s12, v4
	s_and_saveexec_b64 s[0:1], vcc
	s_cbranch_execz .LBB22_75
; %bb.70:                               ;   in Loop: Header=BB22_33 Depth=1
	v_cmp_lt_u32_e32 vcc, s13, v4
	s_mov_b64 s[6:7], 0
                                        ; implicit-def: $vgpr4
	s_and_saveexec_b64 s[8:9], vcc
	s_xor_b64 s[8:9], exec, s[8:9]
	s_cbranch_execnz .LBB22_91
; %bb.71:                               ;   in Loop: Header=BB22_33 Depth=1
	s_or_saveexec_b64 s[8:9], s[8:9]
                                        ; implicit-def: $sgpr10_sgpr11
	s_xor_b64 exec, exec, s[8:9]
	s_cbranch_execnz .LBB22_92
.LBB22_72:                              ;   in Loop: Header=BB22_33 Depth=1
	s_or_b64 exec, exec, s[8:9]
	v_pk_mov_b32 v[22:23], s[10:11], s[10:11] op_sel:[0,1]
	s_and_saveexec_b64 s[8:9], s[6:7]
.LBB22_73:                              ;   in Loop: Header=BB22_33 Depth=1
	v_lshrrev_b32_e32 v3, 24, v3
	v_and_or_b32 v22, v3, s16, v4
.LBB22_74:                              ;   in Loop: Header=BB22_33 Depth=1
	s_or_b64 exec, exec, s[8:9]
.LBB22_75:                              ;   in Loop: Header=BB22_33 Depth=1
	s_or_b64 exec, exec, s[0:1]
	v_cvt_f32_f16_sdwa v3, v5 dst_sel:DWORD dst_unused:UNUSED_PAD src0_sel:WORD_1
	v_div_scale_f32 v4, s[0:1], v0, v0, v3
	v_rcp_f32_e32 v5, v4
	v_div_scale_f32 v9, vcc, v3, v0, v3
	v_fma_f32 v11, -v4, v5, 1.0
	v_fmac_f32_e32 v5, v11, v5
	v_mul_f32_e32 v11, v9, v5
	v_fma_f32 v15, -v4, v11, v9
	v_fmac_f32_e32 v11, v15, v5
	v_fma_f32 v4, -v4, v11, v9
	v_div_fmas_f32 v4, v4, v5, v11
	v_div_fixup_f32 v3, v4, v0, v3
	v_max_f32_e32 v3, v3, v33
	v_min_f32_e32 v3, v3, v34
	v_and_b32_e32 v4, 0x7fffffff, v3
	v_cmp_gt_u32_e32 vcc, s12, v4
	s_and_saveexec_b64 s[0:1], vcc
	s_cbranch_execz .LBB22_32
; %bb.76:                               ;   in Loop: Header=BB22_33 Depth=1
	v_cmp_lt_u32_e32 vcc, s13, v4
	s_mov_b64 s[6:7], 0
                                        ; implicit-def: $vgpr4
	s_and_saveexec_b64 s[8:9], vcc
	s_xor_b64 s[8:9], exec, s[8:9]
	s_cbranch_execnz .LBB22_93
; %bb.77:                               ;   in Loop: Header=BB22_33 Depth=1
	s_or_saveexec_b64 s[8:9], s[8:9]
                                        ; implicit-def: $sgpr10_sgpr11
	s_xor_b64 exec, exec, s[8:9]
	s_cbranch_execnz .LBB22_94
.LBB22_78:                              ;   in Loop: Header=BB22_33 Depth=1
	s_or_b64 exec, exec, s[8:9]
	v_pk_mov_b32 v[20:21], s[10:11], s[10:11] op_sel:[0,1]
	s_and_saveexec_b64 s[8:9], s[6:7]
	s_cbranch_execz .LBB22_31
	s_branch .LBB22_95
.LBB22_79:                              ;   in Loop: Header=BB22_33 Depth=1
	v_bfe_u32 v9, v14, 20, 1
	v_add3_u32 v9, v14, v9, s14
	s_mov_b64 s[6:7], exec
	v_lshrrev_b32_e32 v9, 20, v9
	s_or_saveexec_b64 s[8:9], s[8:9]
                                        ; implicit-def: $sgpr10_sgpr11
	s_xor_b64 exec, exec, s[8:9]
	s_cbranch_execz .LBB22_36
.LBB22_80:                              ;   in Loop: Header=BB22_33 Depth=1
	v_add_f32_e64 v9, |v14|, s15
	v_and_b32_e32 v9, 0xff, v9
	v_cmp_ne_u32_e32 vcc, 0, v9
	s_andn2_b64 s[6:7], s[6:7], exec
	s_and_b64 s[26:27], vcc, exec
	s_mov_b64 s[10:11], 0
	s_or_b64 s[6:7], s[6:7], s[26:27]
	s_or_b64 exec, exec, s[8:9]
	v_pk_mov_b32 v[10:11], s[10:11], s[10:11] op_sel:[0,1]
	s_and_saveexec_b64 s[8:9], s[6:7]
	s_cbranch_execnz .LBB22_37
	s_branch .LBB22_38
.LBB22_81:                              ;   in Loop: Header=BB22_33 Depth=1
	v_bfe_u32 v8, v2, 20, 1
	v_add3_u32 v8, v2, v8, s14
	s_mov_b64 s[6:7], exec
	v_lshrrev_b32_e32 v11, 20, v8
	s_or_saveexec_b64 s[8:9], s[8:9]
                                        ; implicit-def: $sgpr10_sgpr11
	s_xor_b64 exec, exec, s[8:9]
	s_cbranch_execz .LBB22_42
.LBB22_82:                              ;   in Loop: Header=BB22_33 Depth=1
	v_add_f32_e64 v8, |v2|, s15
	v_and_b32_e32 v11, 0xff, v8
	v_cmp_ne_u32_e32 vcc, 0, v11
	s_andn2_b64 s[6:7], s[6:7], exec
	s_and_b64 s[26:27], vcc, exec
	s_mov_b64 s[10:11], 0
	s_or_b64 s[6:7], s[6:7], s[26:27]
	s_or_b64 exec, exec, s[8:9]
	v_pk_mov_b32 v[8:9], s[10:11], s[10:11] op_sel:[0,1]
	s_and_saveexec_b64 s[8:9], s[6:7]
	s_cbranch_execnz .LBB22_43
	s_branch .LBB22_44
.LBB22_83:                              ;   in Loop: Header=BB22_33 Depth=1
	v_bfe_u32 v9, v2, 20, 1
	v_add3_u32 v9, v2, v9, s14
	s_mov_b64 s[6:7], exec
	v_lshrrev_b32_e32 v9, 20, v9
	s_or_saveexec_b64 s[8:9], s[8:9]
                                        ; implicit-def: $sgpr10_sgpr11
	s_xor_b64 exec, exec, s[8:9]
	s_cbranch_execz .LBB22_48
.LBB22_84:                              ;   in Loop: Header=BB22_33 Depth=1
	v_add_f32_e64 v9, |v2|, s15
	v_and_b32_e32 v9, 0xff, v9
	v_cmp_ne_u32_e32 vcc, 0, v9
	s_andn2_b64 s[6:7], s[6:7], exec
	s_and_b64 s[26:27], vcc, exec
	s_mov_b64 s[10:11], 0
	s_or_b64 s[6:7], s[6:7], s[26:27]
	s_or_b64 exec, exec, s[8:9]
	v_pk_mov_b32 v[16:17], s[10:11], s[10:11] op_sel:[0,1]
	s_and_saveexec_b64 s[8:9], s[6:7]
	s_cbranch_execnz .LBB22_49
	s_branch .LBB22_50
.LBB22_85:                              ;   in Loop: Header=BB22_33 Depth=1
	v_bfe_u32 v3, v2, 20, 1
	v_add3_u32 v3, v2, v3, s14
	s_mov_b64 s[6:7], exec
	v_lshrrev_b32_e32 v3, 20, v3
	s_or_saveexec_b64 s[8:9], s[8:9]
                                        ; implicit-def: $sgpr10_sgpr11
	s_xor_b64 exec, exec, s[8:9]
	s_cbranch_execz .LBB22_54
.LBB22_86:                              ;   in Loop: Header=BB22_33 Depth=1
	v_add_f32_e64 v3, |v2|, s15
	v_and_b32_e32 v3, 0xff, v3
	v_cmp_ne_u32_e32 vcc, 0, v3
	s_andn2_b64 s[6:7], s[6:7], exec
	s_and_b64 s[26:27], vcc, exec
	s_mov_b64 s[10:11], 0
	s_or_b64 s[6:7], s[6:7], s[26:27]
	s_or_b64 exec, exec, s[8:9]
	v_pk_mov_b32 v[14:15], s[10:11], s[10:11] op_sel:[0,1]
	s_and_saveexec_b64 s[8:9], s[6:7]
	s_cbranch_execnz .LBB22_55
	s_branch .LBB22_56
.LBB22_87:                              ;   in Loop: Header=BB22_33 Depth=1
	v_bfe_u32 v3, v9, 20, 1
	v_add3_u32 v3, v9, v3, s14
	s_mov_b64 s[6:7], exec
	v_lshrrev_b32_e32 v3, 20, v3
	s_or_saveexec_b64 s[8:9], s[8:9]
                                        ; implicit-def: $sgpr10_sgpr11
	s_xor_b64 exec, exec, s[8:9]
	s_cbranch_execz .LBB22_60
.LBB22_88:                              ;   in Loop: Header=BB22_33 Depth=1
	v_add_f32_e64 v3, |v9|, s15
	v_and_b32_e32 v3, 0xff, v3
	v_cmp_ne_u32_e32 vcc, 0, v3
	s_andn2_b64 s[6:7], s[6:7], exec
	s_and_b64 s[26:27], vcc, exec
	s_mov_b64 s[10:11], 0
	s_or_b64 s[6:7], s[6:7], s[26:27]
	s_or_b64 exec, exec, s[8:9]
	v_pk_mov_b32 v[18:19], s[10:11], s[10:11] op_sel:[0,1]
	s_and_saveexec_b64 s[8:9], s[6:7]
	s_cbranch_execnz .LBB22_61
	s_branch .LBB22_62
.LBB22_89:                              ;   in Loop: Header=BB22_33 Depth=1
	v_bfe_u32 v2, v4, 20, 1
	v_add3_u32 v2, v4, v2, s14
	s_mov_b64 s[6:7], exec
	v_lshrrev_b32_e32 v9, 20, v2
	s_or_saveexec_b64 s[8:9], s[8:9]
                                        ; implicit-def: $sgpr10_sgpr11
	s_xor_b64 exec, exec, s[8:9]
	s_cbranch_execz .LBB22_66
.LBB22_90:                              ;   in Loop: Header=BB22_33 Depth=1
	v_add_f32_e64 v2, |v4|, s15
	v_and_b32_e32 v9, 0xff, v2
	v_cmp_ne_u32_e32 vcc, 0, v9
	s_andn2_b64 s[6:7], s[6:7], exec
	s_and_b64 s[26:27], vcc, exec
	s_mov_b64 s[10:11], 0
	s_or_b64 s[6:7], s[6:7], s[26:27]
	s_or_b64 exec, exec, s[8:9]
	v_pk_mov_b32 v[2:3], s[10:11], s[10:11] op_sel:[0,1]
	s_and_saveexec_b64 s[8:9], s[6:7]
	s_cbranch_execnz .LBB22_67
	s_branch .LBB22_68
.LBB22_91:                              ;   in Loop: Header=BB22_33 Depth=1
	v_bfe_u32 v4, v3, 20, 1
	v_add3_u32 v4, v3, v4, s14
	s_mov_b64 s[6:7], exec
	v_lshrrev_b32_e32 v4, 20, v4
	s_or_saveexec_b64 s[8:9], s[8:9]
                                        ; implicit-def: $sgpr10_sgpr11
	s_xor_b64 exec, exec, s[8:9]
	s_cbranch_execz .LBB22_72
.LBB22_92:                              ;   in Loop: Header=BB22_33 Depth=1
	v_add_f32_e64 v4, |v3|, s15
	v_and_b32_e32 v4, 0xff, v4
	v_cmp_ne_u32_e32 vcc, 0, v4
	s_andn2_b64 s[6:7], s[6:7], exec
	s_and_b64 s[26:27], vcc, exec
	s_mov_b64 s[10:11], 0
	s_or_b64 s[6:7], s[6:7], s[26:27]
	s_or_b64 exec, exec, s[8:9]
	v_pk_mov_b32 v[22:23], s[10:11], s[10:11] op_sel:[0,1]
	s_and_saveexec_b64 s[8:9], s[6:7]
	s_cbranch_execnz .LBB22_73
	s_branch .LBB22_74
.LBB22_93:                              ;   in Loop: Header=BB22_33 Depth=1
	v_bfe_u32 v4, v3, 20, 1
	v_add3_u32 v4, v3, v4, s14
	s_mov_b64 s[6:7], exec
	v_lshrrev_b32_e32 v4, 20, v4
	s_or_saveexec_b64 s[8:9], s[8:9]
                                        ; implicit-def: $sgpr10_sgpr11
	s_xor_b64 exec, exec, s[8:9]
	s_cbranch_execz .LBB22_78
.LBB22_94:                              ;   in Loop: Header=BB22_33 Depth=1
	v_add_f32_e64 v4, |v3|, s15
	v_and_b32_e32 v4, 0xff, v4
	v_cmp_ne_u32_e32 vcc, 0, v4
	s_andn2_b64 s[6:7], s[6:7], exec
	s_and_b64 s[26:27], vcc, exec
	s_mov_b64 s[10:11], 0
	s_or_b64 s[6:7], s[6:7], s[26:27]
	s_or_b64 exec, exec, s[8:9]
	v_pk_mov_b32 v[20:21], s[10:11], s[10:11] op_sel:[0,1]
	s_and_saveexec_b64 s[8:9], s[6:7]
	s_cbranch_execz .LBB22_31
.LBB22_95:                              ;   in Loop: Header=BB22_33 Depth=1
	v_lshrrev_b32_e32 v3, 24, v3
	v_and_or_b32 v20, v3, s16, v4
	s_branch .LBB22_31
.LBB22_96:
	s_or_b64 exec, exec, s[2:3]
	v_lshlrev_b32_e32 v4, 3, v31
	v_add_u32_e32 v2, v4, v24
	v_cmp_lt_i32_e32 vcc, v2, v26
	s_and_saveexec_b64 s[24:25], vcc
	s_cbranch_execz .LBB22_114
; %bb.97:
	v_add_u32_e32 v3, 16, v2
	v_max_i32_e32 v5, v3, v26
	v_xad_u32 v5, v24, -1, v5
	v_sub_u32_e32 v4, v5, v4
	v_cmp_lt_u32_e32 vcc, 47, v4
	s_mov_b64 s[0:1], 0
                                        ; implicit-def: $vgpr20
	s_and_saveexec_b64 s[2:3], vcc
	s_xor_b64 s[26:27], exec, s[2:3]
	s_cbranch_execnz .LBB22_100
; %bb.98:
	s_andn2_saveexec_b64 s[2:3], s[26:27]
	s_cbranch_execnz .LBB22_103
.LBB22_99:
	s_or_b64 exec, exec, s[2:3]
	s_and_b64 exec, exec, s[0:1]
	s_cbranch_execnz .LBB22_104
	s_branch .LBB22_114
.LBB22_100:
	v_lshrrev_b32_e32 v4, 4, v4
	v_lshlrev_b32_e32 v20, 1, v25
	v_lshlrev_b32_e32 v8, 4, v31
	;; [unrolled: 1-line block ×3, first 2 shown]
	v_add_u32_e32 v21, 1, v4
	v_add_u32_e32 v5, 48, v2
	;; [unrolled: 1-line block ×3, first 2 shown]
	v_add3_u32 v8, v20, v8, v29
	v_lshlrev_b32_e32 v9, 1, v24
	v_add_co_u32_e32 v23, vcc, v1, v27
	v_and_b32_e32 v22, 0x1ffffffc, v21
	s_mov_b32 s0, s18
	s_mov_b32 s1, s18
	;; [unrolled: 1-line block ×8, first 2 shown]
	v_add3_u32 v24, v8, v9, 0
	v_pk_mov_b32 v[10:11], v[4:5], v[4:5] op_sel:[0,1]
	v_addc_co_u32_e32 v30, vcc, v30, v28, vcc
	v_mov_b32_e32 v1, v0
	v_mov_b32_e32 v6, v0
	v_mov_b32_e32 v7, v0
	s_mov_b64 s[28:29], 0
	v_max_f32_e64 v25, s3, s3
	v_max_f32_e64 v31, s2, s2
	;; [unrolled: 1-line block ×8, first 2 shown]
	s_mov_b32 s33, 0x43800000
	s_brev_b32 s34, 60
	s_mov_b32 s35, 0x487ffff
	s_mov_b32 s30, 0x46000000
	s_movk_i32 s36, 0x80
	v_mov_b32_e32 v38, 0xffffff80
	v_mov_b32_e32 v39, 0
	;; [unrolled: 1-line block ×3, first 2 shown]
	v_pk_mov_b32 v[8:9], v[2:3], v[2:3] op_sel:[0,1]
.LBB22_101:                             ; =>This Inner Loop Header: Depth=1
	ds_read_u16 v41, v24
	ds_read_u16 v42, v24 offset:32
	ds_read_u16 v43, v24 offset:64
	;; [unrolled: 1-line block ×3, first 2 shown]
	v_ashrrev_i32_e32 v3, 31, v11
	v_ashrrev_i32_e32 v5, 31, v9
	;; [unrolled: 1-line block ×3, first 2 shown]
	v_add_co_u32_e32 v4, vcc, v23, v9
	v_add_co_u32_e64 v16, s[2:3], v23, v11
	v_add_co_u32_e64 v18, s[4:5], v23, v8
	s_waitcnt lgkmcnt(3)
	v_cvt_f32_f16_e32 v41, v41
	v_addc_co_u32_e64 v19, s[4:5], v30, v17, s[4:5]
	v_addc_co_u32_e32 v5, vcc, v30, v5, vcc
	v_addc_co_u32_e64 v17, vcc, v30, v3, s[2:3]
	s_waitcnt lgkmcnt(0)
	v_cvt_f32_f16_e32 v3, v44
	v_cvt_f32_f16_e32 v42, v42
	v_cvt_f32_f16_e32 v43, v43
	v_ashrrev_i32_e32 v15, 31, v10
	v_add_co_u32_e64 v14, s[0:1], v23, v10
	v_addc_co_u32_e64 v15, vcc, v30, v15, s[0:1]
	v_div_scale_f32 v44, s[0:1], v0, v0, v41
	v_div_scale_f32 v46, s[0:1], v1, v1, v42
	;; [unrolled: 1-line block ×3, first 2 shown]
	v_rcp_f32_e32 v51, v44
	v_div_scale_f32 v48, s[2:3], v6, v6, v43
	v_rcp_f32_e32 v52, v46
	v_rcp_f32_e32 v54, v50
	v_rcp_f32_e32 v53, v48
	v_fma_f32 v55, -v44, v51, 1.0
	v_div_scale_f32 v45, vcc, v41, v0, v41
	v_fma_f32 v56, -v46, v52, 1.0
	v_fmac_f32_e32 v51, v55, v51
	v_fma_f32 v55, -v50, v54, 1.0
	v_div_scale_f32 v47, s[0:1], v42, v1, v42
	v_fma_f32 v57, -v48, v53, 1.0
	v_fmac_f32_e32 v52, v56, v52
	v_fmac_f32_e32 v54, v55, v54
	v_mul_f32_e32 v55, v45, v51
	v_fmac_f32_e32 v53, v57, v53
	v_mul_f32_e32 v56, v47, v52
	v_fma_f32 v57, -v44, v55, v45
	v_div_scale_f32 v49, s[2:3], v43, v6, v43
	v_fmac_f32_e32 v55, v57, v51
	v_fma_f32 v57, -v46, v56, v47
	v_fmac_f32_e32 v56, v57, v52
	v_mul_f32_e32 v57, v49, v53
	v_fma_f32 v58, -v48, v57, v49
	v_fmac_f32_e32 v57, v58, v53
	v_div_scale_f32 v58, s[4:5], v3, v7, v3
	v_mul_f32_e32 v59, v58, v54
	v_fma_f32 v44, -v44, v55, v45
	v_fma_f32 v60, -v50, v59, v58
	;; [unrolled: 1-line block ×3, first 2 shown]
	v_div_fmas_f32 v44, v44, v51, v55
	s_mov_b64 vcc, s[0:1]
	v_fmac_f32_e32 v59, v60, v54
	v_fma_f32 v46, -v48, v57, v49
	v_div_fixup_f32 v41, v44, v0, v41
	v_div_fmas_f32 v44, v45, v52, v56
	s_mov_b64 vcc, s[2:3]
	v_fma_f32 v47, -v50, v59, v58
	v_div_fixup_f32 v42, v44, v1, v42
	v_div_fmas_f32 v44, v46, v53, v57
	v_max_f32_e32 v41, v41, v33
	s_mov_b64 vcc, s[4:5]
	v_div_fixup_f32 v43, v44, v6, v43
	v_div_fmas_f32 v44, v47, v54, v59
	v_max_f32_e32 v42, v42, v32
	v_min_f32_e32 v41, v41, v34
	v_div_fixup_f32 v3, v44, v7, v3
	v_max_f32_e32 v43, v43, v31
	v_min_f32_e32 v45, v42, v35
	v_and_b32_e32 v42, 0x7fffffff, v41
	v_bfe_u32 v44, v41, 20, 1
	v_lshrrev_b32_e32 v46, 24, v41
	v_max_f32_e32 v3, v3, v25
	v_min_f32_e32 v47, v43, v36
	v_and_b32_e32 v43, 0x7fffffff, v45
	v_cmp_gt_u32_e32 vcc, s33, v42
	v_cmp_gt_u32_e64 s[0:1], s34, v42
	v_bfe_u32 v48, v45, 20, 1
	v_add3_u32 v41, v41, v44, s35
	v_min_f32_e32 v3, v3, v37
	v_and_b32_e32 v44, 0x7fffffff, v47
	v_cmp_gt_u32_e64 s[2:3], s33, v43
	v_cmp_gt_u32_e64 s[4:5], s34, v43
	v_bfe_u32 v50, v47, 20, 1
	v_add3_u32 v48, v45, v48, s35
	v_lshrrev_b32_e32 v41, 20, v41
	v_pk_add_f32 v[42:43], v[42:43], s[30:31] op_sel_hi:[1,0]
	s_xor_b64 s[8:9], s[0:1], vcc
	v_lshrrev_b32_e32 v49, 24, v45
	v_lshrrev_b32_e32 v51, 24, v47
	v_and_b32_e32 v45, 0x7fffffff, v3
	v_cmp_gt_u32_e64 s[10:11], s33, v44
	v_cmp_gt_u32_e64 s[12:13], s34, v44
	v_bfe_u32 v52, v3, 20, 1
	v_add3_u32 v47, v47, v50, s35
	v_lshrrev_b32_e32 v48, 20, v48
	v_cndmask_b32_e64 v41, v42, v41, s[8:9]
	s_xor_b64 s[8:9], s[4:5], s[2:3]
	v_cmp_eq_u32_sdwa s[38:39], v43, v39 src0_sel:BYTE_0 src1_sel:DWORD
	v_cmp_eq_u32_sdwa s[40:41], v42, v39 src0_sel:BYTE_0 src1_sel:DWORD
	v_lshrrev_b32_e32 v42, 24, v3
	v_cmp_gt_u32_e64 s[14:15], s33, v45
	v_cmp_gt_u32_e64 s[16:17], s34, v45
	v_add3_u32 v3, v3, v52, s35
	v_lshrrev_b32_e32 v47, 20, v47
	v_pk_add_f32 v[44:45], v[44:45], s[30:31] op_sel_hi:[1,0]
	v_cndmask_b32_e64 v43, v43, v48, s[8:9]
	v_and_or_b32 v41, v46, s36, v41
	s_xor_b64 s[8:9], s[12:13], s[10:11]
	v_lshrrev_b32_e32 v3, 20, v3
	v_cmp_eq_u32_sdwa s[44:45], v44, v39 src0_sel:BYTE_0 src1_sel:DWORD
	v_cndmask_b32_e64 v44, v44, v47, s[8:9]
	v_cndmask_b32_e32 v41, v38, v41, vcc
	s_xor_b64 vcc, s[16:17], s[14:15]
	s_and_b64 s[0:1], s[0:1], s[40:41]
	v_cndmask_b32_e32 v3, v45, v3, vcc
	v_and_or_b32 v44, v51, s36, v44
	v_cmp_eq_u32_sdwa s[42:43], v45, v39 src0_sel:BYTE_0 src1_sel:DWORD
	v_and_or_b32 v43, v49, s36, v43
	v_cndmask_b32_e64 v41, v41, 0, s[0:1]
	v_and_or_b32 v3, v42, s36, v3
	v_cndmask_b32_e64 v42, v38, v44, s[10:11]
	s_and_b64 s[0:1], s[12:13], s[44:45]
	v_cndmask_b32_e64 v43, v38, v43, s[2:3]
	s_and_b64 s[2:3], s[4:5], s[38:39]
	global_store_byte v[18:19], v41, off
	v_cndmask_b32_e64 v3, v38, v3, s[14:15]
	v_cndmask_b32_e64 v18, v42, 0, s[0:1]
	s_and_b64 s[0:1], s[16:17], s[42:43]
	v_cndmask_b32_e64 v43, v43, 0, s[2:3]
	v_cndmask_b32_e64 v3, v3, 0, s[0:1]
	v_add_u32_e32 v40, -4, v40
	v_lshlrev_b16_e32 v19, 8, v43
	v_lshlrev_b16_e32 v3, 8, v3
	v_cmp_eq_u32_e64 s[6:7], 0, v40
	v_lshrrev_b32_e32 v19, 8, v19
	v_or_b32_sdwa v3, v18, v3 dst_sel:DWORD dst_unused:UNUSED_PAD src0_sel:BYTE_0 src1_sel:DWORD
	v_add_u32_e32 v11, 64, v11
	v_add_u32_e32 v10, 64, v10
	;; [unrolled: 1-line block ×5, first 2 shown]
	s_or_b64 s[28:29], s[6:7], s[28:29]
	global_store_byte v[4:5], v19, off
	global_store_byte v[14:15], v3, off
	v_lshrrev_b32_e32 v3, 8, v3
	global_store_byte v[16:17], v3, off
	s_andn2_b64 exec, exec, s[28:29]
	s_cbranch_execnz .LBB22_101
; %bb.102:
	s_or_b64 exec, exec, s[28:29]
	v_cmp_ne_u32_e32 vcc, v21, v22
	v_lshl_add_u32 v2, v22, 4, v2
	s_and_b64 s[0:1], vcc, exec
                                        ; implicit-def: $vgpr25
	s_andn2_saveexec_b64 s[2:3], s[26:27]
	s_cbranch_execz .LBB22_99
.LBB22_103:
	v_lshlrev_b32_e32 v20, 1, v25
	s_or_b64 s[0:1], s[0:1], exec
	s_or_b64 exec, exec, s[2:3]
	s_and_b64 exec, exec, s[0:1]
	s_cbranch_execz .LBB22_114
.LBB22_104:
	v_add_co_u32_e32 v3, vcc, v27, v12
	v_addc_co_u32_e32 v4, vcc, v28, v13, vcc
	v_ashrrev_i32_e32 v5, 31, v2
	v_add_co_u32_e32 v3, vcc, v3, v2
	v_addc_co_u32_e32 v5, vcc, v4, v5, vcc
	v_lshl_add_u32 v1, v2, 1, v20
	v_mov_b32_e32 v6, s21
	v_add_co_u32_e32 v4, vcc, s20, v3
	v_add3_u32 v1, v1, v29, 0
	v_addc_co_u32_e32 v5, vcc, v6, v5, vcc
	s_mov_b64 s[0:1], 0
	v_max_f32_e64 v3, s18, s18
	v_max_f32_e64 v6, s19, s19
	s_mov_b32 s8, 0x43800000
	s_mov_b32 s9, 0x3bffffff
	;; [unrolled: 1-line block ×4, first 2 shown]
	s_movk_i32 s12, 0x80
	s_branch .LBB22_107
.LBB22_105:                             ;   in Loop: Header=BB22_107 Depth=1
	s_or_b64 exec, exec, s[6:7]
.LBB22_106:                             ;   in Loop: Header=BB22_107 Depth=1
	s_or_b64 exec, exec, s[2:3]
	v_add_u32_e32 v2, 16, v2
	v_cmp_ge_i32_e32 vcc, v2, v26
	global_store_byte v[4:5], v9, off
	s_or_b64 s[0:1], vcc, s[0:1]
	v_add_co_u32_e32 v4, vcc, 16, v4
	v_add_u32_e32 v1, 32, v1
	v_addc_co_u32_e32 v5, vcc, 0, v5, vcc
	s_andn2_b64 exec, exec, s[0:1]
	s_cbranch_execz .LBB22_114
.LBB22_107:                             ; =>This Inner Loop Header: Depth=1
	ds_read_u16 v7, v1
	s_waitcnt lgkmcnt(0)
	v_cvt_f32_f16_e32 v7, v7
	v_div_scale_f32 v8, s[2:3], v0, v0, v7
	v_rcp_f32_e32 v9, v8
	v_div_scale_f32 v10, vcc, v7, v0, v7
	v_fma_f32 v11, -v8, v9, 1.0
	v_fmac_f32_e32 v9, v11, v9
	v_mul_f32_e32 v11, v10, v9
	v_fma_f32 v12, -v8, v11, v10
	v_fmac_f32_e32 v11, v12, v9
	v_fma_f32 v8, -v8, v11, v10
	v_div_fmas_f32 v8, v8, v9, v11
	v_div_fixup_f32 v7, v8, v0, v7
	v_max_f32_e32 v7, v7, v3
	v_min_f32_e32 v7, v7, v6
	v_and_b32_e32 v8, 0x7fffffff, v7
	v_cmp_gt_u32_e32 vcc, s8, v8
	v_mov_b32_e32 v9, 0x80
	s_and_saveexec_b64 s[2:3], vcc
	s_cbranch_execz .LBB22_106
; %bb.108:                              ;   in Loop: Header=BB22_107 Depth=1
	v_cmp_lt_u32_e32 vcc, s9, v8
	s_mov_b64 s[4:5], 0
                                        ; implicit-def: $vgpr8
	s_and_saveexec_b64 s[6:7], vcc
	s_xor_b64 s[6:7], exec, s[6:7]
	s_cbranch_execnz .LBB22_111
; %bb.109:                              ;   in Loop: Header=BB22_107 Depth=1
	s_or_saveexec_b64 s[6:7], s[6:7]
                                        ; implicit-def: $sgpr13
	s_xor_b64 exec, exec, s[6:7]
	s_cbranch_execnz .LBB22_112
.LBB22_110:                             ;   in Loop: Header=BB22_107 Depth=1
	s_or_b64 exec, exec, s[6:7]
	v_mov_b32_e32 v9, s13
	s_and_saveexec_b64 s[6:7], s[4:5]
	s_cbranch_execz .LBB22_105
	s_branch .LBB22_113
.LBB22_111:                             ;   in Loop: Header=BB22_107 Depth=1
	v_bfe_u32 v8, v7, 20, 1
	v_add3_u32 v8, v7, v8, s10
	s_mov_b64 s[4:5], exec
	v_lshrrev_b32_e32 v8, 20, v8
	s_or_saveexec_b64 s[6:7], s[6:7]
                                        ; implicit-def: $sgpr13
	s_xor_b64 exec, exec, s[6:7]
	s_cbranch_execz .LBB22_110
.LBB22_112:                             ;   in Loop: Header=BB22_107 Depth=1
	v_add_f32_e64 v8, |v7|, s11
	v_and_b32_e32 v8, 0xff, v8
	v_cmp_ne_u32_e32 vcc, 0, v8
	s_andn2_b64 s[4:5], s[4:5], exec
	s_and_b64 s[14:15], vcc, exec
	s_mov_b32 s13, 0
	s_or_b64 s[4:5], s[4:5], s[14:15]
	s_or_b64 exec, exec, s[6:7]
	v_mov_b32_e32 v9, s13
	s_and_saveexec_b64 s[6:7], s[4:5]
	s_cbranch_execz .LBB22_105
.LBB22_113:                             ;   in Loop: Header=BB22_107 Depth=1
	v_lshrrev_b32_e32 v7, 24, v7
	v_and_or_b32 v9, v7, s12, v8
	s_branch .LBB22_105
.LBB22_114:
	s_or_b64 exec, exec, s[24:25]
                                        ; implicit-def: $vgpr24
                                        ; implicit-def: $vgpr0
                                        ; implicit-def: $vgpr25
                                        ; implicit-def: $vgpr12_vgpr13
.LBB22_115:
	s_andn2_saveexec_b64 s[0:1], s[22:23]
	s_cbranch_execz .LBB22_183
; %bb.116:
	s_ashr_i32 s10, s31, 3
	v_cmp_gt_i32_e32 vcc, s10, v24
	s_and_saveexec_b64 s[0:1], vcc
	s_cbranch_execz .LBB22_183
; %bb.117:
	v_lshlrev_b32_e32 v1, 1, v25
	v_lshlrev_b32_e32 v2, 4, v24
	v_add3_u32 v1, v1, v2, 0
	v_lshlrev_b32_e32 v2, 3, v24
	v_add_co_u32_e32 v2, vcc, v12, v2
	v_addc_co_u32_e32 v3, vcc, 0, v13, vcc
	v_mov_b32_e32 v4, s21
	v_add_co_u32_e32 v6, vcc, s20, v2
	v_addc_co_u32_e32 v7, vcc, v4, v3, vcc
	s_mov_b64 s[2:3], 0
	v_max_f32_e64 v22, s18, s18
	v_max_f32_e64 v23, s19, s19
	s_mov_b32 s11, 0x43800000
	s_mov_b32 s12, 0x3bffffff
	;; [unrolled: 1-line block ×4, first 2 shown]
	s_movk_i32 s15, 0x80
	s_mov_b32 s16, 0xff00
	s_mov_b32 s17, 0x4020c0c
	s_branch .LBB22_120
.LBB22_118:                             ;   in Loop: Header=BB22_120 Depth=1
	s_or_b64 exec, exec, s[6:7]
.LBB22_119:                             ;   in Loop: Header=BB22_120 Depth=1
	s_or_b64 exec, exec, s[0:1]
	v_lshlrev_b32_e32 v4, 16, v20
	v_lshlrev_b32_e32 v3, 24, v18
	v_and_b32_e32 v4, 0xff0000, v4
	v_lshlrev_b32_e32 v2, 8, v2
	v_or_b32_e32 v3, v3, v4
	v_and_b32_e32 v2, 0xff00, v2
	v_and_b32_e32 v4, 0xff, v16
	v_or3_b32 v3, v3, v2, v4
	v_lshlrev_b32_e32 v2, 16, v14
	v_lshlrev_b32_e32 v4, 8, v8
	v_perm_b32 v2, v12, v2, s17
	v_and_or_b32 v2, v4, s16, v2
	v_or_b32_sdwa v2, v2, v10 dst_sel:DWORD dst_unused:UNUSED_PAD src0_sel:DWORD src1_sel:BYTE_0
	v_add_u32_e32 v24, 16, v24
	global_store_dwordx2 v[6:7], v[2:3], off
	v_add_co_u32_e32 v6, vcc, 0x80, v6
	v_cmp_le_i32_e64 s[0:1], s10, v24
	v_add_u32_e32 v1, 0x100, v1
	s_or_b64 s[2:3], s[0:1], s[2:3]
	v_addc_co_u32_e32 v7, vcc, 0, v7, vcc
	s_andn2_b64 exec, exec, s[2:3]
	s_cbranch_execz .LBB22_183
.LBB22_120:                             ; =>This Inner Loop Header: Depth=1
	ds_read_b128 v[2:5], v1
	v_mov_b32_e32 v8, 0x80
	v_mov_b32_e32 v9, 0
	s_waitcnt lgkmcnt(0)
	v_cvt_f32_f16_e32 v10, v2
	v_div_scale_f32 v11, s[0:1], v0, v0, v10
	v_rcp_f32_e32 v12, v11
	v_div_scale_f32 v13, vcc, v10, v0, v10
	v_fma_f32 v14, -v11, v12, 1.0
	v_fmac_f32_e32 v12, v14, v12
	v_mul_f32_e32 v14, v13, v12
	v_fma_f32 v15, -v11, v14, v13
	v_fmac_f32_e32 v14, v15, v12
	v_fma_f32 v11, -v11, v14, v13
	v_div_fmas_f32 v11, v11, v12, v14
	v_div_fixup_f32 v10, v11, v0, v10
	v_max_f32_e32 v10, v10, v22
	v_min_f32_e32 v12, v10, v23
	v_and_b32_e32 v13, 0x7fffffff, v12
	v_cmp_gt_u32_e32 vcc, s11, v13
	v_pk_mov_b32 v[10:11], v[8:9], v[8:9] op_sel:[0,1]
	s_and_saveexec_b64 s[0:1], vcc
	s_cbranch_execz .LBB22_126
; %bb.121:                              ;   in Loop: Header=BB22_120 Depth=1
	v_cmp_lt_u32_e32 vcc, s12, v13
	s_mov_b64 s[4:5], 0
                                        ; implicit-def: $vgpr9
	s_and_saveexec_b64 s[6:7], vcc
	s_xor_b64 s[6:7], exec, s[6:7]
	s_cbranch_execnz .LBB22_166
; %bb.122:                              ;   in Loop: Header=BB22_120 Depth=1
	s_or_saveexec_b64 s[6:7], s[6:7]
                                        ; implicit-def: $sgpr8_sgpr9
	s_xor_b64 exec, exec, s[6:7]
	s_cbranch_execnz .LBB22_167
.LBB22_123:                             ;   in Loop: Header=BB22_120 Depth=1
	s_or_b64 exec, exec, s[6:7]
	v_pk_mov_b32 v[10:11], s[8:9], s[8:9] op_sel:[0,1]
	s_and_saveexec_b64 s[6:7], s[4:5]
.LBB22_124:                             ;   in Loop: Header=BB22_120 Depth=1
	v_lshrrev_b32_e32 v10, 24, v12
	v_and_or_b32 v10, v10, s15, v9
.LBB22_125:                             ;   in Loop: Header=BB22_120 Depth=1
	s_or_b64 exec, exec, s[6:7]
.LBB22_126:                             ;   in Loop: Header=BB22_120 Depth=1
	s_or_b64 exec, exec, s[0:1]
	v_cvt_f32_f16_sdwa v2, v2 dst_sel:DWORD dst_unused:UNUSED_PAD src0_sel:WORD_1
	v_div_scale_f32 v9, s[0:1], v0, v0, v2
	v_rcp_f32_e32 v11, v9
	v_div_scale_f32 v12, vcc, v2, v0, v2
	v_fma_f32 v13, -v9, v11, 1.0
	v_fmac_f32_e32 v11, v13, v11
	v_mul_f32_e32 v13, v12, v11
	v_fma_f32 v14, -v9, v13, v12
	v_fmac_f32_e32 v13, v14, v11
	v_fma_f32 v9, -v9, v13, v12
	v_div_fmas_f32 v9, v9, v11, v13
	v_div_fixup_f32 v2, v9, v0, v2
	v_max_f32_e32 v2, v2, v22
	v_min_f32_e32 v2, v2, v23
	v_and_b32_e32 v9, 0x7fffffff, v2
	v_cmp_gt_u32_e32 vcc, s11, v9
	s_and_saveexec_b64 s[0:1], vcc
	s_cbranch_execz .LBB22_132
; %bb.127:                              ;   in Loop: Header=BB22_120 Depth=1
	v_cmp_lt_u32_e32 vcc, s12, v9
	s_mov_b64 s[4:5], 0
                                        ; implicit-def: $vgpr11
	s_and_saveexec_b64 s[6:7], vcc
	s_xor_b64 s[6:7], exec, s[6:7]
	s_cbranch_execnz .LBB22_168
; %bb.128:                              ;   in Loop: Header=BB22_120 Depth=1
	s_or_saveexec_b64 s[6:7], s[6:7]
                                        ; implicit-def: $sgpr8_sgpr9
	s_xor_b64 exec, exec, s[6:7]
	s_cbranch_execnz .LBB22_169
.LBB22_129:                             ;   in Loop: Header=BB22_120 Depth=1
	s_or_b64 exec, exec, s[6:7]
	v_pk_mov_b32 v[8:9], s[8:9], s[8:9] op_sel:[0,1]
	s_and_saveexec_b64 s[6:7], s[4:5]
.LBB22_130:                             ;   in Loop: Header=BB22_120 Depth=1
	v_lshrrev_b32_e32 v2, 24, v2
	v_and_or_b32 v8, v2, s15, v11
.LBB22_131:                             ;   in Loop: Header=BB22_120 Depth=1
	s_or_b64 exec, exec, s[6:7]
.LBB22_132:                             ;   in Loop: Header=BB22_120 Depth=1
	s_or_b64 exec, exec, s[0:1]
	v_cvt_f32_f16_e32 v2, v3
	v_mov_b32_e32 v12, 0x80
	v_mov_b32_e32 v13, 0
	v_div_scale_f32 v9, s[0:1], v0, v0, v2
	v_rcp_f32_e32 v11, v9
	v_div_scale_f32 v14, vcc, v2, v0, v2
	v_fma_f32 v15, -v9, v11, 1.0
	v_fmac_f32_e32 v11, v15, v11
	v_mul_f32_e32 v15, v14, v11
	v_fma_f32 v16, -v9, v15, v14
	v_fmac_f32_e32 v15, v16, v11
	v_fma_f32 v9, -v9, v15, v14
	v_div_fmas_f32 v9, v9, v11, v15
	v_div_fixup_f32 v2, v9, v0, v2
	v_max_f32_e32 v2, v2, v22
	v_min_f32_e32 v2, v2, v23
	v_and_b32_e32 v9, 0x7fffffff, v2
	v_cmp_gt_u32_e32 vcc, s11, v9
	v_pk_mov_b32 v[14:15], v[12:13], v[12:13] op_sel:[0,1]
	s_and_saveexec_b64 s[0:1], vcc
	s_cbranch_execz .LBB22_138
; %bb.133:                              ;   in Loop: Header=BB22_120 Depth=1
	v_cmp_lt_u32_e32 vcc, s12, v9
	s_mov_b64 s[4:5], 0
                                        ; implicit-def: $vgpr9
	s_and_saveexec_b64 s[6:7], vcc
	s_xor_b64 s[6:7], exec, s[6:7]
	s_cbranch_execnz .LBB22_170
; %bb.134:                              ;   in Loop: Header=BB22_120 Depth=1
	s_or_saveexec_b64 s[6:7], s[6:7]
                                        ; implicit-def: $sgpr8_sgpr9
	s_xor_b64 exec, exec, s[6:7]
	s_cbranch_execnz .LBB22_171
.LBB22_135:                             ;   in Loop: Header=BB22_120 Depth=1
	s_or_b64 exec, exec, s[6:7]
	v_pk_mov_b32 v[14:15], s[8:9], s[8:9] op_sel:[0,1]
	s_and_saveexec_b64 s[6:7], s[4:5]
.LBB22_136:                             ;   in Loop: Header=BB22_120 Depth=1
	v_lshrrev_b32_e32 v2, 24, v2
	v_and_or_b32 v14, v2, s15, v9
.LBB22_137:                             ;   in Loop: Header=BB22_120 Depth=1
	s_or_b64 exec, exec, s[6:7]
.LBB22_138:                             ;   in Loop: Header=BB22_120 Depth=1
	s_or_b64 exec, exec, s[0:1]
	v_cvt_f32_f16_sdwa v2, v3 dst_sel:DWORD dst_unused:UNUSED_PAD src0_sel:WORD_1
	v_div_scale_f32 v3, s[0:1], v0, v0, v2
	v_rcp_f32_e32 v9, v3
	v_div_scale_f32 v11, vcc, v2, v0, v2
	v_fma_f32 v13, -v3, v9, 1.0
	v_fmac_f32_e32 v9, v13, v9
	v_mul_f32_e32 v13, v11, v9
	v_fma_f32 v15, -v3, v13, v11
	v_fmac_f32_e32 v13, v15, v9
	v_fma_f32 v3, -v3, v13, v11
	v_div_fmas_f32 v3, v3, v9, v13
	v_div_fixup_f32 v2, v3, v0, v2
	v_max_f32_e32 v2, v2, v22
	v_min_f32_e32 v2, v2, v23
	v_and_b32_e32 v3, 0x7fffffff, v2
	v_cmp_gt_u32_e32 vcc, s11, v3
	s_and_saveexec_b64 s[0:1], vcc
	s_cbranch_execz .LBB22_144
; %bb.139:                              ;   in Loop: Header=BB22_120 Depth=1
	v_cmp_lt_u32_e32 vcc, s12, v3
	s_mov_b64 s[4:5], 0
                                        ; implicit-def: $vgpr3
	s_and_saveexec_b64 s[6:7], vcc
	s_xor_b64 s[6:7], exec, s[6:7]
	s_cbranch_execnz .LBB22_172
; %bb.140:                              ;   in Loop: Header=BB22_120 Depth=1
	s_or_saveexec_b64 s[6:7], s[6:7]
                                        ; implicit-def: $sgpr8_sgpr9
	s_xor_b64 exec, exec, s[6:7]
	s_cbranch_execnz .LBB22_173
.LBB22_141:                             ;   in Loop: Header=BB22_120 Depth=1
	s_or_b64 exec, exec, s[6:7]
	v_pk_mov_b32 v[12:13], s[8:9], s[8:9] op_sel:[0,1]
	s_and_saveexec_b64 s[6:7], s[4:5]
.LBB22_142:                             ;   in Loop: Header=BB22_120 Depth=1
	v_lshrrev_b32_e32 v2, 24, v2
	v_and_or_b32 v12, v2, s15, v3
.LBB22_143:                             ;   in Loop: Header=BB22_120 Depth=1
	s_or_b64 exec, exec, s[6:7]
.LBB22_144:                             ;   in Loop: Header=BB22_120 Depth=1
	s_or_b64 exec, exec, s[0:1]
	v_cvt_f32_f16_e32 v9, v4
	v_mov_b32_e32 v2, 0x80
	v_mov_b32_e32 v3, 0
	v_div_scale_f32 v11, s[0:1], v0, v0, v9
	v_rcp_f32_e32 v13, v11
	v_div_scale_f32 v15, vcc, v9, v0, v9
	v_fma_f32 v16, -v11, v13, 1.0
	v_fmac_f32_e32 v13, v16, v13
	v_mul_f32_e32 v16, v15, v13
	v_fma_f32 v17, -v11, v16, v15
	v_fmac_f32_e32 v16, v17, v13
	v_fma_f32 v11, -v11, v16, v15
	v_div_fmas_f32 v11, v11, v13, v16
	v_div_fixup_f32 v9, v11, v0, v9
	v_max_f32_e32 v9, v9, v22
	v_min_f32_e32 v9, v9, v23
	v_and_b32_e32 v11, 0x7fffffff, v9
	v_cmp_gt_u32_e32 vcc, s11, v11
	v_pk_mov_b32 v[16:17], v[2:3], v[2:3] op_sel:[0,1]
	s_and_saveexec_b64 s[0:1], vcc
	s_cbranch_execz .LBB22_150
; %bb.145:                              ;   in Loop: Header=BB22_120 Depth=1
	v_cmp_lt_u32_e32 vcc, s12, v11
	s_mov_b64 s[4:5], 0
                                        ; implicit-def: $vgpr3
	s_and_saveexec_b64 s[6:7], vcc
	s_xor_b64 s[6:7], exec, s[6:7]
	s_cbranch_execnz .LBB22_174
; %bb.146:                              ;   in Loop: Header=BB22_120 Depth=1
	s_or_saveexec_b64 s[6:7], s[6:7]
                                        ; implicit-def: $sgpr8_sgpr9
	s_xor_b64 exec, exec, s[6:7]
	s_cbranch_execnz .LBB22_175
.LBB22_147:                             ;   in Loop: Header=BB22_120 Depth=1
	s_or_b64 exec, exec, s[6:7]
	v_pk_mov_b32 v[16:17], s[8:9], s[8:9] op_sel:[0,1]
	s_and_saveexec_b64 s[6:7], s[4:5]
.LBB22_148:                             ;   in Loop: Header=BB22_120 Depth=1
	v_lshrrev_b32_e32 v9, 24, v9
	v_and_or_b32 v16, v9, s15, v3
.LBB22_149:                             ;   in Loop: Header=BB22_120 Depth=1
	s_or_b64 exec, exec, s[6:7]
.LBB22_150:                             ;   in Loop: Header=BB22_120 Depth=1
	s_or_b64 exec, exec, s[0:1]
	v_cvt_f32_f16_sdwa v3, v4 dst_sel:DWORD dst_unused:UNUSED_PAD src0_sel:WORD_1
	v_div_scale_f32 v4, s[0:1], v0, v0, v3
	v_rcp_f32_e32 v9, v4
	v_div_scale_f32 v11, vcc, v3, v0, v3
	v_fma_f32 v13, -v4, v9, 1.0
	v_fmac_f32_e32 v9, v13, v9
	v_mul_f32_e32 v13, v11, v9
	v_fma_f32 v15, -v4, v13, v11
	v_fmac_f32_e32 v13, v15, v9
	v_fma_f32 v4, -v4, v13, v11
	v_div_fmas_f32 v4, v4, v9, v13
	v_div_fixup_f32 v3, v4, v0, v3
	v_max_f32_e32 v3, v3, v22
	v_min_f32_e32 v4, v3, v23
	v_and_b32_e32 v3, 0x7fffffff, v4
	v_cmp_gt_u32_e32 vcc, s11, v3
	s_and_saveexec_b64 s[0:1], vcc
	s_cbranch_execz .LBB22_156
; %bb.151:                              ;   in Loop: Header=BB22_120 Depth=1
	v_cmp_lt_u32_e32 vcc, s12, v3
	s_mov_b64 s[4:5], 0
                                        ; implicit-def: $vgpr9
	s_and_saveexec_b64 s[6:7], vcc
	s_xor_b64 s[6:7], exec, s[6:7]
	s_cbranch_execnz .LBB22_176
; %bb.152:                              ;   in Loop: Header=BB22_120 Depth=1
	s_or_saveexec_b64 s[6:7], s[6:7]
                                        ; implicit-def: $sgpr8_sgpr9
	s_xor_b64 exec, exec, s[6:7]
	s_cbranch_execnz .LBB22_177
.LBB22_153:                             ;   in Loop: Header=BB22_120 Depth=1
	s_or_b64 exec, exec, s[6:7]
	v_pk_mov_b32 v[2:3], s[8:9], s[8:9] op_sel:[0,1]
	s_and_saveexec_b64 s[6:7], s[4:5]
.LBB22_154:                             ;   in Loop: Header=BB22_120 Depth=1
	v_lshrrev_b32_e32 v2, 24, v4
	v_and_or_b32 v2, v2, s15, v9
.LBB22_155:                             ;   in Loop: Header=BB22_120 Depth=1
	s_or_b64 exec, exec, s[6:7]
.LBB22_156:                             ;   in Loop: Header=BB22_120 Depth=1
	s_or_b64 exec, exec, s[0:1]
	v_cvt_f32_f16_e32 v3, v5
	v_mov_b32_e32 v18, 0x80
	v_mov_b32_e32 v19, 0
	v_pk_mov_b32 v[20:21], v[18:19], v[18:19] op_sel:[0,1]
	v_div_scale_f32 v4, s[0:1], v0, v0, v3
	v_rcp_f32_e32 v9, v4
	v_div_scale_f32 v11, vcc, v3, v0, v3
	v_fma_f32 v13, -v4, v9, 1.0
	v_fmac_f32_e32 v9, v13, v9
	v_mul_f32_e32 v13, v11, v9
	v_fma_f32 v15, -v4, v13, v11
	v_fmac_f32_e32 v13, v15, v9
	v_fma_f32 v4, -v4, v13, v11
	v_div_fmas_f32 v4, v4, v9, v13
	v_div_fixup_f32 v3, v4, v0, v3
	v_max_f32_e32 v3, v3, v22
	v_min_f32_e32 v3, v3, v23
	v_and_b32_e32 v4, 0x7fffffff, v3
	v_cmp_gt_u32_e32 vcc, s11, v4
	s_and_saveexec_b64 s[0:1], vcc
	s_cbranch_execz .LBB22_162
; %bb.157:                              ;   in Loop: Header=BB22_120 Depth=1
	v_cmp_lt_u32_e32 vcc, s12, v4
	s_mov_b64 s[4:5], 0
                                        ; implicit-def: $vgpr4
	s_and_saveexec_b64 s[6:7], vcc
	s_xor_b64 s[6:7], exec, s[6:7]
	s_cbranch_execnz .LBB22_178
; %bb.158:                              ;   in Loop: Header=BB22_120 Depth=1
	s_or_saveexec_b64 s[6:7], s[6:7]
                                        ; implicit-def: $sgpr8_sgpr9
	s_xor_b64 exec, exec, s[6:7]
	s_cbranch_execnz .LBB22_179
.LBB22_159:                             ;   in Loop: Header=BB22_120 Depth=1
	s_or_b64 exec, exec, s[6:7]
	v_pk_mov_b32 v[20:21], s[8:9], s[8:9] op_sel:[0,1]
	s_and_saveexec_b64 s[6:7], s[4:5]
.LBB22_160:                             ;   in Loop: Header=BB22_120 Depth=1
	v_lshrrev_b32_e32 v3, 24, v3
	v_and_or_b32 v20, v3, s15, v4
.LBB22_161:                             ;   in Loop: Header=BB22_120 Depth=1
	s_or_b64 exec, exec, s[6:7]
.LBB22_162:                             ;   in Loop: Header=BB22_120 Depth=1
	s_or_b64 exec, exec, s[0:1]
	v_cvt_f32_f16_sdwa v3, v5 dst_sel:DWORD dst_unused:UNUSED_PAD src0_sel:WORD_1
	v_div_scale_f32 v4, s[0:1], v0, v0, v3
	v_rcp_f32_e32 v5, v4
	v_div_scale_f32 v9, vcc, v3, v0, v3
	v_fma_f32 v11, -v4, v5, 1.0
	v_fmac_f32_e32 v5, v11, v5
	v_mul_f32_e32 v11, v9, v5
	v_fma_f32 v13, -v4, v11, v9
	v_fmac_f32_e32 v11, v13, v5
	v_fma_f32 v4, -v4, v11, v9
	v_div_fmas_f32 v4, v4, v5, v11
	v_div_fixup_f32 v3, v4, v0, v3
	v_max_f32_e32 v3, v3, v22
	v_min_f32_e32 v3, v3, v23
	v_and_b32_e32 v4, 0x7fffffff, v3
	v_cmp_gt_u32_e32 vcc, s11, v4
	s_and_saveexec_b64 s[0:1], vcc
	s_cbranch_execz .LBB22_119
; %bb.163:                              ;   in Loop: Header=BB22_120 Depth=1
	v_cmp_lt_u32_e32 vcc, s12, v4
	s_mov_b64 s[4:5], 0
                                        ; implicit-def: $vgpr4
	s_and_saveexec_b64 s[6:7], vcc
	s_xor_b64 s[6:7], exec, s[6:7]
	s_cbranch_execnz .LBB22_180
; %bb.164:                              ;   in Loop: Header=BB22_120 Depth=1
	s_or_saveexec_b64 s[6:7], s[6:7]
                                        ; implicit-def: $sgpr8_sgpr9
	s_xor_b64 exec, exec, s[6:7]
	s_cbranch_execnz .LBB22_181
.LBB22_165:                             ;   in Loop: Header=BB22_120 Depth=1
	s_or_b64 exec, exec, s[6:7]
	v_pk_mov_b32 v[18:19], s[8:9], s[8:9] op_sel:[0,1]
	s_and_saveexec_b64 s[6:7], s[4:5]
	s_cbranch_execz .LBB22_118
	s_branch .LBB22_182
.LBB22_166:                             ;   in Loop: Header=BB22_120 Depth=1
	v_bfe_u32 v9, v12, 20, 1
	v_add3_u32 v9, v12, v9, s13
	s_mov_b64 s[4:5], exec
	v_lshrrev_b32_e32 v9, 20, v9
	s_or_saveexec_b64 s[6:7], s[6:7]
                                        ; implicit-def: $sgpr8_sgpr9
	s_xor_b64 exec, exec, s[6:7]
	s_cbranch_execz .LBB22_123
.LBB22_167:                             ;   in Loop: Header=BB22_120 Depth=1
	v_add_f32_e64 v9, |v12|, s14
	v_and_b32_e32 v9, 0xff, v9
	v_cmp_ne_u32_e32 vcc, 0, v9
	s_andn2_b64 s[4:5], s[4:5], exec
	s_and_b64 s[18:19], vcc, exec
	s_mov_b64 s[8:9], 0
	s_or_b64 s[4:5], s[4:5], s[18:19]
	s_or_b64 exec, exec, s[6:7]
	v_pk_mov_b32 v[10:11], s[8:9], s[8:9] op_sel:[0,1]
	s_and_saveexec_b64 s[6:7], s[4:5]
	s_cbranch_execnz .LBB22_124
	s_branch .LBB22_125
.LBB22_168:                             ;   in Loop: Header=BB22_120 Depth=1
	v_bfe_u32 v8, v2, 20, 1
	v_add3_u32 v8, v2, v8, s13
	s_mov_b64 s[4:5], exec
	v_lshrrev_b32_e32 v11, 20, v8
	s_or_saveexec_b64 s[6:7], s[6:7]
                                        ; implicit-def: $sgpr8_sgpr9
	s_xor_b64 exec, exec, s[6:7]
	s_cbranch_execz .LBB22_129
.LBB22_169:                             ;   in Loop: Header=BB22_120 Depth=1
	v_add_f32_e64 v8, |v2|, s14
	v_and_b32_e32 v11, 0xff, v8
	v_cmp_ne_u32_e32 vcc, 0, v11
	s_andn2_b64 s[4:5], s[4:5], exec
	s_and_b64 s[18:19], vcc, exec
	s_mov_b64 s[8:9], 0
	s_or_b64 s[4:5], s[4:5], s[18:19]
	s_or_b64 exec, exec, s[6:7]
	v_pk_mov_b32 v[8:9], s[8:9], s[8:9] op_sel:[0,1]
	s_and_saveexec_b64 s[6:7], s[4:5]
	s_cbranch_execnz .LBB22_130
	s_branch .LBB22_131
.LBB22_170:                             ;   in Loop: Header=BB22_120 Depth=1
	v_bfe_u32 v9, v2, 20, 1
	v_add3_u32 v9, v2, v9, s13
	s_mov_b64 s[4:5], exec
	v_lshrrev_b32_e32 v9, 20, v9
	s_or_saveexec_b64 s[6:7], s[6:7]
                                        ; implicit-def: $sgpr8_sgpr9
	s_xor_b64 exec, exec, s[6:7]
	s_cbranch_execz .LBB22_135
.LBB22_171:                             ;   in Loop: Header=BB22_120 Depth=1
	v_add_f32_e64 v9, |v2|, s14
	v_and_b32_e32 v9, 0xff, v9
	v_cmp_ne_u32_e32 vcc, 0, v9
	s_andn2_b64 s[4:5], s[4:5], exec
	s_and_b64 s[18:19], vcc, exec
	s_mov_b64 s[8:9], 0
	s_or_b64 s[4:5], s[4:5], s[18:19]
	s_or_b64 exec, exec, s[6:7]
	v_pk_mov_b32 v[14:15], s[8:9], s[8:9] op_sel:[0,1]
	s_and_saveexec_b64 s[6:7], s[4:5]
	s_cbranch_execnz .LBB22_136
	s_branch .LBB22_137
.LBB22_172:                             ;   in Loop: Header=BB22_120 Depth=1
	v_bfe_u32 v3, v2, 20, 1
	v_add3_u32 v3, v2, v3, s13
	s_mov_b64 s[4:5], exec
	v_lshrrev_b32_e32 v3, 20, v3
	s_or_saveexec_b64 s[6:7], s[6:7]
                                        ; implicit-def: $sgpr8_sgpr9
	s_xor_b64 exec, exec, s[6:7]
	s_cbranch_execz .LBB22_141
.LBB22_173:                             ;   in Loop: Header=BB22_120 Depth=1
	v_add_f32_e64 v3, |v2|, s14
	v_and_b32_e32 v3, 0xff, v3
	v_cmp_ne_u32_e32 vcc, 0, v3
	s_andn2_b64 s[4:5], s[4:5], exec
	s_and_b64 s[18:19], vcc, exec
	s_mov_b64 s[8:9], 0
	s_or_b64 s[4:5], s[4:5], s[18:19]
	s_or_b64 exec, exec, s[6:7]
	v_pk_mov_b32 v[12:13], s[8:9], s[8:9] op_sel:[0,1]
	s_and_saveexec_b64 s[6:7], s[4:5]
	s_cbranch_execnz .LBB22_142
	s_branch .LBB22_143
.LBB22_174:                             ;   in Loop: Header=BB22_120 Depth=1
	v_bfe_u32 v3, v9, 20, 1
	v_add3_u32 v3, v9, v3, s13
	s_mov_b64 s[4:5], exec
	v_lshrrev_b32_e32 v3, 20, v3
	s_or_saveexec_b64 s[6:7], s[6:7]
                                        ; implicit-def: $sgpr8_sgpr9
	s_xor_b64 exec, exec, s[6:7]
	s_cbranch_execz .LBB22_147
.LBB22_175:                             ;   in Loop: Header=BB22_120 Depth=1
	v_add_f32_e64 v3, |v9|, s14
	v_and_b32_e32 v3, 0xff, v3
	v_cmp_ne_u32_e32 vcc, 0, v3
	s_andn2_b64 s[4:5], s[4:5], exec
	s_and_b64 s[18:19], vcc, exec
	s_mov_b64 s[8:9], 0
	s_or_b64 s[4:5], s[4:5], s[18:19]
	s_or_b64 exec, exec, s[6:7]
	v_pk_mov_b32 v[16:17], s[8:9], s[8:9] op_sel:[0,1]
	s_and_saveexec_b64 s[6:7], s[4:5]
	s_cbranch_execnz .LBB22_148
	s_branch .LBB22_149
.LBB22_176:                             ;   in Loop: Header=BB22_120 Depth=1
	v_bfe_u32 v2, v4, 20, 1
	v_add3_u32 v2, v4, v2, s13
	s_mov_b64 s[4:5], exec
	v_lshrrev_b32_e32 v9, 20, v2
	s_or_saveexec_b64 s[6:7], s[6:7]
                                        ; implicit-def: $sgpr8_sgpr9
	s_xor_b64 exec, exec, s[6:7]
	s_cbranch_execz .LBB22_153
.LBB22_177:                             ;   in Loop: Header=BB22_120 Depth=1
	v_add_f32_e64 v2, |v4|, s14
	v_and_b32_e32 v9, 0xff, v2
	v_cmp_ne_u32_e32 vcc, 0, v9
	s_andn2_b64 s[4:5], s[4:5], exec
	s_and_b64 s[18:19], vcc, exec
	s_mov_b64 s[8:9], 0
	s_or_b64 s[4:5], s[4:5], s[18:19]
	s_or_b64 exec, exec, s[6:7]
	v_pk_mov_b32 v[2:3], s[8:9], s[8:9] op_sel:[0,1]
	s_and_saveexec_b64 s[6:7], s[4:5]
	s_cbranch_execnz .LBB22_154
	s_branch .LBB22_155
.LBB22_178:                             ;   in Loop: Header=BB22_120 Depth=1
	v_bfe_u32 v4, v3, 20, 1
	v_add3_u32 v4, v3, v4, s13
	s_mov_b64 s[4:5], exec
	v_lshrrev_b32_e32 v4, 20, v4
	s_or_saveexec_b64 s[6:7], s[6:7]
                                        ; implicit-def: $sgpr8_sgpr9
	s_xor_b64 exec, exec, s[6:7]
	s_cbranch_execz .LBB22_159
.LBB22_179:                             ;   in Loop: Header=BB22_120 Depth=1
	v_add_f32_e64 v4, |v3|, s14
	v_and_b32_e32 v4, 0xff, v4
	v_cmp_ne_u32_e32 vcc, 0, v4
	s_andn2_b64 s[4:5], s[4:5], exec
	s_and_b64 s[18:19], vcc, exec
	s_mov_b64 s[8:9], 0
	s_or_b64 s[4:5], s[4:5], s[18:19]
	s_or_b64 exec, exec, s[6:7]
	v_pk_mov_b32 v[20:21], s[8:9], s[8:9] op_sel:[0,1]
	s_and_saveexec_b64 s[6:7], s[4:5]
	s_cbranch_execnz .LBB22_160
	s_branch .LBB22_161
.LBB22_180:                             ;   in Loop: Header=BB22_120 Depth=1
	v_bfe_u32 v4, v3, 20, 1
	v_add3_u32 v4, v3, v4, s13
	s_mov_b64 s[4:5], exec
	v_lshrrev_b32_e32 v4, 20, v4
	s_or_saveexec_b64 s[6:7], s[6:7]
                                        ; implicit-def: $sgpr8_sgpr9
	s_xor_b64 exec, exec, s[6:7]
	s_cbranch_execz .LBB22_165
.LBB22_181:                             ;   in Loop: Header=BB22_120 Depth=1
	v_add_f32_e64 v4, |v3|, s14
	v_and_b32_e32 v4, 0xff, v4
	v_cmp_ne_u32_e32 vcc, 0, v4
	s_andn2_b64 s[4:5], s[4:5], exec
	s_and_b64 s[18:19], vcc, exec
	s_mov_b64 s[8:9], 0
	s_or_b64 s[4:5], s[4:5], s[18:19]
	s_or_b64 exec, exec, s[6:7]
	v_pk_mov_b32 v[18:19], s[8:9], s[8:9] op_sel:[0,1]
	s_and_saveexec_b64 s[6:7], s[4:5]
	s_cbranch_execz .LBB22_118
.LBB22_182:                             ;   in Loop: Header=BB22_120 Depth=1
	v_lshrrev_b32_e32 v3, 24, v3
	v_and_or_b32 v18, v3, s15, v4
	s_branch .LBB22_118
.LBB22_183:
	s_endpgm
.LBB22_184:
	v_bfe_u32 v3, v2, 20, 1
	s_mov_b32 s8, 0x487ffff
	v_add3_u32 v3, v2, v3, s8
	s_mov_b64 s[4:5], exec
	v_lshrrev_b32_e32 v3, 20, v3
	s_or_saveexec_b64 s[6:7], s[6:7]
                                        ; implicit-def: $sgpr8
	s_xor_b64 exec, exec, s[6:7]
	s_cbranch_execz .LBB22_25
.LBB22_185:
	s_mov_b32 s8, 0x46000000
	v_add_f32_e64 v3, |v2|, s8
	v_and_b32_e32 v3, 0xff, v3
	v_cmp_ne_u32_e32 vcc, 0, v3
	s_andn2_b64 s[4:5], s[4:5], exec
	s_and_b64 s[10:11], vcc, exec
	s_mov_b32 s8, 0
	s_or_b64 s[4:5], s[4:5], s[10:11]
	s_or_b64 exec, exec, s[6:7]
	v_mov_b32_e32 v4, s8
	s_and_saveexec_b64 s[6:7], s[4:5]
	s_cbranch_execnz .LBB22_26
	s_branch .LBB22_27
	.section	.rodata,"a",@progbits
	.p2align	6, 0x0
	.amdhsa_kernel _Z33per_token_group_quant_8bit_kernelIN3c104HalfENS0_15Float8_e4m3fnuzELb0ELb1EfEvPKT_PvPT3_iiifffii
		.amdhsa_group_segment_fixed_size 0
		.amdhsa_private_segment_fixed_size 0
		.amdhsa_kernarg_size 56
		.amdhsa_user_sgpr_count 6
		.amdhsa_user_sgpr_private_segment_buffer 1
		.amdhsa_user_sgpr_dispatch_ptr 0
		.amdhsa_user_sgpr_queue_ptr 0
		.amdhsa_user_sgpr_kernarg_segment_ptr 1
		.amdhsa_user_sgpr_dispatch_id 0
		.amdhsa_user_sgpr_flat_scratch_init 0
		.amdhsa_user_sgpr_kernarg_preload_length 0
		.amdhsa_user_sgpr_kernarg_preload_offset 0
		.amdhsa_user_sgpr_private_segment_size 0
		.amdhsa_uses_dynamic_stack 0
		.amdhsa_system_sgpr_private_segment_wavefront_offset 0
		.amdhsa_system_sgpr_workgroup_id_x 1
		.amdhsa_system_sgpr_workgroup_id_y 0
		.amdhsa_system_sgpr_workgroup_id_z 0
		.amdhsa_system_sgpr_workgroup_info 0
		.amdhsa_system_vgpr_workitem_id 0
		.amdhsa_next_free_vgpr 61
		.amdhsa_next_free_sgpr 46
		.amdhsa_accum_offset 64
		.amdhsa_reserve_vcc 1
		.amdhsa_reserve_flat_scratch 0
		.amdhsa_float_round_mode_32 0
		.amdhsa_float_round_mode_16_64 0
		.amdhsa_float_denorm_mode_32 3
		.amdhsa_float_denorm_mode_16_64 3
		.amdhsa_dx10_clamp 1
		.amdhsa_ieee_mode 1
		.amdhsa_fp16_overflow 0
		.amdhsa_tg_split 0
		.amdhsa_exception_fp_ieee_invalid_op 0
		.amdhsa_exception_fp_denorm_src 0
		.amdhsa_exception_fp_ieee_div_zero 0
		.amdhsa_exception_fp_ieee_overflow 0
		.amdhsa_exception_fp_ieee_underflow 0
		.amdhsa_exception_fp_ieee_inexact 0
		.amdhsa_exception_int_div_zero 0
	.end_amdhsa_kernel
	.section	.text._Z33per_token_group_quant_8bit_kernelIN3c104HalfENS0_15Float8_e4m3fnuzELb0ELb1EfEvPKT_PvPT3_iiifffii,"axG",@progbits,_Z33per_token_group_quant_8bit_kernelIN3c104HalfENS0_15Float8_e4m3fnuzELb0ELb1EfEvPKT_PvPT3_iiifffii,comdat
.Lfunc_end22:
	.size	_Z33per_token_group_quant_8bit_kernelIN3c104HalfENS0_15Float8_e4m3fnuzELb0ELb1EfEvPKT_PvPT3_iiifffii, .Lfunc_end22-_Z33per_token_group_quant_8bit_kernelIN3c104HalfENS0_15Float8_e4m3fnuzELb0ELb1EfEvPKT_PvPT3_iiifffii
                                        ; -- End function
	.section	.AMDGPU.csdata,"",@progbits
; Kernel info:
; codeLenInByte = 8696
; NumSgprs: 50
; NumVgprs: 61
; NumAgprs: 0
; TotalNumVgprs: 61
; ScratchSize: 0
; MemoryBound: 0
; FloatMode: 240
; IeeeMode: 1
; LDSByteSize: 0 bytes/workgroup (compile time only)
; SGPRBlocks: 6
; VGPRBlocks: 7
; NumSGPRsForWavesPerEU: 50
; NumVGPRsForWavesPerEU: 61
; AccumOffset: 64
; Occupancy: 8
; WaveLimiterHint : 0
; COMPUTE_PGM_RSRC2:SCRATCH_EN: 0
; COMPUTE_PGM_RSRC2:USER_SGPR: 6
; COMPUTE_PGM_RSRC2:TRAP_HANDLER: 0
; COMPUTE_PGM_RSRC2:TGID_X_EN: 1
; COMPUTE_PGM_RSRC2:TGID_Y_EN: 0
; COMPUTE_PGM_RSRC2:TGID_Z_EN: 0
; COMPUTE_PGM_RSRC2:TIDIG_COMP_CNT: 0
; COMPUTE_PGM_RSRC3_GFX90A:ACCUM_OFFSET: 15
; COMPUTE_PGM_RSRC3_GFX90A:TG_SPLIT: 0
	.section	.text._Z33per_token_group_quant_8bit_kernelIN3c104HalfENS0_15Float8_e4m3fnuzELb0ELb0EfEvPKT_PvPT3_iiifffii,"axG",@progbits,_Z33per_token_group_quant_8bit_kernelIN3c104HalfENS0_15Float8_e4m3fnuzELb0ELb0EfEvPKT_PvPT3_iiifffii,comdat
	.protected	_Z33per_token_group_quant_8bit_kernelIN3c104HalfENS0_15Float8_e4m3fnuzELb0ELb0EfEvPKT_PvPT3_iiifffii ; -- Begin function _Z33per_token_group_quant_8bit_kernelIN3c104HalfENS0_15Float8_e4m3fnuzELb0ELb0EfEvPKT_PvPT3_iiifffii
	.globl	_Z33per_token_group_quant_8bit_kernelIN3c104HalfENS0_15Float8_e4m3fnuzELb0ELb0EfEvPKT_PvPT3_iiifffii
	.p2align	8
	.type	_Z33per_token_group_quant_8bit_kernelIN3c104HalfENS0_15Float8_e4m3fnuzELb0ELb0EfEvPKT_PvPT3_iiifffii,@function
_Z33per_token_group_quant_8bit_kernelIN3c104HalfENS0_15Float8_e4m3fnuzELb0ELb0EfEvPKT_PvPT3_iiifffii: ; @_Z33per_token_group_quant_8bit_kernelIN3c104HalfENS0_15Float8_e4m3fnuzELb0ELb0EfEvPKT_PvPT3_iiifffii
; %bb.0:
	s_load_dword s31, s[4:5], 0x18
	s_load_dwordx4 s[16:19], s[4:5], 0x20
	s_load_dwordx2 s[2:3], s[4:5], 0x0
	v_lshrrev_b32_e32 v4, 4, v0
	v_and_b32_e32 v24, 15, v0
	s_waitcnt lgkmcnt(0)
	s_ashr_i32 s7, s31, 31
	s_mul_i32 s6, s6, s16
	v_add_co_u32_e32 v2, vcc, s6, v4
	v_addc_co_u32_e64 v3, s[0:1], 0, 0, vcc
	v_mul_lo_u32 v0, v3, s31
	v_mul_lo_u32 v1, v2, s7
	v_mad_u64_u32 v[12:13], s[0:1], v2, s31, 0
	v_add3_u32 v13, v13, v1, v0
	v_lshlrev_b64 v[0:1], 1, v[12:13]
	s_and_b32 s6, s31, 7
	v_mov_b32_e32 v6, s3
	v_add_co_u32_e32 v5, vcc, s2, v0
	s_cmp_eq_u32 s6, 0
	v_addc_co_u32_e32 v6, vcc, v6, v1, vcc
	v_mov_b32_e32 v11, 0
	v_and_b32_e32 v10, 15, v5
	s_cselect_b64 s[0:1], -1, 0
	s_cmp_lg_u32 s6, 0
	v_mul_lo_u32 v25, v4, s31
	v_cmp_ne_u64_e32 vcc, 0, v[10:11]
	s_cselect_b64 s[6:7], -1, 0
	v_lshl_add_u32 v8, v25, 1, 0
	s_or_b64 s[6:7], s[6:7], vcc
                                        ; implicit-def: $vgpr9
	s_and_saveexec_b64 s[8:9], s[6:7]
	s_xor_b64 s[6:7], exec, s[8:9]
	s_cbranch_execz .LBB23_12
; %bb.1:
	v_sub_u32_e32 v4, 0, v5
	v_bfe_u32 v4, v4, 1, 3
	v_min_i32_e32 v4, s31, v4
	v_cmp_gt_i32_e32 vcc, v4, v24
	v_mov_b32_e32 v9, s17
	s_and_saveexec_b64 s[8:9], vcc
	s_cbranch_execz .LBB23_3
; %bb.2:
	v_lshlrev_b32_e32 v7, 1, v24
	v_add_co_u32_e32 v10, vcc, v5, v7
	v_addc_co_u32_e32 v11, vcc, 0, v6, vcc
	global_load_ushort v5, v[10:11], off
	v_max_f32_e64 v9, s17, s17
	v_add_u32_e32 v7, v8, v7
	s_waitcnt vmcnt(0)
	v_cvt_f32_f16_e64 v6, |v5|
	ds_write_b16 v7, v5
	v_max_f32_e32 v9, v9, v6
.LBB23_3:
	s_or_b64 exec, exec, s[8:9]
	v_sub_u32_e32 v10, s31, v4
	v_ashrrev_i32_e32 v6, 31, v10
	v_lshrrev_b32_e32 v6, 29, v6
	v_add_u32_e32 v6, v10, v6
	v_ashrrev_i32_e32 v5, 31, v4
	v_ashrrev_i32_e32 v11, 3, v6
	v_cmp_gt_i32_e32 vcc, v11, v24
	v_lshlrev_b32_e32 v14, 1, v4
	v_lshlrev_b64 v[4:5], 1, v[4:5]
	s_and_saveexec_b64 s[8:9], vcc
	s_cbranch_execz .LBB23_7
; %bb.4:
	v_lshlrev_b32_e32 v6, 4, v24
	v_lshl_add_u32 v7, v25, 1, v6
	v_add_co_u32_e32 v6, vcc, v0, v6
	v_add3_u32 v15, v7, v14, 0
	v_addc_co_u32_e32 v7, vcc, 0, v1, vcc
	v_add_co_u32_e32 v6, vcc, v6, v4
	v_addc_co_u32_e32 v7, vcc, v7, v5, vcc
	v_mov_b32_e32 v16, s3
	v_add_co_u32_e32 v6, vcc, s2, v6
	v_addc_co_u32_e32 v7, vcc, v7, v16, vcc
	v_add_co_u32_e32 v6, vcc, 8, v6
	v_addc_co_u32_e32 v7, vcc, 0, v7, vcc
	s_mov_b64 s[10:11], 0
	v_mov_b32_e32 v16, v24
.LBB23_5:                               ; =>This Inner Loop Header: Depth=1
	global_load_dwordx4 v[18:21], v[6:7], off offset:-8
	v_add_co_u32_e32 v6, vcc, 0x100, v6
	v_add_u32_e32 v16, 16, v16
	v_addc_co_u32_e32 v7, vcc, 0, v7, vcc
	v_cmp_ge_i32_e32 vcc, v16, v11
	s_or_b64 s[10:11], vcc, s[10:11]
	s_waitcnt vmcnt(0)
	v_cvt_f32_f16_e64 v17, |v18|
	v_cvt_f32_f16_sdwa v22, |v18| dst_sel:DWORD dst_unused:UNUSED_PAD src0_sel:WORD_1
	v_cvt_f32_f16_e64 v23, |v19|
	v_cvt_f32_f16_sdwa v26, |v19| dst_sel:DWORD dst_unused:UNUSED_PAD src0_sel:WORD_1
	;; [unrolled: 2-line block ×4, first 2 shown]
	v_max3_f32 v9, v9, v17, v22
	v_max3_f32 v9, v9, v23, v26
	v_max3_f32 v9, v9, v27, v28
	ds_write_b128 v15, v[18:21]
	v_add_u32_e32 v15, 0x100, v15
	v_max3_f32 v9, v9, v29, v30
	s_andn2_b64 exec, exec, s[10:11]
	s_cbranch_execnz .LBB23_5
; %bb.6:
	s_or_b64 exec, exec, s[10:11]
.LBB23_7:
	s_or_b64 exec, exec, s[8:9]
	v_lshl_add_u32 v6, v11, 3, v24
	v_cmp_lt_i32_e32 vcc, v6, v10
	s_and_saveexec_b64 s[8:9], vcc
	s_cbranch_execz .LBB23_11
; %bb.8:
	v_lshlrev_b32_e32 v7, 1, v25
	v_lshlrev_b32_e32 v11, 4, v11
	v_add3_u32 v7, v7, v11, v14
	v_lshlrev_b32_e32 v11, 1, v24
	v_add3_u32 v11, v7, v11, 0
	v_add_co_u32_e32 v4, vcc, v0, v4
	v_ashrrev_i32_e32 v7, 31, v6
	v_addc_co_u32_e32 v5, vcc, v1, v5, vcc
	v_lshlrev_b64 v[0:1], 1, v[6:7]
	v_add_co_u32_e32 v0, vcc, v4, v0
	v_addc_co_u32_e32 v1, vcc, v5, v1, vcc
	v_mov_b32_e32 v4, s3
	v_add_co_u32_e32 v0, vcc, s2, v0
	v_addc_co_u32_e32 v1, vcc, v4, v1, vcc
	s_mov_b64 s[10:11], 0
.LBB23_9:                               ; =>This Inner Loop Header: Depth=1
	global_load_ushort v4, v[0:1], off
	v_add_co_u32_e32 v0, vcc, 32, v0
	v_add_u32_e32 v6, 16, v6
	v_addc_co_u32_e32 v1, vcc, 0, v1, vcc
	v_max_f32_e32 v5, v9, v9
	v_cmp_ge_i32_e32 vcc, v6, v10
	s_or_b64 s[10:11], vcc, s[10:11]
	s_waitcnt vmcnt(0)
	v_cvt_f32_f16_e64 v7, |v4|
	ds_write_b16 v11, v4
	v_add_u32_e32 v11, 32, v11
	v_max_f32_e32 v9, v5, v7
	s_andn2_b64 exec, exec, s[10:11]
	s_cbranch_execnz .LBB23_9
; %bb.10:
	s_or_b64 exec, exec, s[10:11]
.LBB23_11:
	s_or_b64 exec, exec, s[8:9]
                                        ; implicit-def: $vgpr0_vgpr1
.LBB23_12:
	s_andn2_saveexec_b64 s[6:7], s[6:7]
	s_cbranch_execz .LBB23_18
; %bb.13:
	s_ashr_i32 s10, s31, 3
	v_cmp_gt_i32_e32 vcc, s10, v24
	v_mov_b32_e32 v9, s17
	s_and_saveexec_b64 s[8:9], vcc
	s_cbranch_execz .LBB23_17
; %bb.14:
	v_lshlrev_b32_e32 v5, 4, v24
	v_add_co_u32_e32 v0, vcc, v0, v5
	v_lshlrev_b32_e32 v4, 1, v25
	v_addc_co_u32_e32 v1, vcc, 0, v1, vcc
	v_add3_u32 v4, v4, v5, 0
	v_mov_b32_e32 v5, s3
	v_add_co_u32_e32 v0, vcc, s2, v0
	v_addc_co_u32_e32 v1, vcc, v1, v5, vcc
	v_add_co_u32_e32 v0, vcc, 8, v0
	v_addc_co_u32_e32 v1, vcc, 0, v1, vcc
	s_mov_b64 s[2:3], 0
	v_mov_b32_e32 v9, s17
	v_mov_b32_e32 v5, v24
.LBB23_15:                              ; =>This Inner Loop Header: Depth=1
	global_load_dwordx4 v[14:17], v[0:1], off offset:-8
	v_add_co_u32_e32 v0, vcc, 0x100, v0
	v_add_u32_e32 v5, 16, v5
	v_addc_co_u32_e32 v1, vcc, 0, v1, vcc
	v_cmp_le_i32_e32 vcc, s10, v5
	s_or_b64 s[2:3], vcc, s[2:3]
	s_waitcnt vmcnt(0)
	v_cvt_f32_f16_e64 v6, |v14|
	v_cvt_f32_f16_sdwa v7, |v14| dst_sel:DWORD dst_unused:UNUSED_PAD src0_sel:WORD_1
	v_cvt_f32_f16_e64 v10, |v15|
	v_cvt_f32_f16_sdwa v11, |v15| dst_sel:DWORD dst_unused:UNUSED_PAD src0_sel:WORD_1
	;; [unrolled: 2-line block ×4, first 2 shown]
	v_max3_f32 v6, v9, v6, v7
	v_max3_f32 v6, v6, v10, v11
	;; [unrolled: 1-line block ×3, first 2 shown]
	ds_write_b128 v4, v[14:17]
	v_add_u32_e32 v4, 0x100, v4
	v_max3_f32 v9, v6, v20, v21
	s_andn2_b64 exec, exec, s[2:3]
	s_cbranch_execnz .LBB23_15
; %bb.16:
	s_or_b64 exec, exec, s[2:3]
.LBB23_17:
	s_or_b64 exec, exec, s[8:9]
.LBB23_18:
	s_or_b64 exec, exec, s[6:7]
	v_mbcnt_lo_u32_b32 v0, -1, 0
	v_mbcnt_hi_u32_b32 v0, -1, v0
	v_and_b32_e32 v4, 0x70, v0
	v_xor_b32_e32 v1, 8, v0
	v_add_u32_e32 v4, 16, v4
	v_cmp_lt_i32_e32 vcc, v1, v4
	v_cndmask_b32_e32 v1, v0, v1, vcc
	v_lshlrev_b32_e32 v1, 2, v1
	ds_bpermute_b32 v1, v1, v9
	v_xor_b32_e32 v6, 4, v0
	v_max_f32_e32 v5, v9, v9
	v_cmp_lt_i32_e32 vcc, v6, v4
	s_load_dwordx2 s[20:21], s[4:5], 0x8
	s_waitcnt lgkmcnt(0)
	v_max_f32_e32 v1, v1, v1
	v_max_f32_e32 v1, v5, v1
	v_cndmask_b32_e32 v5, v0, v6, vcc
	v_lshlrev_b32_e32 v5, 2, v5
	ds_bpermute_b32 v5, v5, v1
	v_xor_b32_e32 v6, 2, v0
	v_cmp_lt_i32_e32 vcc, v6, v4
	s_waitcnt lgkmcnt(0)
	v_max_f32_e32 v5, v5, v5
	v_max_f32_e32 v1, v1, v5
	v_cndmask_b32_e32 v5, v0, v6, vcc
	v_lshlrev_b32_e32 v5, 2, v5
	ds_bpermute_b32 v5, v5, v1
	v_xor_b32_e32 v6, 1, v0
	v_cmp_lt_i32_e32 vcc, v6, v4
	v_cndmask_b32_e32 v0, v0, v6, vcc
	v_lshlrev_b32_e32 v0, 2, v0
	s_waitcnt lgkmcnt(0)
	v_max_f32_e32 v5, v5, v5
	v_max_f32_e32 v1, v1, v5
	ds_bpermute_b32 v0, v0, v1
	s_waitcnt lgkmcnt(0)
	v_max_f32_e32 v0, v0, v0
	v_max_f32_e32 v0, v1, v0
	v_div_scale_f32 v1, s[2:3], s19, s19, v0
	v_rcp_f32_e32 v4, v1
	v_div_scale_f32 v5, vcc, v0, s19, v0
	v_fma_f32 v6, -v1, v4, 1.0
	v_fmac_f32_e32 v4, v6, v4
	v_mul_f32_e32 v6, v5, v4
	v_fma_f32 v7, -v1, v6, v5
	v_fmac_f32_e32 v6, v7, v4
	v_fma_f32 v1, -v1, v6, v5
	v_div_fmas_f32 v1, v1, v4, v6
	v_div_fixup_f32 v0, v1, s19, v0
	v_cmp_eq_u32_e32 vcc, 0, v24
	s_and_saveexec_b64 s[2:3], vcc
	s_cbranch_execz .LBB23_20
; %bb.19:
	s_load_dwordx2 s[4:5], s[4:5], 0x10
	v_lshlrev_b64 v[2:3], 2, v[2:3]
	s_waitcnt lgkmcnt(0)
	v_mov_b32_e32 v1, s5
	v_add_co_u32_e32 v2, vcc, s4, v2
	v_addc_co_u32_e32 v3, vcc, v1, v3, vcc
	global_store_dword v[2:3], v0, off
.LBB23_20:
	s_or_b64 exec, exec, s[2:3]
	v_and_b32_e32 v2, 15, v8
	v_mov_b32_e32 v3, 0
	v_cmp_ne_u64_e32 vcc, 0, v[2:3]
	s_xor_b64 s[0:1], s[0:1], -1
	s_or_b64 s[0:1], s[0:1], vcc
	s_barrier
	s_and_saveexec_b64 s[2:3], s[0:1]
	s_xor_b64 s[22:23], exec, s[2:3]
	s_cbranch_execz .LBB23_115
; %bb.21:
	v_mov_b32_e32 v2, s21
	v_add_co_u32_e32 v1, vcc, s20, v12
	v_addc_co_u32_e32 v30, vcc, v2, v13, vcc
	v_sub_u32_e32 v2, 0, v8
	v_bfe_u32 v2, v2, 1, 3
	v_min_i32_e32 v27, s31, v2
	v_cmp_gt_i32_e32 vcc, v27, v24
	s_and_saveexec_b64 s[0:1], vcc
	s_cbranch_execz .LBB23_29
; %bb.22:
	v_lshl_add_u32 v2, v24, 1, v8
	ds_read_u16 v2, v2
	v_max_f32_e64 v3, s18, s18
	v_max_f32_e64 v4, s19, s19
	s_waitcnt lgkmcnt(0)
	v_cvt_f32_f16_e32 v2, v2
	v_div_scale_f32 v5, s[2:3], v0, v0, v2
	v_rcp_f32_e32 v6, v5
	v_div_scale_f32 v7, vcc, v2, v0, v2
	s_mov_b32 s2, 0x43800000
	v_fma_f32 v8, -v5, v6, 1.0
	v_fmac_f32_e32 v6, v8, v6
	v_mul_f32_e32 v8, v7, v6
	v_fma_f32 v9, -v5, v8, v7
	v_fmac_f32_e32 v8, v9, v6
	v_fma_f32 v5, -v5, v8, v7
	v_div_fmas_f32 v5, v5, v6, v8
	v_div_fixup_f32 v2, v5, v0, v2
	v_max_f32_e32 v2, v2, v3
	v_min_f32_e32 v2, v2, v4
	v_and_b32_e32 v3, 0x7fffffff, v2
	v_cmp_gt_u32_e32 vcc, s2, v3
	v_mov_b32_e32 v4, 0x80
	s_and_saveexec_b64 s[2:3], vcc
	s_cbranch_execz .LBB23_28
; %bb.23:
	s_mov_b32 s4, 0x3bffffff
	v_cmp_lt_u32_e32 vcc, s4, v3
	s_mov_b64 s[4:5], 0
                                        ; implicit-def: $vgpr3
	s_and_saveexec_b64 s[6:7], vcc
	s_xor_b64 s[6:7], exec, s[6:7]
	s_cbranch_execnz .LBB23_184
; %bb.24:
	s_or_saveexec_b64 s[6:7], s[6:7]
                                        ; implicit-def: $sgpr8
	s_xor_b64 exec, exec, s[6:7]
	s_cbranch_execnz .LBB23_185
.LBB23_25:
	s_or_b64 exec, exec, s[6:7]
	v_mov_b32_e32 v4, s8
	s_and_saveexec_b64 s[6:7], s[4:5]
.LBB23_26:
	v_lshrrev_b32_e32 v2, 24, v2
	s_movk_i32 s4, 0x80
	v_and_or_b32 v4, v2, s4, v3
.LBB23_27:
	s_or_b64 exec, exec, s[6:7]
.LBB23_28:
	s_or_b64 exec, exec, s[2:3]
	v_add_co_u32_e32 v2, vcc, v1, v24
	v_addc_co_u32_e32 v3, vcc, 0, v30, vcc
	global_store_byte v[2:3], v4, off
.LBB23_29:
	s_or_b64 exec, exec, s[0:1]
	v_sub_u32_e32 v26, s31, v27
	v_ashrrev_i32_e32 v2, 31, v26
	v_lshrrev_b32_e32 v2, 29, v2
	v_add_u32_e32 v2, v26, v2
	v_ashrrev_i32_e32 v31, 3, v2
	v_ashrrev_i32_e32 v28, 31, v27
	v_cmp_gt_i32_e32 vcc, v31, v24
	v_lshlrev_b32_e32 v29, 1, v27
	s_and_saveexec_b64 s[2:3], vcc
	s_cbranch_execz .LBB23_96
; %bb.30:
	v_lshlrev_b32_e32 v2, 4, v24
	v_lshl_add_u32 v2, v25, 1, v2
	v_lshlrev_b32_e32 v3, 1, v27
	v_add3_u32 v32, v2, v3, 0
	v_add_co_u32_e32 v2, vcc, v27, v12
	v_addc_co_u32_e32 v3, vcc, v28, v13, vcc
	v_lshlrev_b32_e32 v4, 3, v24
	v_add_co_u32_e32 v2, vcc, v2, v4
	v_addc_co_u32_e32 v3, vcc, 0, v3, vcc
	v_mov_b32_e32 v4, s21
	v_add_co_u32_e32 v6, vcc, s20, v2
	v_addc_co_u32_e32 v7, vcc, v4, v3, vcc
	s_mov_b64 s[4:5], 0
	v_max_f32_e64 v33, s18, s18
	v_max_f32_e64 v34, s19, s19
	s_mov_b32 s12, 0x43800000
	s_mov_b32 s13, 0x3bffffff
	;; [unrolled: 1-line block ×4, first 2 shown]
	s_movk_i32 s16, 0x80
	s_mov_b32 s17, 0xff00
	s_mov_b32 s24, 0x4020c0c
	v_mov_b32_e32 v35, v24
	s_branch .LBB23_33
.LBB23_31:                              ;   in Loop: Header=BB23_33 Depth=1
	s_or_b64 exec, exec, s[8:9]
.LBB23_32:                              ;   in Loop: Header=BB23_33 Depth=1
	s_or_b64 exec, exec, s[0:1]
	v_lshlrev_b32_e32 v4, 16, v22
	v_lshlrev_b32_e32 v3, 24, v20
	v_and_b32_e32 v4, 0xff0000, v4
	v_lshlrev_b32_e32 v2, 8, v2
	v_or_b32_e32 v3, v3, v4
	v_and_b32_e32 v2, 0xff00, v2
	v_and_b32_e32 v4, 0xff, v18
	v_or3_b32 v3, v3, v2, v4
	v_lshlrev_b32_e32 v2, 16, v16
	v_lshlrev_b32_e32 v4, 8, v8
	v_perm_b32 v2, v14, v2, s24
	v_and_or_b32 v2, v4, s17, v2
	v_or_b32_sdwa v2, v2, v10 dst_sel:DWORD dst_unused:UNUSED_PAD src0_sel:DWORD src1_sel:BYTE_0
	v_add_u32_e32 v35, 16, v35
	global_store_dwordx2 v[6:7], v[2:3], off
	v_add_co_u32_e32 v6, vcc, 0x80, v6
	v_cmp_ge_i32_e64 s[0:1], v35, v31
	v_add_u32_e32 v32, 0x100, v32
	s_or_b64 s[4:5], s[0:1], s[4:5]
	v_addc_co_u32_e32 v7, vcc, 0, v7, vcc
	s_andn2_b64 exec, exec, s[4:5]
	s_cbranch_execz .LBB23_96
.LBB23_33:                              ; =>This Inner Loop Header: Depth=1
	ds_read_b128 v[2:5], v32
	v_mov_b32_e32 v8, 0x80
	v_mov_b32_e32 v9, 0
	s_waitcnt lgkmcnt(0)
	v_cvt_f32_f16_e32 v10, v2
	v_div_scale_f32 v11, s[0:1], v0, v0, v10
	v_rcp_f32_e32 v14, v11
	v_div_scale_f32 v15, vcc, v10, v0, v10
	v_fma_f32 v16, -v11, v14, 1.0
	v_fmac_f32_e32 v14, v16, v14
	v_mul_f32_e32 v16, v15, v14
	v_fma_f32 v17, -v11, v16, v15
	v_fmac_f32_e32 v16, v17, v14
	v_fma_f32 v11, -v11, v16, v15
	v_div_fmas_f32 v11, v11, v14, v16
	v_div_fixup_f32 v10, v11, v0, v10
	v_max_f32_e32 v10, v10, v33
	v_min_f32_e32 v14, v10, v34
	v_and_b32_e32 v15, 0x7fffffff, v14
	v_cmp_gt_u32_e32 vcc, s12, v15
	v_pk_mov_b32 v[10:11], v[8:9], v[8:9] op_sel:[0,1]
	s_and_saveexec_b64 s[0:1], vcc
	s_cbranch_execz .LBB23_39
; %bb.34:                               ;   in Loop: Header=BB23_33 Depth=1
	v_cmp_lt_u32_e32 vcc, s13, v15
	s_mov_b64 s[6:7], 0
                                        ; implicit-def: $vgpr9
	s_and_saveexec_b64 s[8:9], vcc
	s_xor_b64 s[8:9], exec, s[8:9]
	s_cbranch_execnz .LBB23_79
; %bb.35:                               ;   in Loop: Header=BB23_33 Depth=1
	s_or_saveexec_b64 s[8:9], s[8:9]
                                        ; implicit-def: $sgpr10_sgpr11
	s_xor_b64 exec, exec, s[8:9]
	s_cbranch_execnz .LBB23_80
.LBB23_36:                              ;   in Loop: Header=BB23_33 Depth=1
	s_or_b64 exec, exec, s[8:9]
	v_pk_mov_b32 v[10:11], s[10:11], s[10:11] op_sel:[0,1]
	s_and_saveexec_b64 s[8:9], s[6:7]
.LBB23_37:                              ;   in Loop: Header=BB23_33 Depth=1
	v_lshrrev_b32_e32 v10, 24, v14
	v_and_or_b32 v10, v10, s16, v9
.LBB23_38:                              ;   in Loop: Header=BB23_33 Depth=1
	s_or_b64 exec, exec, s[8:9]
.LBB23_39:                              ;   in Loop: Header=BB23_33 Depth=1
	s_or_b64 exec, exec, s[0:1]
	v_cvt_f32_f16_sdwa v2, v2 dst_sel:DWORD dst_unused:UNUSED_PAD src0_sel:WORD_1
	v_div_scale_f32 v9, s[0:1], v0, v0, v2
	v_rcp_f32_e32 v11, v9
	v_div_scale_f32 v14, vcc, v2, v0, v2
	v_fma_f32 v15, -v9, v11, 1.0
	v_fmac_f32_e32 v11, v15, v11
	v_mul_f32_e32 v15, v14, v11
	v_fma_f32 v16, -v9, v15, v14
	v_fmac_f32_e32 v15, v16, v11
	v_fma_f32 v9, -v9, v15, v14
	v_div_fmas_f32 v9, v9, v11, v15
	v_div_fixup_f32 v2, v9, v0, v2
	v_max_f32_e32 v2, v2, v33
	v_min_f32_e32 v2, v2, v34
	v_and_b32_e32 v9, 0x7fffffff, v2
	v_cmp_gt_u32_e32 vcc, s12, v9
	s_and_saveexec_b64 s[0:1], vcc
	s_cbranch_execz .LBB23_45
; %bb.40:                               ;   in Loop: Header=BB23_33 Depth=1
	v_cmp_lt_u32_e32 vcc, s13, v9
	s_mov_b64 s[6:7], 0
                                        ; implicit-def: $vgpr11
	s_and_saveexec_b64 s[8:9], vcc
	s_xor_b64 s[8:9], exec, s[8:9]
	s_cbranch_execnz .LBB23_81
; %bb.41:                               ;   in Loop: Header=BB23_33 Depth=1
	s_or_saveexec_b64 s[8:9], s[8:9]
                                        ; implicit-def: $sgpr10_sgpr11
	s_xor_b64 exec, exec, s[8:9]
	s_cbranch_execnz .LBB23_82
.LBB23_42:                              ;   in Loop: Header=BB23_33 Depth=1
	s_or_b64 exec, exec, s[8:9]
	v_pk_mov_b32 v[8:9], s[10:11], s[10:11] op_sel:[0,1]
	s_and_saveexec_b64 s[8:9], s[6:7]
.LBB23_43:                              ;   in Loop: Header=BB23_33 Depth=1
	v_lshrrev_b32_e32 v2, 24, v2
	v_and_or_b32 v8, v2, s16, v11
.LBB23_44:                              ;   in Loop: Header=BB23_33 Depth=1
	s_or_b64 exec, exec, s[8:9]
.LBB23_45:                              ;   in Loop: Header=BB23_33 Depth=1
	s_or_b64 exec, exec, s[0:1]
	v_cvt_f32_f16_e32 v2, v3
	v_mov_b32_e32 v14, 0x80
	v_mov_b32_e32 v15, 0
	v_div_scale_f32 v9, s[0:1], v0, v0, v2
	v_rcp_f32_e32 v11, v9
	v_div_scale_f32 v16, vcc, v2, v0, v2
	v_fma_f32 v17, -v9, v11, 1.0
	v_fmac_f32_e32 v11, v17, v11
	v_mul_f32_e32 v17, v16, v11
	v_fma_f32 v18, -v9, v17, v16
	v_fmac_f32_e32 v17, v18, v11
	v_fma_f32 v9, -v9, v17, v16
	v_div_fmas_f32 v9, v9, v11, v17
	v_div_fixup_f32 v2, v9, v0, v2
	v_max_f32_e32 v2, v2, v33
	v_min_f32_e32 v2, v2, v34
	v_and_b32_e32 v9, 0x7fffffff, v2
	v_cmp_gt_u32_e32 vcc, s12, v9
	v_pk_mov_b32 v[16:17], v[14:15], v[14:15] op_sel:[0,1]
	s_and_saveexec_b64 s[0:1], vcc
	s_cbranch_execz .LBB23_51
; %bb.46:                               ;   in Loop: Header=BB23_33 Depth=1
	v_cmp_lt_u32_e32 vcc, s13, v9
	s_mov_b64 s[6:7], 0
                                        ; implicit-def: $vgpr9
	s_and_saveexec_b64 s[8:9], vcc
	s_xor_b64 s[8:9], exec, s[8:9]
	s_cbranch_execnz .LBB23_83
; %bb.47:                               ;   in Loop: Header=BB23_33 Depth=1
	s_or_saveexec_b64 s[8:9], s[8:9]
                                        ; implicit-def: $sgpr10_sgpr11
	s_xor_b64 exec, exec, s[8:9]
	s_cbranch_execnz .LBB23_84
.LBB23_48:                              ;   in Loop: Header=BB23_33 Depth=1
	s_or_b64 exec, exec, s[8:9]
	v_pk_mov_b32 v[16:17], s[10:11], s[10:11] op_sel:[0,1]
	s_and_saveexec_b64 s[8:9], s[6:7]
.LBB23_49:                              ;   in Loop: Header=BB23_33 Depth=1
	v_lshrrev_b32_e32 v2, 24, v2
	v_and_or_b32 v16, v2, s16, v9
.LBB23_50:                              ;   in Loop: Header=BB23_33 Depth=1
	s_or_b64 exec, exec, s[8:9]
.LBB23_51:                              ;   in Loop: Header=BB23_33 Depth=1
	s_or_b64 exec, exec, s[0:1]
	v_cvt_f32_f16_sdwa v2, v3 dst_sel:DWORD dst_unused:UNUSED_PAD src0_sel:WORD_1
	v_div_scale_f32 v3, s[0:1], v0, v0, v2
	v_rcp_f32_e32 v9, v3
	v_div_scale_f32 v11, vcc, v2, v0, v2
	v_fma_f32 v15, -v3, v9, 1.0
	v_fmac_f32_e32 v9, v15, v9
	v_mul_f32_e32 v15, v11, v9
	v_fma_f32 v17, -v3, v15, v11
	v_fmac_f32_e32 v15, v17, v9
	v_fma_f32 v3, -v3, v15, v11
	v_div_fmas_f32 v3, v3, v9, v15
	v_div_fixup_f32 v2, v3, v0, v2
	v_max_f32_e32 v2, v2, v33
	v_min_f32_e32 v2, v2, v34
	v_and_b32_e32 v3, 0x7fffffff, v2
	v_cmp_gt_u32_e32 vcc, s12, v3
	s_and_saveexec_b64 s[0:1], vcc
	s_cbranch_execz .LBB23_57
; %bb.52:                               ;   in Loop: Header=BB23_33 Depth=1
	v_cmp_lt_u32_e32 vcc, s13, v3
	s_mov_b64 s[6:7], 0
                                        ; implicit-def: $vgpr3
	s_and_saveexec_b64 s[8:9], vcc
	s_xor_b64 s[8:9], exec, s[8:9]
	s_cbranch_execnz .LBB23_85
; %bb.53:                               ;   in Loop: Header=BB23_33 Depth=1
	s_or_saveexec_b64 s[8:9], s[8:9]
                                        ; implicit-def: $sgpr10_sgpr11
	s_xor_b64 exec, exec, s[8:9]
	s_cbranch_execnz .LBB23_86
.LBB23_54:                              ;   in Loop: Header=BB23_33 Depth=1
	s_or_b64 exec, exec, s[8:9]
	v_pk_mov_b32 v[14:15], s[10:11], s[10:11] op_sel:[0,1]
	s_and_saveexec_b64 s[8:9], s[6:7]
.LBB23_55:                              ;   in Loop: Header=BB23_33 Depth=1
	v_lshrrev_b32_e32 v2, 24, v2
	v_and_or_b32 v14, v2, s16, v3
.LBB23_56:                              ;   in Loop: Header=BB23_33 Depth=1
	s_or_b64 exec, exec, s[8:9]
.LBB23_57:                              ;   in Loop: Header=BB23_33 Depth=1
	s_or_b64 exec, exec, s[0:1]
	v_cvt_f32_f16_e32 v9, v4
	v_mov_b32_e32 v2, 0x80
	v_mov_b32_e32 v3, 0
	v_div_scale_f32 v11, s[0:1], v0, v0, v9
	v_rcp_f32_e32 v15, v11
	v_div_scale_f32 v17, vcc, v9, v0, v9
	v_fma_f32 v18, -v11, v15, 1.0
	v_fmac_f32_e32 v15, v18, v15
	v_mul_f32_e32 v18, v17, v15
	v_fma_f32 v19, -v11, v18, v17
	v_fmac_f32_e32 v18, v19, v15
	v_fma_f32 v11, -v11, v18, v17
	v_div_fmas_f32 v11, v11, v15, v18
	v_div_fixup_f32 v9, v11, v0, v9
	v_max_f32_e32 v9, v9, v33
	v_min_f32_e32 v9, v9, v34
	v_and_b32_e32 v11, 0x7fffffff, v9
	v_cmp_gt_u32_e32 vcc, s12, v11
	v_pk_mov_b32 v[18:19], v[2:3], v[2:3] op_sel:[0,1]
	s_and_saveexec_b64 s[0:1], vcc
	s_cbranch_execz .LBB23_63
; %bb.58:                               ;   in Loop: Header=BB23_33 Depth=1
	v_cmp_lt_u32_e32 vcc, s13, v11
	s_mov_b64 s[6:7], 0
                                        ; implicit-def: $vgpr3
	s_and_saveexec_b64 s[8:9], vcc
	s_xor_b64 s[8:9], exec, s[8:9]
	s_cbranch_execnz .LBB23_87
; %bb.59:                               ;   in Loop: Header=BB23_33 Depth=1
	s_or_saveexec_b64 s[8:9], s[8:9]
                                        ; implicit-def: $sgpr10_sgpr11
	s_xor_b64 exec, exec, s[8:9]
	s_cbranch_execnz .LBB23_88
.LBB23_60:                              ;   in Loop: Header=BB23_33 Depth=1
	s_or_b64 exec, exec, s[8:9]
	v_pk_mov_b32 v[18:19], s[10:11], s[10:11] op_sel:[0,1]
	s_and_saveexec_b64 s[8:9], s[6:7]
.LBB23_61:                              ;   in Loop: Header=BB23_33 Depth=1
	v_lshrrev_b32_e32 v9, 24, v9
	v_and_or_b32 v18, v9, s16, v3
.LBB23_62:                              ;   in Loop: Header=BB23_33 Depth=1
	s_or_b64 exec, exec, s[8:9]
.LBB23_63:                              ;   in Loop: Header=BB23_33 Depth=1
	s_or_b64 exec, exec, s[0:1]
	v_cvt_f32_f16_sdwa v3, v4 dst_sel:DWORD dst_unused:UNUSED_PAD src0_sel:WORD_1
	v_div_scale_f32 v4, s[0:1], v0, v0, v3
	v_rcp_f32_e32 v9, v4
	v_div_scale_f32 v11, vcc, v3, v0, v3
	v_fma_f32 v15, -v4, v9, 1.0
	v_fmac_f32_e32 v9, v15, v9
	v_mul_f32_e32 v15, v11, v9
	v_fma_f32 v17, -v4, v15, v11
	v_fmac_f32_e32 v15, v17, v9
	v_fma_f32 v4, -v4, v15, v11
	v_div_fmas_f32 v4, v4, v9, v15
	v_div_fixup_f32 v3, v4, v0, v3
	v_max_f32_e32 v3, v3, v33
	v_min_f32_e32 v4, v3, v34
	v_and_b32_e32 v3, 0x7fffffff, v4
	v_cmp_gt_u32_e32 vcc, s12, v3
	s_and_saveexec_b64 s[0:1], vcc
	s_cbranch_execz .LBB23_69
; %bb.64:                               ;   in Loop: Header=BB23_33 Depth=1
	v_cmp_lt_u32_e32 vcc, s13, v3
	s_mov_b64 s[6:7], 0
                                        ; implicit-def: $vgpr9
	s_and_saveexec_b64 s[8:9], vcc
	s_xor_b64 s[8:9], exec, s[8:9]
	s_cbranch_execnz .LBB23_89
; %bb.65:                               ;   in Loop: Header=BB23_33 Depth=1
	s_or_saveexec_b64 s[8:9], s[8:9]
                                        ; implicit-def: $sgpr10_sgpr11
	s_xor_b64 exec, exec, s[8:9]
	s_cbranch_execnz .LBB23_90
.LBB23_66:                              ;   in Loop: Header=BB23_33 Depth=1
	s_or_b64 exec, exec, s[8:9]
	v_pk_mov_b32 v[2:3], s[10:11], s[10:11] op_sel:[0,1]
	s_and_saveexec_b64 s[8:9], s[6:7]
.LBB23_67:                              ;   in Loop: Header=BB23_33 Depth=1
	v_lshrrev_b32_e32 v2, 24, v4
	v_and_or_b32 v2, v2, s16, v9
.LBB23_68:                              ;   in Loop: Header=BB23_33 Depth=1
	s_or_b64 exec, exec, s[8:9]
.LBB23_69:                              ;   in Loop: Header=BB23_33 Depth=1
	s_or_b64 exec, exec, s[0:1]
	v_cvt_f32_f16_e32 v3, v5
	v_mov_b32_e32 v20, 0x80
	v_mov_b32_e32 v21, 0
	v_pk_mov_b32 v[22:23], v[20:21], v[20:21] op_sel:[0,1]
	v_div_scale_f32 v4, s[0:1], v0, v0, v3
	v_rcp_f32_e32 v9, v4
	v_div_scale_f32 v11, vcc, v3, v0, v3
	v_fma_f32 v15, -v4, v9, 1.0
	v_fmac_f32_e32 v9, v15, v9
	v_mul_f32_e32 v15, v11, v9
	v_fma_f32 v17, -v4, v15, v11
	v_fmac_f32_e32 v15, v17, v9
	v_fma_f32 v4, -v4, v15, v11
	v_div_fmas_f32 v4, v4, v9, v15
	v_div_fixup_f32 v3, v4, v0, v3
	v_max_f32_e32 v3, v3, v33
	v_min_f32_e32 v3, v3, v34
	v_and_b32_e32 v4, 0x7fffffff, v3
	v_cmp_gt_u32_e32 vcc, s12, v4
	s_and_saveexec_b64 s[0:1], vcc
	s_cbranch_execz .LBB23_75
; %bb.70:                               ;   in Loop: Header=BB23_33 Depth=1
	v_cmp_lt_u32_e32 vcc, s13, v4
	s_mov_b64 s[6:7], 0
                                        ; implicit-def: $vgpr4
	s_and_saveexec_b64 s[8:9], vcc
	s_xor_b64 s[8:9], exec, s[8:9]
	s_cbranch_execnz .LBB23_91
; %bb.71:                               ;   in Loop: Header=BB23_33 Depth=1
	s_or_saveexec_b64 s[8:9], s[8:9]
                                        ; implicit-def: $sgpr10_sgpr11
	s_xor_b64 exec, exec, s[8:9]
	s_cbranch_execnz .LBB23_92
.LBB23_72:                              ;   in Loop: Header=BB23_33 Depth=1
	s_or_b64 exec, exec, s[8:9]
	v_pk_mov_b32 v[22:23], s[10:11], s[10:11] op_sel:[0,1]
	s_and_saveexec_b64 s[8:9], s[6:7]
.LBB23_73:                              ;   in Loop: Header=BB23_33 Depth=1
	v_lshrrev_b32_e32 v3, 24, v3
	v_and_or_b32 v22, v3, s16, v4
.LBB23_74:                              ;   in Loop: Header=BB23_33 Depth=1
	s_or_b64 exec, exec, s[8:9]
.LBB23_75:                              ;   in Loop: Header=BB23_33 Depth=1
	s_or_b64 exec, exec, s[0:1]
	v_cvt_f32_f16_sdwa v3, v5 dst_sel:DWORD dst_unused:UNUSED_PAD src0_sel:WORD_1
	v_div_scale_f32 v4, s[0:1], v0, v0, v3
	v_rcp_f32_e32 v5, v4
	v_div_scale_f32 v9, vcc, v3, v0, v3
	v_fma_f32 v11, -v4, v5, 1.0
	v_fmac_f32_e32 v5, v11, v5
	v_mul_f32_e32 v11, v9, v5
	v_fma_f32 v15, -v4, v11, v9
	v_fmac_f32_e32 v11, v15, v5
	v_fma_f32 v4, -v4, v11, v9
	v_div_fmas_f32 v4, v4, v5, v11
	v_div_fixup_f32 v3, v4, v0, v3
	v_max_f32_e32 v3, v3, v33
	v_min_f32_e32 v3, v3, v34
	v_and_b32_e32 v4, 0x7fffffff, v3
	v_cmp_gt_u32_e32 vcc, s12, v4
	s_and_saveexec_b64 s[0:1], vcc
	s_cbranch_execz .LBB23_32
; %bb.76:                               ;   in Loop: Header=BB23_33 Depth=1
	v_cmp_lt_u32_e32 vcc, s13, v4
	s_mov_b64 s[6:7], 0
                                        ; implicit-def: $vgpr4
	s_and_saveexec_b64 s[8:9], vcc
	s_xor_b64 s[8:9], exec, s[8:9]
	s_cbranch_execnz .LBB23_93
; %bb.77:                               ;   in Loop: Header=BB23_33 Depth=1
	s_or_saveexec_b64 s[8:9], s[8:9]
                                        ; implicit-def: $sgpr10_sgpr11
	s_xor_b64 exec, exec, s[8:9]
	s_cbranch_execnz .LBB23_94
.LBB23_78:                              ;   in Loop: Header=BB23_33 Depth=1
	s_or_b64 exec, exec, s[8:9]
	v_pk_mov_b32 v[20:21], s[10:11], s[10:11] op_sel:[0,1]
	s_and_saveexec_b64 s[8:9], s[6:7]
	s_cbranch_execz .LBB23_31
	s_branch .LBB23_95
.LBB23_79:                              ;   in Loop: Header=BB23_33 Depth=1
	v_bfe_u32 v9, v14, 20, 1
	v_add3_u32 v9, v14, v9, s14
	s_mov_b64 s[6:7], exec
	v_lshrrev_b32_e32 v9, 20, v9
	s_or_saveexec_b64 s[8:9], s[8:9]
                                        ; implicit-def: $sgpr10_sgpr11
	s_xor_b64 exec, exec, s[8:9]
	s_cbranch_execz .LBB23_36
.LBB23_80:                              ;   in Loop: Header=BB23_33 Depth=1
	v_add_f32_e64 v9, |v14|, s15
	v_and_b32_e32 v9, 0xff, v9
	v_cmp_ne_u32_e32 vcc, 0, v9
	s_andn2_b64 s[6:7], s[6:7], exec
	s_and_b64 s[26:27], vcc, exec
	s_mov_b64 s[10:11], 0
	s_or_b64 s[6:7], s[6:7], s[26:27]
	s_or_b64 exec, exec, s[8:9]
	v_pk_mov_b32 v[10:11], s[10:11], s[10:11] op_sel:[0,1]
	s_and_saveexec_b64 s[8:9], s[6:7]
	s_cbranch_execnz .LBB23_37
	s_branch .LBB23_38
.LBB23_81:                              ;   in Loop: Header=BB23_33 Depth=1
	v_bfe_u32 v8, v2, 20, 1
	v_add3_u32 v8, v2, v8, s14
	s_mov_b64 s[6:7], exec
	v_lshrrev_b32_e32 v11, 20, v8
	s_or_saveexec_b64 s[8:9], s[8:9]
                                        ; implicit-def: $sgpr10_sgpr11
	s_xor_b64 exec, exec, s[8:9]
	s_cbranch_execz .LBB23_42
.LBB23_82:                              ;   in Loop: Header=BB23_33 Depth=1
	v_add_f32_e64 v8, |v2|, s15
	v_and_b32_e32 v11, 0xff, v8
	v_cmp_ne_u32_e32 vcc, 0, v11
	s_andn2_b64 s[6:7], s[6:7], exec
	s_and_b64 s[26:27], vcc, exec
	s_mov_b64 s[10:11], 0
	s_or_b64 s[6:7], s[6:7], s[26:27]
	s_or_b64 exec, exec, s[8:9]
	v_pk_mov_b32 v[8:9], s[10:11], s[10:11] op_sel:[0,1]
	s_and_saveexec_b64 s[8:9], s[6:7]
	s_cbranch_execnz .LBB23_43
	s_branch .LBB23_44
.LBB23_83:                              ;   in Loop: Header=BB23_33 Depth=1
	v_bfe_u32 v9, v2, 20, 1
	v_add3_u32 v9, v2, v9, s14
	s_mov_b64 s[6:7], exec
	v_lshrrev_b32_e32 v9, 20, v9
	s_or_saveexec_b64 s[8:9], s[8:9]
                                        ; implicit-def: $sgpr10_sgpr11
	s_xor_b64 exec, exec, s[8:9]
	s_cbranch_execz .LBB23_48
.LBB23_84:                              ;   in Loop: Header=BB23_33 Depth=1
	v_add_f32_e64 v9, |v2|, s15
	v_and_b32_e32 v9, 0xff, v9
	v_cmp_ne_u32_e32 vcc, 0, v9
	s_andn2_b64 s[6:7], s[6:7], exec
	s_and_b64 s[26:27], vcc, exec
	s_mov_b64 s[10:11], 0
	s_or_b64 s[6:7], s[6:7], s[26:27]
	s_or_b64 exec, exec, s[8:9]
	v_pk_mov_b32 v[16:17], s[10:11], s[10:11] op_sel:[0,1]
	s_and_saveexec_b64 s[8:9], s[6:7]
	s_cbranch_execnz .LBB23_49
	s_branch .LBB23_50
.LBB23_85:                              ;   in Loop: Header=BB23_33 Depth=1
	v_bfe_u32 v3, v2, 20, 1
	v_add3_u32 v3, v2, v3, s14
	s_mov_b64 s[6:7], exec
	v_lshrrev_b32_e32 v3, 20, v3
	s_or_saveexec_b64 s[8:9], s[8:9]
                                        ; implicit-def: $sgpr10_sgpr11
	s_xor_b64 exec, exec, s[8:9]
	s_cbranch_execz .LBB23_54
.LBB23_86:                              ;   in Loop: Header=BB23_33 Depth=1
	v_add_f32_e64 v3, |v2|, s15
	v_and_b32_e32 v3, 0xff, v3
	v_cmp_ne_u32_e32 vcc, 0, v3
	s_andn2_b64 s[6:7], s[6:7], exec
	s_and_b64 s[26:27], vcc, exec
	s_mov_b64 s[10:11], 0
	s_or_b64 s[6:7], s[6:7], s[26:27]
	s_or_b64 exec, exec, s[8:9]
	v_pk_mov_b32 v[14:15], s[10:11], s[10:11] op_sel:[0,1]
	s_and_saveexec_b64 s[8:9], s[6:7]
	s_cbranch_execnz .LBB23_55
	s_branch .LBB23_56
.LBB23_87:                              ;   in Loop: Header=BB23_33 Depth=1
	v_bfe_u32 v3, v9, 20, 1
	v_add3_u32 v3, v9, v3, s14
	s_mov_b64 s[6:7], exec
	v_lshrrev_b32_e32 v3, 20, v3
	s_or_saveexec_b64 s[8:9], s[8:9]
                                        ; implicit-def: $sgpr10_sgpr11
	s_xor_b64 exec, exec, s[8:9]
	s_cbranch_execz .LBB23_60
.LBB23_88:                              ;   in Loop: Header=BB23_33 Depth=1
	v_add_f32_e64 v3, |v9|, s15
	v_and_b32_e32 v3, 0xff, v3
	v_cmp_ne_u32_e32 vcc, 0, v3
	s_andn2_b64 s[6:7], s[6:7], exec
	s_and_b64 s[26:27], vcc, exec
	s_mov_b64 s[10:11], 0
	s_or_b64 s[6:7], s[6:7], s[26:27]
	s_or_b64 exec, exec, s[8:9]
	v_pk_mov_b32 v[18:19], s[10:11], s[10:11] op_sel:[0,1]
	s_and_saveexec_b64 s[8:9], s[6:7]
	s_cbranch_execnz .LBB23_61
	s_branch .LBB23_62
.LBB23_89:                              ;   in Loop: Header=BB23_33 Depth=1
	v_bfe_u32 v2, v4, 20, 1
	v_add3_u32 v2, v4, v2, s14
	s_mov_b64 s[6:7], exec
	v_lshrrev_b32_e32 v9, 20, v2
	s_or_saveexec_b64 s[8:9], s[8:9]
                                        ; implicit-def: $sgpr10_sgpr11
	s_xor_b64 exec, exec, s[8:9]
	s_cbranch_execz .LBB23_66
.LBB23_90:                              ;   in Loop: Header=BB23_33 Depth=1
	v_add_f32_e64 v2, |v4|, s15
	v_and_b32_e32 v9, 0xff, v2
	v_cmp_ne_u32_e32 vcc, 0, v9
	s_andn2_b64 s[6:7], s[6:7], exec
	s_and_b64 s[26:27], vcc, exec
	s_mov_b64 s[10:11], 0
	s_or_b64 s[6:7], s[6:7], s[26:27]
	s_or_b64 exec, exec, s[8:9]
	v_pk_mov_b32 v[2:3], s[10:11], s[10:11] op_sel:[0,1]
	s_and_saveexec_b64 s[8:9], s[6:7]
	s_cbranch_execnz .LBB23_67
	s_branch .LBB23_68
.LBB23_91:                              ;   in Loop: Header=BB23_33 Depth=1
	v_bfe_u32 v4, v3, 20, 1
	v_add3_u32 v4, v3, v4, s14
	s_mov_b64 s[6:7], exec
	v_lshrrev_b32_e32 v4, 20, v4
	s_or_saveexec_b64 s[8:9], s[8:9]
                                        ; implicit-def: $sgpr10_sgpr11
	s_xor_b64 exec, exec, s[8:9]
	s_cbranch_execz .LBB23_72
.LBB23_92:                              ;   in Loop: Header=BB23_33 Depth=1
	v_add_f32_e64 v4, |v3|, s15
	v_and_b32_e32 v4, 0xff, v4
	v_cmp_ne_u32_e32 vcc, 0, v4
	s_andn2_b64 s[6:7], s[6:7], exec
	s_and_b64 s[26:27], vcc, exec
	s_mov_b64 s[10:11], 0
	s_or_b64 s[6:7], s[6:7], s[26:27]
	s_or_b64 exec, exec, s[8:9]
	v_pk_mov_b32 v[22:23], s[10:11], s[10:11] op_sel:[0,1]
	s_and_saveexec_b64 s[8:9], s[6:7]
	s_cbranch_execnz .LBB23_73
	s_branch .LBB23_74
.LBB23_93:                              ;   in Loop: Header=BB23_33 Depth=1
	v_bfe_u32 v4, v3, 20, 1
	v_add3_u32 v4, v3, v4, s14
	s_mov_b64 s[6:7], exec
	v_lshrrev_b32_e32 v4, 20, v4
	s_or_saveexec_b64 s[8:9], s[8:9]
                                        ; implicit-def: $sgpr10_sgpr11
	s_xor_b64 exec, exec, s[8:9]
	s_cbranch_execz .LBB23_78
.LBB23_94:                              ;   in Loop: Header=BB23_33 Depth=1
	v_add_f32_e64 v4, |v3|, s15
	v_and_b32_e32 v4, 0xff, v4
	v_cmp_ne_u32_e32 vcc, 0, v4
	s_andn2_b64 s[6:7], s[6:7], exec
	s_and_b64 s[26:27], vcc, exec
	s_mov_b64 s[10:11], 0
	s_or_b64 s[6:7], s[6:7], s[26:27]
	s_or_b64 exec, exec, s[8:9]
	v_pk_mov_b32 v[20:21], s[10:11], s[10:11] op_sel:[0,1]
	s_and_saveexec_b64 s[8:9], s[6:7]
	s_cbranch_execz .LBB23_31
.LBB23_95:                              ;   in Loop: Header=BB23_33 Depth=1
	v_lshrrev_b32_e32 v3, 24, v3
	v_and_or_b32 v20, v3, s16, v4
	s_branch .LBB23_31
.LBB23_96:
	s_or_b64 exec, exec, s[2:3]
	v_lshlrev_b32_e32 v4, 3, v31
	v_add_u32_e32 v2, v4, v24
	v_cmp_lt_i32_e32 vcc, v2, v26
	s_and_saveexec_b64 s[24:25], vcc
	s_cbranch_execz .LBB23_114
; %bb.97:
	v_add_u32_e32 v3, 16, v2
	v_max_i32_e32 v5, v3, v26
	v_xad_u32 v5, v24, -1, v5
	v_sub_u32_e32 v4, v5, v4
	v_cmp_lt_u32_e32 vcc, 47, v4
	s_mov_b64 s[0:1], 0
                                        ; implicit-def: $vgpr20
	s_and_saveexec_b64 s[2:3], vcc
	s_xor_b64 s[26:27], exec, s[2:3]
	s_cbranch_execnz .LBB23_100
; %bb.98:
	s_andn2_saveexec_b64 s[2:3], s[26:27]
	s_cbranch_execnz .LBB23_103
.LBB23_99:
	s_or_b64 exec, exec, s[2:3]
	s_and_b64 exec, exec, s[0:1]
	s_cbranch_execnz .LBB23_104
	s_branch .LBB23_114
.LBB23_100:
	v_lshrrev_b32_e32 v4, 4, v4
	v_lshlrev_b32_e32 v20, 1, v25
	v_lshlrev_b32_e32 v8, 4, v31
	;; [unrolled: 1-line block ×3, first 2 shown]
	v_add_u32_e32 v21, 1, v4
	v_add_u32_e32 v5, 48, v2
	;; [unrolled: 1-line block ×3, first 2 shown]
	v_add3_u32 v8, v20, v8, v29
	v_lshlrev_b32_e32 v9, 1, v24
	v_add_co_u32_e32 v23, vcc, v1, v27
	v_and_b32_e32 v22, 0x1ffffffc, v21
	s_mov_b32 s0, s18
	s_mov_b32 s1, s18
	;; [unrolled: 1-line block ×8, first 2 shown]
	v_add3_u32 v24, v8, v9, 0
	v_pk_mov_b32 v[10:11], v[4:5], v[4:5] op_sel:[0,1]
	v_addc_co_u32_e32 v30, vcc, v30, v28, vcc
	v_mov_b32_e32 v1, v0
	v_mov_b32_e32 v6, v0
	;; [unrolled: 1-line block ×3, first 2 shown]
	s_mov_b64 s[28:29], 0
	v_max_f32_e64 v25, s3, s3
	v_max_f32_e64 v31, s2, s2
	;; [unrolled: 1-line block ×8, first 2 shown]
	s_mov_b32 s33, 0x43800000
	s_brev_b32 s34, 60
	s_mov_b32 s35, 0x487ffff
	s_mov_b32 s30, 0x46000000
	s_movk_i32 s36, 0x80
	v_mov_b32_e32 v38, 0xffffff80
	v_mov_b32_e32 v39, 0
	;; [unrolled: 1-line block ×3, first 2 shown]
	v_pk_mov_b32 v[8:9], v[2:3], v[2:3] op_sel:[0,1]
.LBB23_101:                             ; =>This Inner Loop Header: Depth=1
	ds_read_u16 v41, v24
	ds_read_u16 v42, v24 offset:32
	ds_read_u16 v43, v24 offset:64
	ds_read_u16 v44, v24 offset:96
	v_ashrrev_i32_e32 v3, 31, v11
	v_ashrrev_i32_e32 v5, 31, v9
	;; [unrolled: 1-line block ×3, first 2 shown]
	v_add_co_u32_e32 v4, vcc, v23, v9
	v_add_co_u32_e64 v16, s[2:3], v23, v11
	v_add_co_u32_e64 v18, s[4:5], v23, v8
	s_waitcnt lgkmcnt(3)
	v_cvt_f32_f16_e32 v41, v41
	v_addc_co_u32_e64 v19, s[4:5], v30, v17, s[4:5]
	v_addc_co_u32_e32 v5, vcc, v30, v5, vcc
	v_addc_co_u32_e64 v17, vcc, v30, v3, s[2:3]
	s_waitcnt lgkmcnt(0)
	v_cvt_f32_f16_e32 v3, v44
	v_cvt_f32_f16_e32 v42, v42
	;; [unrolled: 1-line block ×3, first 2 shown]
	v_ashrrev_i32_e32 v15, 31, v10
	v_add_co_u32_e64 v14, s[0:1], v23, v10
	v_addc_co_u32_e64 v15, vcc, v30, v15, s[0:1]
	v_div_scale_f32 v44, s[0:1], v0, v0, v41
	v_div_scale_f32 v46, s[0:1], v1, v1, v42
	;; [unrolled: 1-line block ×3, first 2 shown]
	v_rcp_f32_e32 v51, v44
	v_div_scale_f32 v48, s[2:3], v6, v6, v43
	v_rcp_f32_e32 v52, v46
	v_rcp_f32_e32 v54, v50
	;; [unrolled: 1-line block ×3, first 2 shown]
	v_fma_f32 v55, -v44, v51, 1.0
	v_div_scale_f32 v45, vcc, v41, v0, v41
	v_fma_f32 v56, -v46, v52, 1.0
	v_fmac_f32_e32 v51, v55, v51
	v_fma_f32 v55, -v50, v54, 1.0
	v_div_scale_f32 v47, s[0:1], v42, v1, v42
	v_fma_f32 v57, -v48, v53, 1.0
	v_fmac_f32_e32 v52, v56, v52
	v_fmac_f32_e32 v54, v55, v54
	v_mul_f32_e32 v55, v45, v51
	v_fmac_f32_e32 v53, v57, v53
	v_mul_f32_e32 v56, v47, v52
	v_fma_f32 v57, -v44, v55, v45
	v_div_scale_f32 v49, s[2:3], v43, v6, v43
	v_fmac_f32_e32 v55, v57, v51
	v_fma_f32 v57, -v46, v56, v47
	v_fmac_f32_e32 v56, v57, v52
	v_mul_f32_e32 v57, v49, v53
	v_fma_f32 v58, -v48, v57, v49
	v_fmac_f32_e32 v57, v58, v53
	v_div_scale_f32 v58, s[4:5], v3, v7, v3
	v_mul_f32_e32 v59, v58, v54
	v_fma_f32 v44, -v44, v55, v45
	v_fma_f32 v60, -v50, v59, v58
	;; [unrolled: 1-line block ×3, first 2 shown]
	v_div_fmas_f32 v44, v44, v51, v55
	s_mov_b64 vcc, s[0:1]
	v_fmac_f32_e32 v59, v60, v54
	v_fma_f32 v46, -v48, v57, v49
	v_div_fixup_f32 v41, v44, v0, v41
	v_div_fmas_f32 v44, v45, v52, v56
	s_mov_b64 vcc, s[2:3]
	v_fma_f32 v47, -v50, v59, v58
	v_div_fixup_f32 v42, v44, v1, v42
	v_div_fmas_f32 v44, v46, v53, v57
	v_max_f32_e32 v41, v41, v33
	s_mov_b64 vcc, s[4:5]
	v_div_fixup_f32 v43, v44, v6, v43
	v_div_fmas_f32 v44, v47, v54, v59
	v_max_f32_e32 v42, v42, v32
	v_min_f32_e32 v41, v41, v34
	v_div_fixup_f32 v3, v44, v7, v3
	v_max_f32_e32 v43, v43, v31
	v_min_f32_e32 v45, v42, v35
	v_and_b32_e32 v42, 0x7fffffff, v41
	v_bfe_u32 v44, v41, 20, 1
	v_lshrrev_b32_e32 v46, 24, v41
	v_max_f32_e32 v3, v3, v25
	v_min_f32_e32 v47, v43, v36
	v_and_b32_e32 v43, 0x7fffffff, v45
	v_cmp_gt_u32_e32 vcc, s33, v42
	v_cmp_gt_u32_e64 s[0:1], s34, v42
	v_bfe_u32 v48, v45, 20, 1
	v_add3_u32 v41, v41, v44, s35
	v_min_f32_e32 v3, v3, v37
	v_and_b32_e32 v44, 0x7fffffff, v47
	v_cmp_gt_u32_e64 s[2:3], s33, v43
	v_cmp_gt_u32_e64 s[4:5], s34, v43
	v_bfe_u32 v50, v47, 20, 1
	v_add3_u32 v48, v45, v48, s35
	v_lshrrev_b32_e32 v41, 20, v41
	v_pk_add_f32 v[42:43], v[42:43], s[30:31] op_sel_hi:[1,0]
	s_xor_b64 s[8:9], s[0:1], vcc
	v_lshrrev_b32_e32 v49, 24, v45
	v_lshrrev_b32_e32 v51, 24, v47
	v_and_b32_e32 v45, 0x7fffffff, v3
	v_cmp_gt_u32_e64 s[10:11], s33, v44
	v_cmp_gt_u32_e64 s[12:13], s34, v44
	v_bfe_u32 v52, v3, 20, 1
	v_add3_u32 v47, v47, v50, s35
	v_lshrrev_b32_e32 v48, 20, v48
	v_cndmask_b32_e64 v41, v42, v41, s[8:9]
	s_xor_b64 s[8:9], s[4:5], s[2:3]
	v_cmp_eq_u32_sdwa s[38:39], v43, v39 src0_sel:BYTE_0 src1_sel:DWORD
	v_cmp_eq_u32_sdwa s[40:41], v42, v39 src0_sel:BYTE_0 src1_sel:DWORD
	v_lshrrev_b32_e32 v42, 24, v3
	v_cmp_gt_u32_e64 s[14:15], s33, v45
	v_cmp_gt_u32_e64 s[16:17], s34, v45
	v_add3_u32 v3, v3, v52, s35
	v_lshrrev_b32_e32 v47, 20, v47
	v_pk_add_f32 v[44:45], v[44:45], s[30:31] op_sel_hi:[1,0]
	v_cndmask_b32_e64 v43, v43, v48, s[8:9]
	v_and_or_b32 v41, v46, s36, v41
	s_xor_b64 s[8:9], s[12:13], s[10:11]
	v_lshrrev_b32_e32 v3, 20, v3
	v_cmp_eq_u32_sdwa s[44:45], v44, v39 src0_sel:BYTE_0 src1_sel:DWORD
	v_cndmask_b32_e64 v44, v44, v47, s[8:9]
	v_cndmask_b32_e32 v41, v38, v41, vcc
	s_xor_b64 vcc, s[16:17], s[14:15]
	s_and_b64 s[0:1], s[0:1], s[40:41]
	v_cndmask_b32_e32 v3, v45, v3, vcc
	v_and_or_b32 v44, v51, s36, v44
	v_cmp_eq_u32_sdwa s[42:43], v45, v39 src0_sel:BYTE_0 src1_sel:DWORD
	v_and_or_b32 v43, v49, s36, v43
	v_cndmask_b32_e64 v41, v41, 0, s[0:1]
	v_and_or_b32 v3, v42, s36, v3
	v_cndmask_b32_e64 v42, v38, v44, s[10:11]
	s_and_b64 s[0:1], s[12:13], s[44:45]
	v_cndmask_b32_e64 v43, v38, v43, s[2:3]
	s_and_b64 s[2:3], s[4:5], s[38:39]
	global_store_byte v[18:19], v41, off
	v_cndmask_b32_e64 v3, v38, v3, s[14:15]
	v_cndmask_b32_e64 v18, v42, 0, s[0:1]
	s_and_b64 s[0:1], s[16:17], s[42:43]
	v_cndmask_b32_e64 v43, v43, 0, s[2:3]
	v_cndmask_b32_e64 v3, v3, 0, s[0:1]
	v_add_u32_e32 v40, -4, v40
	v_lshlrev_b16_e32 v19, 8, v43
	v_lshlrev_b16_e32 v3, 8, v3
	v_cmp_eq_u32_e64 s[6:7], 0, v40
	v_lshrrev_b32_e32 v19, 8, v19
	v_or_b32_sdwa v3, v18, v3 dst_sel:DWORD dst_unused:UNUSED_PAD src0_sel:BYTE_0 src1_sel:DWORD
	v_add_u32_e32 v11, 64, v11
	v_add_u32_e32 v10, 64, v10
	;; [unrolled: 1-line block ×5, first 2 shown]
	s_or_b64 s[28:29], s[6:7], s[28:29]
	global_store_byte v[4:5], v19, off
	global_store_byte v[14:15], v3, off
	v_lshrrev_b32_e32 v3, 8, v3
	global_store_byte v[16:17], v3, off
	s_andn2_b64 exec, exec, s[28:29]
	s_cbranch_execnz .LBB23_101
; %bb.102:
	s_or_b64 exec, exec, s[28:29]
	v_cmp_ne_u32_e32 vcc, v21, v22
	v_lshl_add_u32 v2, v22, 4, v2
	s_and_b64 s[0:1], vcc, exec
                                        ; implicit-def: $vgpr25
	s_andn2_saveexec_b64 s[2:3], s[26:27]
	s_cbranch_execz .LBB23_99
.LBB23_103:
	v_lshlrev_b32_e32 v20, 1, v25
	s_or_b64 s[0:1], s[0:1], exec
	s_or_b64 exec, exec, s[2:3]
	s_and_b64 exec, exec, s[0:1]
	s_cbranch_execz .LBB23_114
.LBB23_104:
	v_add_co_u32_e32 v3, vcc, v27, v12
	v_addc_co_u32_e32 v4, vcc, v28, v13, vcc
	v_ashrrev_i32_e32 v5, 31, v2
	v_add_co_u32_e32 v3, vcc, v3, v2
	v_addc_co_u32_e32 v5, vcc, v4, v5, vcc
	v_lshl_add_u32 v1, v2, 1, v20
	v_mov_b32_e32 v6, s21
	v_add_co_u32_e32 v4, vcc, s20, v3
	v_add3_u32 v1, v1, v29, 0
	v_addc_co_u32_e32 v5, vcc, v6, v5, vcc
	s_mov_b64 s[0:1], 0
	v_max_f32_e64 v3, s18, s18
	v_max_f32_e64 v6, s19, s19
	s_mov_b32 s8, 0x43800000
	s_mov_b32 s9, 0x3bffffff
	;; [unrolled: 1-line block ×4, first 2 shown]
	s_movk_i32 s12, 0x80
	s_branch .LBB23_107
.LBB23_105:                             ;   in Loop: Header=BB23_107 Depth=1
	s_or_b64 exec, exec, s[6:7]
.LBB23_106:                             ;   in Loop: Header=BB23_107 Depth=1
	s_or_b64 exec, exec, s[2:3]
	v_add_u32_e32 v2, 16, v2
	v_cmp_ge_i32_e32 vcc, v2, v26
	global_store_byte v[4:5], v9, off
	s_or_b64 s[0:1], vcc, s[0:1]
	v_add_co_u32_e32 v4, vcc, 16, v4
	v_add_u32_e32 v1, 32, v1
	v_addc_co_u32_e32 v5, vcc, 0, v5, vcc
	s_andn2_b64 exec, exec, s[0:1]
	s_cbranch_execz .LBB23_114
.LBB23_107:                             ; =>This Inner Loop Header: Depth=1
	ds_read_u16 v7, v1
	s_waitcnt lgkmcnt(0)
	v_cvt_f32_f16_e32 v7, v7
	v_div_scale_f32 v8, s[2:3], v0, v0, v7
	v_rcp_f32_e32 v9, v8
	v_div_scale_f32 v10, vcc, v7, v0, v7
	v_fma_f32 v11, -v8, v9, 1.0
	v_fmac_f32_e32 v9, v11, v9
	v_mul_f32_e32 v11, v10, v9
	v_fma_f32 v12, -v8, v11, v10
	v_fmac_f32_e32 v11, v12, v9
	v_fma_f32 v8, -v8, v11, v10
	v_div_fmas_f32 v8, v8, v9, v11
	v_div_fixup_f32 v7, v8, v0, v7
	v_max_f32_e32 v7, v7, v3
	v_min_f32_e32 v7, v7, v6
	v_and_b32_e32 v8, 0x7fffffff, v7
	v_cmp_gt_u32_e32 vcc, s8, v8
	v_mov_b32_e32 v9, 0x80
	s_and_saveexec_b64 s[2:3], vcc
	s_cbranch_execz .LBB23_106
; %bb.108:                              ;   in Loop: Header=BB23_107 Depth=1
	v_cmp_lt_u32_e32 vcc, s9, v8
	s_mov_b64 s[4:5], 0
                                        ; implicit-def: $vgpr8
	s_and_saveexec_b64 s[6:7], vcc
	s_xor_b64 s[6:7], exec, s[6:7]
	s_cbranch_execnz .LBB23_111
; %bb.109:                              ;   in Loop: Header=BB23_107 Depth=1
	s_or_saveexec_b64 s[6:7], s[6:7]
                                        ; implicit-def: $sgpr13
	s_xor_b64 exec, exec, s[6:7]
	s_cbranch_execnz .LBB23_112
.LBB23_110:                             ;   in Loop: Header=BB23_107 Depth=1
	s_or_b64 exec, exec, s[6:7]
	v_mov_b32_e32 v9, s13
	s_and_saveexec_b64 s[6:7], s[4:5]
	s_cbranch_execz .LBB23_105
	s_branch .LBB23_113
.LBB23_111:                             ;   in Loop: Header=BB23_107 Depth=1
	v_bfe_u32 v8, v7, 20, 1
	v_add3_u32 v8, v7, v8, s10
	s_mov_b64 s[4:5], exec
	v_lshrrev_b32_e32 v8, 20, v8
	s_or_saveexec_b64 s[6:7], s[6:7]
                                        ; implicit-def: $sgpr13
	s_xor_b64 exec, exec, s[6:7]
	s_cbranch_execz .LBB23_110
.LBB23_112:                             ;   in Loop: Header=BB23_107 Depth=1
	v_add_f32_e64 v8, |v7|, s11
	v_and_b32_e32 v8, 0xff, v8
	v_cmp_ne_u32_e32 vcc, 0, v8
	s_andn2_b64 s[4:5], s[4:5], exec
	s_and_b64 s[14:15], vcc, exec
	s_mov_b32 s13, 0
	s_or_b64 s[4:5], s[4:5], s[14:15]
	s_or_b64 exec, exec, s[6:7]
	v_mov_b32_e32 v9, s13
	s_and_saveexec_b64 s[6:7], s[4:5]
	s_cbranch_execz .LBB23_105
.LBB23_113:                             ;   in Loop: Header=BB23_107 Depth=1
	v_lshrrev_b32_e32 v7, 24, v7
	v_and_or_b32 v9, v7, s12, v8
	s_branch .LBB23_105
.LBB23_114:
	s_or_b64 exec, exec, s[24:25]
                                        ; implicit-def: $vgpr24
                                        ; implicit-def: $vgpr0
                                        ; implicit-def: $vgpr25
                                        ; implicit-def: $vgpr12_vgpr13
.LBB23_115:
	s_andn2_saveexec_b64 s[0:1], s[22:23]
	s_cbranch_execz .LBB23_183
; %bb.116:
	s_ashr_i32 s10, s31, 3
	v_cmp_gt_i32_e32 vcc, s10, v24
	s_and_saveexec_b64 s[0:1], vcc
	s_cbranch_execz .LBB23_183
; %bb.117:
	v_lshlrev_b32_e32 v1, 1, v25
	v_lshlrev_b32_e32 v2, 4, v24
	v_add3_u32 v1, v1, v2, 0
	v_lshlrev_b32_e32 v2, 3, v24
	v_add_co_u32_e32 v2, vcc, v12, v2
	v_addc_co_u32_e32 v3, vcc, 0, v13, vcc
	v_mov_b32_e32 v4, s21
	v_add_co_u32_e32 v6, vcc, s20, v2
	v_addc_co_u32_e32 v7, vcc, v4, v3, vcc
	s_mov_b64 s[2:3], 0
	v_max_f32_e64 v22, s18, s18
	v_max_f32_e64 v23, s19, s19
	s_mov_b32 s11, 0x43800000
	s_mov_b32 s12, 0x3bffffff
	;; [unrolled: 1-line block ×4, first 2 shown]
	s_movk_i32 s15, 0x80
	s_mov_b32 s16, 0xff00
	s_mov_b32 s17, 0x4020c0c
	s_branch .LBB23_120
.LBB23_118:                             ;   in Loop: Header=BB23_120 Depth=1
	s_or_b64 exec, exec, s[6:7]
.LBB23_119:                             ;   in Loop: Header=BB23_120 Depth=1
	s_or_b64 exec, exec, s[0:1]
	v_lshlrev_b32_e32 v4, 16, v20
	v_lshlrev_b32_e32 v3, 24, v18
	v_and_b32_e32 v4, 0xff0000, v4
	v_lshlrev_b32_e32 v2, 8, v2
	v_or_b32_e32 v3, v3, v4
	v_and_b32_e32 v2, 0xff00, v2
	v_and_b32_e32 v4, 0xff, v16
	v_or3_b32 v3, v3, v2, v4
	v_lshlrev_b32_e32 v2, 16, v14
	v_lshlrev_b32_e32 v4, 8, v8
	v_perm_b32 v2, v12, v2, s17
	v_and_or_b32 v2, v4, s16, v2
	v_or_b32_sdwa v2, v2, v10 dst_sel:DWORD dst_unused:UNUSED_PAD src0_sel:DWORD src1_sel:BYTE_0
	v_add_u32_e32 v24, 16, v24
	global_store_dwordx2 v[6:7], v[2:3], off
	v_add_co_u32_e32 v6, vcc, 0x80, v6
	v_cmp_le_i32_e64 s[0:1], s10, v24
	v_add_u32_e32 v1, 0x100, v1
	s_or_b64 s[2:3], s[0:1], s[2:3]
	v_addc_co_u32_e32 v7, vcc, 0, v7, vcc
	s_andn2_b64 exec, exec, s[2:3]
	s_cbranch_execz .LBB23_183
.LBB23_120:                             ; =>This Inner Loop Header: Depth=1
	ds_read_b128 v[2:5], v1
	v_mov_b32_e32 v8, 0x80
	v_mov_b32_e32 v9, 0
	s_waitcnt lgkmcnt(0)
	v_cvt_f32_f16_e32 v10, v2
	v_div_scale_f32 v11, s[0:1], v0, v0, v10
	v_rcp_f32_e32 v12, v11
	v_div_scale_f32 v13, vcc, v10, v0, v10
	v_fma_f32 v14, -v11, v12, 1.0
	v_fmac_f32_e32 v12, v14, v12
	v_mul_f32_e32 v14, v13, v12
	v_fma_f32 v15, -v11, v14, v13
	v_fmac_f32_e32 v14, v15, v12
	v_fma_f32 v11, -v11, v14, v13
	v_div_fmas_f32 v11, v11, v12, v14
	v_div_fixup_f32 v10, v11, v0, v10
	v_max_f32_e32 v10, v10, v22
	v_min_f32_e32 v12, v10, v23
	v_and_b32_e32 v13, 0x7fffffff, v12
	v_cmp_gt_u32_e32 vcc, s11, v13
	v_pk_mov_b32 v[10:11], v[8:9], v[8:9] op_sel:[0,1]
	s_and_saveexec_b64 s[0:1], vcc
	s_cbranch_execz .LBB23_126
; %bb.121:                              ;   in Loop: Header=BB23_120 Depth=1
	v_cmp_lt_u32_e32 vcc, s12, v13
	s_mov_b64 s[4:5], 0
                                        ; implicit-def: $vgpr9
	s_and_saveexec_b64 s[6:7], vcc
	s_xor_b64 s[6:7], exec, s[6:7]
	s_cbranch_execnz .LBB23_166
; %bb.122:                              ;   in Loop: Header=BB23_120 Depth=1
	s_or_saveexec_b64 s[6:7], s[6:7]
                                        ; implicit-def: $sgpr8_sgpr9
	s_xor_b64 exec, exec, s[6:7]
	s_cbranch_execnz .LBB23_167
.LBB23_123:                             ;   in Loop: Header=BB23_120 Depth=1
	s_or_b64 exec, exec, s[6:7]
	v_pk_mov_b32 v[10:11], s[8:9], s[8:9] op_sel:[0,1]
	s_and_saveexec_b64 s[6:7], s[4:5]
.LBB23_124:                             ;   in Loop: Header=BB23_120 Depth=1
	v_lshrrev_b32_e32 v10, 24, v12
	v_and_or_b32 v10, v10, s15, v9
.LBB23_125:                             ;   in Loop: Header=BB23_120 Depth=1
	s_or_b64 exec, exec, s[6:7]
.LBB23_126:                             ;   in Loop: Header=BB23_120 Depth=1
	s_or_b64 exec, exec, s[0:1]
	v_cvt_f32_f16_sdwa v2, v2 dst_sel:DWORD dst_unused:UNUSED_PAD src0_sel:WORD_1
	v_div_scale_f32 v9, s[0:1], v0, v0, v2
	v_rcp_f32_e32 v11, v9
	v_div_scale_f32 v12, vcc, v2, v0, v2
	v_fma_f32 v13, -v9, v11, 1.0
	v_fmac_f32_e32 v11, v13, v11
	v_mul_f32_e32 v13, v12, v11
	v_fma_f32 v14, -v9, v13, v12
	v_fmac_f32_e32 v13, v14, v11
	v_fma_f32 v9, -v9, v13, v12
	v_div_fmas_f32 v9, v9, v11, v13
	v_div_fixup_f32 v2, v9, v0, v2
	v_max_f32_e32 v2, v2, v22
	v_min_f32_e32 v2, v2, v23
	v_and_b32_e32 v9, 0x7fffffff, v2
	v_cmp_gt_u32_e32 vcc, s11, v9
	s_and_saveexec_b64 s[0:1], vcc
	s_cbranch_execz .LBB23_132
; %bb.127:                              ;   in Loop: Header=BB23_120 Depth=1
	v_cmp_lt_u32_e32 vcc, s12, v9
	s_mov_b64 s[4:5], 0
                                        ; implicit-def: $vgpr11
	s_and_saveexec_b64 s[6:7], vcc
	s_xor_b64 s[6:7], exec, s[6:7]
	s_cbranch_execnz .LBB23_168
; %bb.128:                              ;   in Loop: Header=BB23_120 Depth=1
	s_or_saveexec_b64 s[6:7], s[6:7]
                                        ; implicit-def: $sgpr8_sgpr9
	s_xor_b64 exec, exec, s[6:7]
	s_cbranch_execnz .LBB23_169
.LBB23_129:                             ;   in Loop: Header=BB23_120 Depth=1
	s_or_b64 exec, exec, s[6:7]
	v_pk_mov_b32 v[8:9], s[8:9], s[8:9] op_sel:[0,1]
	s_and_saveexec_b64 s[6:7], s[4:5]
.LBB23_130:                             ;   in Loop: Header=BB23_120 Depth=1
	v_lshrrev_b32_e32 v2, 24, v2
	v_and_or_b32 v8, v2, s15, v11
.LBB23_131:                             ;   in Loop: Header=BB23_120 Depth=1
	s_or_b64 exec, exec, s[6:7]
.LBB23_132:                             ;   in Loop: Header=BB23_120 Depth=1
	s_or_b64 exec, exec, s[0:1]
	v_cvt_f32_f16_e32 v2, v3
	v_mov_b32_e32 v12, 0x80
	v_mov_b32_e32 v13, 0
	v_div_scale_f32 v9, s[0:1], v0, v0, v2
	v_rcp_f32_e32 v11, v9
	v_div_scale_f32 v14, vcc, v2, v0, v2
	v_fma_f32 v15, -v9, v11, 1.0
	v_fmac_f32_e32 v11, v15, v11
	v_mul_f32_e32 v15, v14, v11
	v_fma_f32 v16, -v9, v15, v14
	v_fmac_f32_e32 v15, v16, v11
	v_fma_f32 v9, -v9, v15, v14
	v_div_fmas_f32 v9, v9, v11, v15
	v_div_fixup_f32 v2, v9, v0, v2
	v_max_f32_e32 v2, v2, v22
	v_min_f32_e32 v2, v2, v23
	v_and_b32_e32 v9, 0x7fffffff, v2
	v_cmp_gt_u32_e32 vcc, s11, v9
	v_pk_mov_b32 v[14:15], v[12:13], v[12:13] op_sel:[0,1]
	s_and_saveexec_b64 s[0:1], vcc
	s_cbranch_execz .LBB23_138
; %bb.133:                              ;   in Loop: Header=BB23_120 Depth=1
	v_cmp_lt_u32_e32 vcc, s12, v9
	s_mov_b64 s[4:5], 0
                                        ; implicit-def: $vgpr9
	s_and_saveexec_b64 s[6:7], vcc
	s_xor_b64 s[6:7], exec, s[6:7]
	s_cbranch_execnz .LBB23_170
; %bb.134:                              ;   in Loop: Header=BB23_120 Depth=1
	s_or_saveexec_b64 s[6:7], s[6:7]
                                        ; implicit-def: $sgpr8_sgpr9
	s_xor_b64 exec, exec, s[6:7]
	s_cbranch_execnz .LBB23_171
.LBB23_135:                             ;   in Loop: Header=BB23_120 Depth=1
	s_or_b64 exec, exec, s[6:7]
	v_pk_mov_b32 v[14:15], s[8:9], s[8:9] op_sel:[0,1]
	s_and_saveexec_b64 s[6:7], s[4:5]
.LBB23_136:                             ;   in Loop: Header=BB23_120 Depth=1
	v_lshrrev_b32_e32 v2, 24, v2
	v_and_or_b32 v14, v2, s15, v9
.LBB23_137:                             ;   in Loop: Header=BB23_120 Depth=1
	s_or_b64 exec, exec, s[6:7]
.LBB23_138:                             ;   in Loop: Header=BB23_120 Depth=1
	s_or_b64 exec, exec, s[0:1]
	v_cvt_f32_f16_sdwa v2, v3 dst_sel:DWORD dst_unused:UNUSED_PAD src0_sel:WORD_1
	v_div_scale_f32 v3, s[0:1], v0, v0, v2
	v_rcp_f32_e32 v9, v3
	v_div_scale_f32 v11, vcc, v2, v0, v2
	v_fma_f32 v13, -v3, v9, 1.0
	v_fmac_f32_e32 v9, v13, v9
	v_mul_f32_e32 v13, v11, v9
	v_fma_f32 v15, -v3, v13, v11
	v_fmac_f32_e32 v13, v15, v9
	v_fma_f32 v3, -v3, v13, v11
	v_div_fmas_f32 v3, v3, v9, v13
	v_div_fixup_f32 v2, v3, v0, v2
	v_max_f32_e32 v2, v2, v22
	v_min_f32_e32 v2, v2, v23
	v_and_b32_e32 v3, 0x7fffffff, v2
	v_cmp_gt_u32_e32 vcc, s11, v3
	s_and_saveexec_b64 s[0:1], vcc
	s_cbranch_execz .LBB23_144
; %bb.139:                              ;   in Loop: Header=BB23_120 Depth=1
	v_cmp_lt_u32_e32 vcc, s12, v3
	s_mov_b64 s[4:5], 0
                                        ; implicit-def: $vgpr3
	s_and_saveexec_b64 s[6:7], vcc
	s_xor_b64 s[6:7], exec, s[6:7]
	s_cbranch_execnz .LBB23_172
; %bb.140:                              ;   in Loop: Header=BB23_120 Depth=1
	s_or_saveexec_b64 s[6:7], s[6:7]
                                        ; implicit-def: $sgpr8_sgpr9
	s_xor_b64 exec, exec, s[6:7]
	s_cbranch_execnz .LBB23_173
.LBB23_141:                             ;   in Loop: Header=BB23_120 Depth=1
	s_or_b64 exec, exec, s[6:7]
	v_pk_mov_b32 v[12:13], s[8:9], s[8:9] op_sel:[0,1]
	s_and_saveexec_b64 s[6:7], s[4:5]
.LBB23_142:                             ;   in Loop: Header=BB23_120 Depth=1
	v_lshrrev_b32_e32 v2, 24, v2
	v_and_or_b32 v12, v2, s15, v3
.LBB23_143:                             ;   in Loop: Header=BB23_120 Depth=1
	s_or_b64 exec, exec, s[6:7]
.LBB23_144:                             ;   in Loop: Header=BB23_120 Depth=1
	s_or_b64 exec, exec, s[0:1]
	v_cvt_f32_f16_e32 v9, v4
	v_mov_b32_e32 v2, 0x80
	v_mov_b32_e32 v3, 0
	v_div_scale_f32 v11, s[0:1], v0, v0, v9
	v_rcp_f32_e32 v13, v11
	v_div_scale_f32 v15, vcc, v9, v0, v9
	v_fma_f32 v16, -v11, v13, 1.0
	v_fmac_f32_e32 v13, v16, v13
	v_mul_f32_e32 v16, v15, v13
	v_fma_f32 v17, -v11, v16, v15
	v_fmac_f32_e32 v16, v17, v13
	v_fma_f32 v11, -v11, v16, v15
	v_div_fmas_f32 v11, v11, v13, v16
	v_div_fixup_f32 v9, v11, v0, v9
	v_max_f32_e32 v9, v9, v22
	v_min_f32_e32 v9, v9, v23
	v_and_b32_e32 v11, 0x7fffffff, v9
	v_cmp_gt_u32_e32 vcc, s11, v11
	v_pk_mov_b32 v[16:17], v[2:3], v[2:3] op_sel:[0,1]
	s_and_saveexec_b64 s[0:1], vcc
	s_cbranch_execz .LBB23_150
; %bb.145:                              ;   in Loop: Header=BB23_120 Depth=1
	v_cmp_lt_u32_e32 vcc, s12, v11
	s_mov_b64 s[4:5], 0
                                        ; implicit-def: $vgpr3
	s_and_saveexec_b64 s[6:7], vcc
	s_xor_b64 s[6:7], exec, s[6:7]
	s_cbranch_execnz .LBB23_174
; %bb.146:                              ;   in Loop: Header=BB23_120 Depth=1
	s_or_saveexec_b64 s[6:7], s[6:7]
                                        ; implicit-def: $sgpr8_sgpr9
	s_xor_b64 exec, exec, s[6:7]
	s_cbranch_execnz .LBB23_175
.LBB23_147:                             ;   in Loop: Header=BB23_120 Depth=1
	s_or_b64 exec, exec, s[6:7]
	v_pk_mov_b32 v[16:17], s[8:9], s[8:9] op_sel:[0,1]
	s_and_saveexec_b64 s[6:7], s[4:5]
.LBB23_148:                             ;   in Loop: Header=BB23_120 Depth=1
	v_lshrrev_b32_e32 v9, 24, v9
	v_and_or_b32 v16, v9, s15, v3
.LBB23_149:                             ;   in Loop: Header=BB23_120 Depth=1
	s_or_b64 exec, exec, s[6:7]
.LBB23_150:                             ;   in Loop: Header=BB23_120 Depth=1
	s_or_b64 exec, exec, s[0:1]
	v_cvt_f32_f16_sdwa v3, v4 dst_sel:DWORD dst_unused:UNUSED_PAD src0_sel:WORD_1
	v_div_scale_f32 v4, s[0:1], v0, v0, v3
	v_rcp_f32_e32 v9, v4
	v_div_scale_f32 v11, vcc, v3, v0, v3
	v_fma_f32 v13, -v4, v9, 1.0
	v_fmac_f32_e32 v9, v13, v9
	v_mul_f32_e32 v13, v11, v9
	v_fma_f32 v15, -v4, v13, v11
	v_fmac_f32_e32 v13, v15, v9
	v_fma_f32 v4, -v4, v13, v11
	v_div_fmas_f32 v4, v4, v9, v13
	v_div_fixup_f32 v3, v4, v0, v3
	v_max_f32_e32 v3, v3, v22
	v_min_f32_e32 v4, v3, v23
	v_and_b32_e32 v3, 0x7fffffff, v4
	v_cmp_gt_u32_e32 vcc, s11, v3
	s_and_saveexec_b64 s[0:1], vcc
	s_cbranch_execz .LBB23_156
; %bb.151:                              ;   in Loop: Header=BB23_120 Depth=1
	v_cmp_lt_u32_e32 vcc, s12, v3
	s_mov_b64 s[4:5], 0
                                        ; implicit-def: $vgpr9
	s_and_saveexec_b64 s[6:7], vcc
	s_xor_b64 s[6:7], exec, s[6:7]
	s_cbranch_execnz .LBB23_176
; %bb.152:                              ;   in Loop: Header=BB23_120 Depth=1
	s_or_saveexec_b64 s[6:7], s[6:7]
                                        ; implicit-def: $sgpr8_sgpr9
	s_xor_b64 exec, exec, s[6:7]
	s_cbranch_execnz .LBB23_177
.LBB23_153:                             ;   in Loop: Header=BB23_120 Depth=1
	s_or_b64 exec, exec, s[6:7]
	v_pk_mov_b32 v[2:3], s[8:9], s[8:9] op_sel:[0,1]
	s_and_saveexec_b64 s[6:7], s[4:5]
.LBB23_154:                             ;   in Loop: Header=BB23_120 Depth=1
	v_lshrrev_b32_e32 v2, 24, v4
	v_and_or_b32 v2, v2, s15, v9
.LBB23_155:                             ;   in Loop: Header=BB23_120 Depth=1
	s_or_b64 exec, exec, s[6:7]
.LBB23_156:                             ;   in Loop: Header=BB23_120 Depth=1
	s_or_b64 exec, exec, s[0:1]
	v_cvt_f32_f16_e32 v3, v5
	v_mov_b32_e32 v18, 0x80
	v_mov_b32_e32 v19, 0
	v_pk_mov_b32 v[20:21], v[18:19], v[18:19] op_sel:[0,1]
	v_div_scale_f32 v4, s[0:1], v0, v0, v3
	v_rcp_f32_e32 v9, v4
	v_div_scale_f32 v11, vcc, v3, v0, v3
	v_fma_f32 v13, -v4, v9, 1.0
	v_fmac_f32_e32 v9, v13, v9
	v_mul_f32_e32 v13, v11, v9
	v_fma_f32 v15, -v4, v13, v11
	v_fmac_f32_e32 v13, v15, v9
	v_fma_f32 v4, -v4, v13, v11
	v_div_fmas_f32 v4, v4, v9, v13
	v_div_fixup_f32 v3, v4, v0, v3
	v_max_f32_e32 v3, v3, v22
	v_min_f32_e32 v3, v3, v23
	v_and_b32_e32 v4, 0x7fffffff, v3
	v_cmp_gt_u32_e32 vcc, s11, v4
	s_and_saveexec_b64 s[0:1], vcc
	s_cbranch_execz .LBB23_162
; %bb.157:                              ;   in Loop: Header=BB23_120 Depth=1
	v_cmp_lt_u32_e32 vcc, s12, v4
	s_mov_b64 s[4:5], 0
                                        ; implicit-def: $vgpr4
	s_and_saveexec_b64 s[6:7], vcc
	s_xor_b64 s[6:7], exec, s[6:7]
	s_cbranch_execnz .LBB23_178
; %bb.158:                              ;   in Loop: Header=BB23_120 Depth=1
	s_or_saveexec_b64 s[6:7], s[6:7]
                                        ; implicit-def: $sgpr8_sgpr9
	s_xor_b64 exec, exec, s[6:7]
	s_cbranch_execnz .LBB23_179
.LBB23_159:                             ;   in Loop: Header=BB23_120 Depth=1
	s_or_b64 exec, exec, s[6:7]
	v_pk_mov_b32 v[20:21], s[8:9], s[8:9] op_sel:[0,1]
	s_and_saveexec_b64 s[6:7], s[4:5]
.LBB23_160:                             ;   in Loop: Header=BB23_120 Depth=1
	v_lshrrev_b32_e32 v3, 24, v3
	v_and_or_b32 v20, v3, s15, v4
.LBB23_161:                             ;   in Loop: Header=BB23_120 Depth=1
	s_or_b64 exec, exec, s[6:7]
.LBB23_162:                             ;   in Loop: Header=BB23_120 Depth=1
	s_or_b64 exec, exec, s[0:1]
	v_cvt_f32_f16_sdwa v3, v5 dst_sel:DWORD dst_unused:UNUSED_PAD src0_sel:WORD_1
	v_div_scale_f32 v4, s[0:1], v0, v0, v3
	v_rcp_f32_e32 v5, v4
	v_div_scale_f32 v9, vcc, v3, v0, v3
	v_fma_f32 v11, -v4, v5, 1.0
	v_fmac_f32_e32 v5, v11, v5
	v_mul_f32_e32 v11, v9, v5
	v_fma_f32 v13, -v4, v11, v9
	v_fmac_f32_e32 v11, v13, v5
	v_fma_f32 v4, -v4, v11, v9
	v_div_fmas_f32 v4, v4, v5, v11
	v_div_fixup_f32 v3, v4, v0, v3
	v_max_f32_e32 v3, v3, v22
	v_min_f32_e32 v3, v3, v23
	v_and_b32_e32 v4, 0x7fffffff, v3
	v_cmp_gt_u32_e32 vcc, s11, v4
	s_and_saveexec_b64 s[0:1], vcc
	s_cbranch_execz .LBB23_119
; %bb.163:                              ;   in Loop: Header=BB23_120 Depth=1
	v_cmp_lt_u32_e32 vcc, s12, v4
	s_mov_b64 s[4:5], 0
                                        ; implicit-def: $vgpr4
	s_and_saveexec_b64 s[6:7], vcc
	s_xor_b64 s[6:7], exec, s[6:7]
	s_cbranch_execnz .LBB23_180
; %bb.164:                              ;   in Loop: Header=BB23_120 Depth=1
	s_or_saveexec_b64 s[6:7], s[6:7]
                                        ; implicit-def: $sgpr8_sgpr9
	s_xor_b64 exec, exec, s[6:7]
	s_cbranch_execnz .LBB23_181
.LBB23_165:                             ;   in Loop: Header=BB23_120 Depth=1
	s_or_b64 exec, exec, s[6:7]
	v_pk_mov_b32 v[18:19], s[8:9], s[8:9] op_sel:[0,1]
	s_and_saveexec_b64 s[6:7], s[4:5]
	s_cbranch_execz .LBB23_118
	s_branch .LBB23_182
.LBB23_166:                             ;   in Loop: Header=BB23_120 Depth=1
	v_bfe_u32 v9, v12, 20, 1
	v_add3_u32 v9, v12, v9, s13
	s_mov_b64 s[4:5], exec
	v_lshrrev_b32_e32 v9, 20, v9
	s_or_saveexec_b64 s[6:7], s[6:7]
                                        ; implicit-def: $sgpr8_sgpr9
	s_xor_b64 exec, exec, s[6:7]
	s_cbranch_execz .LBB23_123
.LBB23_167:                             ;   in Loop: Header=BB23_120 Depth=1
	v_add_f32_e64 v9, |v12|, s14
	v_and_b32_e32 v9, 0xff, v9
	v_cmp_ne_u32_e32 vcc, 0, v9
	s_andn2_b64 s[4:5], s[4:5], exec
	s_and_b64 s[18:19], vcc, exec
	s_mov_b64 s[8:9], 0
	s_or_b64 s[4:5], s[4:5], s[18:19]
	s_or_b64 exec, exec, s[6:7]
	v_pk_mov_b32 v[10:11], s[8:9], s[8:9] op_sel:[0,1]
	s_and_saveexec_b64 s[6:7], s[4:5]
	s_cbranch_execnz .LBB23_124
	s_branch .LBB23_125
.LBB23_168:                             ;   in Loop: Header=BB23_120 Depth=1
	v_bfe_u32 v8, v2, 20, 1
	v_add3_u32 v8, v2, v8, s13
	s_mov_b64 s[4:5], exec
	v_lshrrev_b32_e32 v11, 20, v8
	s_or_saveexec_b64 s[6:7], s[6:7]
                                        ; implicit-def: $sgpr8_sgpr9
	s_xor_b64 exec, exec, s[6:7]
	s_cbranch_execz .LBB23_129
.LBB23_169:                             ;   in Loop: Header=BB23_120 Depth=1
	v_add_f32_e64 v8, |v2|, s14
	v_and_b32_e32 v11, 0xff, v8
	v_cmp_ne_u32_e32 vcc, 0, v11
	s_andn2_b64 s[4:5], s[4:5], exec
	s_and_b64 s[18:19], vcc, exec
	s_mov_b64 s[8:9], 0
	s_or_b64 s[4:5], s[4:5], s[18:19]
	s_or_b64 exec, exec, s[6:7]
	v_pk_mov_b32 v[8:9], s[8:9], s[8:9] op_sel:[0,1]
	s_and_saveexec_b64 s[6:7], s[4:5]
	s_cbranch_execnz .LBB23_130
	s_branch .LBB23_131
.LBB23_170:                             ;   in Loop: Header=BB23_120 Depth=1
	v_bfe_u32 v9, v2, 20, 1
	v_add3_u32 v9, v2, v9, s13
	s_mov_b64 s[4:5], exec
	v_lshrrev_b32_e32 v9, 20, v9
	s_or_saveexec_b64 s[6:7], s[6:7]
                                        ; implicit-def: $sgpr8_sgpr9
	s_xor_b64 exec, exec, s[6:7]
	s_cbranch_execz .LBB23_135
.LBB23_171:                             ;   in Loop: Header=BB23_120 Depth=1
	v_add_f32_e64 v9, |v2|, s14
	v_and_b32_e32 v9, 0xff, v9
	v_cmp_ne_u32_e32 vcc, 0, v9
	s_andn2_b64 s[4:5], s[4:5], exec
	s_and_b64 s[18:19], vcc, exec
	s_mov_b64 s[8:9], 0
	s_or_b64 s[4:5], s[4:5], s[18:19]
	s_or_b64 exec, exec, s[6:7]
	v_pk_mov_b32 v[14:15], s[8:9], s[8:9] op_sel:[0,1]
	s_and_saveexec_b64 s[6:7], s[4:5]
	s_cbranch_execnz .LBB23_136
	s_branch .LBB23_137
.LBB23_172:                             ;   in Loop: Header=BB23_120 Depth=1
	v_bfe_u32 v3, v2, 20, 1
	v_add3_u32 v3, v2, v3, s13
	s_mov_b64 s[4:5], exec
	v_lshrrev_b32_e32 v3, 20, v3
	s_or_saveexec_b64 s[6:7], s[6:7]
                                        ; implicit-def: $sgpr8_sgpr9
	s_xor_b64 exec, exec, s[6:7]
	s_cbranch_execz .LBB23_141
.LBB23_173:                             ;   in Loop: Header=BB23_120 Depth=1
	v_add_f32_e64 v3, |v2|, s14
	v_and_b32_e32 v3, 0xff, v3
	v_cmp_ne_u32_e32 vcc, 0, v3
	s_andn2_b64 s[4:5], s[4:5], exec
	s_and_b64 s[18:19], vcc, exec
	s_mov_b64 s[8:9], 0
	s_or_b64 s[4:5], s[4:5], s[18:19]
	s_or_b64 exec, exec, s[6:7]
	v_pk_mov_b32 v[12:13], s[8:9], s[8:9] op_sel:[0,1]
	s_and_saveexec_b64 s[6:7], s[4:5]
	s_cbranch_execnz .LBB23_142
	s_branch .LBB23_143
.LBB23_174:                             ;   in Loop: Header=BB23_120 Depth=1
	v_bfe_u32 v3, v9, 20, 1
	v_add3_u32 v3, v9, v3, s13
	s_mov_b64 s[4:5], exec
	v_lshrrev_b32_e32 v3, 20, v3
	s_or_saveexec_b64 s[6:7], s[6:7]
                                        ; implicit-def: $sgpr8_sgpr9
	s_xor_b64 exec, exec, s[6:7]
	s_cbranch_execz .LBB23_147
.LBB23_175:                             ;   in Loop: Header=BB23_120 Depth=1
	v_add_f32_e64 v3, |v9|, s14
	v_and_b32_e32 v3, 0xff, v3
	v_cmp_ne_u32_e32 vcc, 0, v3
	s_andn2_b64 s[4:5], s[4:5], exec
	s_and_b64 s[18:19], vcc, exec
	s_mov_b64 s[8:9], 0
	s_or_b64 s[4:5], s[4:5], s[18:19]
	s_or_b64 exec, exec, s[6:7]
	v_pk_mov_b32 v[16:17], s[8:9], s[8:9] op_sel:[0,1]
	s_and_saveexec_b64 s[6:7], s[4:5]
	s_cbranch_execnz .LBB23_148
	s_branch .LBB23_149
.LBB23_176:                             ;   in Loop: Header=BB23_120 Depth=1
	v_bfe_u32 v2, v4, 20, 1
	v_add3_u32 v2, v4, v2, s13
	s_mov_b64 s[4:5], exec
	v_lshrrev_b32_e32 v9, 20, v2
	s_or_saveexec_b64 s[6:7], s[6:7]
                                        ; implicit-def: $sgpr8_sgpr9
	s_xor_b64 exec, exec, s[6:7]
	s_cbranch_execz .LBB23_153
.LBB23_177:                             ;   in Loop: Header=BB23_120 Depth=1
	v_add_f32_e64 v2, |v4|, s14
	v_and_b32_e32 v9, 0xff, v2
	v_cmp_ne_u32_e32 vcc, 0, v9
	s_andn2_b64 s[4:5], s[4:5], exec
	s_and_b64 s[18:19], vcc, exec
	s_mov_b64 s[8:9], 0
	s_or_b64 s[4:5], s[4:5], s[18:19]
	s_or_b64 exec, exec, s[6:7]
	v_pk_mov_b32 v[2:3], s[8:9], s[8:9] op_sel:[0,1]
	s_and_saveexec_b64 s[6:7], s[4:5]
	s_cbranch_execnz .LBB23_154
	s_branch .LBB23_155
.LBB23_178:                             ;   in Loop: Header=BB23_120 Depth=1
	v_bfe_u32 v4, v3, 20, 1
	v_add3_u32 v4, v3, v4, s13
	s_mov_b64 s[4:5], exec
	v_lshrrev_b32_e32 v4, 20, v4
	s_or_saveexec_b64 s[6:7], s[6:7]
                                        ; implicit-def: $sgpr8_sgpr9
	s_xor_b64 exec, exec, s[6:7]
	s_cbranch_execz .LBB23_159
.LBB23_179:                             ;   in Loop: Header=BB23_120 Depth=1
	v_add_f32_e64 v4, |v3|, s14
	v_and_b32_e32 v4, 0xff, v4
	v_cmp_ne_u32_e32 vcc, 0, v4
	s_andn2_b64 s[4:5], s[4:5], exec
	s_and_b64 s[18:19], vcc, exec
	s_mov_b64 s[8:9], 0
	s_or_b64 s[4:5], s[4:5], s[18:19]
	s_or_b64 exec, exec, s[6:7]
	v_pk_mov_b32 v[20:21], s[8:9], s[8:9] op_sel:[0,1]
	s_and_saveexec_b64 s[6:7], s[4:5]
	s_cbranch_execnz .LBB23_160
	s_branch .LBB23_161
.LBB23_180:                             ;   in Loop: Header=BB23_120 Depth=1
	v_bfe_u32 v4, v3, 20, 1
	v_add3_u32 v4, v3, v4, s13
	s_mov_b64 s[4:5], exec
	v_lshrrev_b32_e32 v4, 20, v4
	s_or_saveexec_b64 s[6:7], s[6:7]
                                        ; implicit-def: $sgpr8_sgpr9
	s_xor_b64 exec, exec, s[6:7]
	s_cbranch_execz .LBB23_165
.LBB23_181:                             ;   in Loop: Header=BB23_120 Depth=1
	v_add_f32_e64 v4, |v3|, s14
	v_and_b32_e32 v4, 0xff, v4
	v_cmp_ne_u32_e32 vcc, 0, v4
	s_andn2_b64 s[4:5], s[4:5], exec
	s_and_b64 s[18:19], vcc, exec
	s_mov_b64 s[8:9], 0
	s_or_b64 s[4:5], s[4:5], s[18:19]
	s_or_b64 exec, exec, s[6:7]
	v_pk_mov_b32 v[18:19], s[8:9], s[8:9] op_sel:[0,1]
	s_and_saveexec_b64 s[6:7], s[4:5]
	s_cbranch_execz .LBB23_118
.LBB23_182:                             ;   in Loop: Header=BB23_120 Depth=1
	v_lshrrev_b32_e32 v3, 24, v3
	v_and_or_b32 v18, v3, s15, v4
	s_branch .LBB23_118
.LBB23_183:
	s_endpgm
.LBB23_184:
	v_bfe_u32 v3, v2, 20, 1
	s_mov_b32 s8, 0x487ffff
	v_add3_u32 v3, v2, v3, s8
	s_mov_b64 s[4:5], exec
	v_lshrrev_b32_e32 v3, 20, v3
	s_or_saveexec_b64 s[6:7], s[6:7]
                                        ; implicit-def: $sgpr8
	s_xor_b64 exec, exec, s[6:7]
	s_cbranch_execz .LBB23_25
.LBB23_185:
	s_mov_b32 s8, 0x46000000
	v_add_f32_e64 v3, |v2|, s8
	v_and_b32_e32 v3, 0xff, v3
	v_cmp_ne_u32_e32 vcc, 0, v3
	s_andn2_b64 s[4:5], s[4:5], exec
	s_and_b64 s[10:11], vcc, exec
	s_mov_b32 s8, 0
	s_or_b64 s[4:5], s[4:5], s[10:11]
	s_or_b64 exec, exec, s[6:7]
	v_mov_b32_e32 v4, s8
	s_and_saveexec_b64 s[6:7], s[4:5]
	s_cbranch_execnz .LBB23_26
	s_branch .LBB23_27
	.section	.rodata,"a",@progbits
	.p2align	6, 0x0
	.amdhsa_kernel _Z33per_token_group_quant_8bit_kernelIN3c104HalfENS0_15Float8_e4m3fnuzELb0ELb0EfEvPKT_PvPT3_iiifffii
		.amdhsa_group_segment_fixed_size 0
		.amdhsa_private_segment_fixed_size 0
		.amdhsa_kernarg_size 56
		.amdhsa_user_sgpr_count 6
		.amdhsa_user_sgpr_private_segment_buffer 1
		.amdhsa_user_sgpr_dispatch_ptr 0
		.amdhsa_user_sgpr_queue_ptr 0
		.amdhsa_user_sgpr_kernarg_segment_ptr 1
		.amdhsa_user_sgpr_dispatch_id 0
		.amdhsa_user_sgpr_flat_scratch_init 0
		.amdhsa_user_sgpr_kernarg_preload_length 0
		.amdhsa_user_sgpr_kernarg_preload_offset 0
		.amdhsa_user_sgpr_private_segment_size 0
		.amdhsa_uses_dynamic_stack 0
		.amdhsa_system_sgpr_private_segment_wavefront_offset 0
		.amdhsa_system_sgpr_workgroup_id_x 1
		.amdhsa_system_sgpr_workgroup_id_y 0
		.amdhsa_system_sgpr_workgroup_id_z 0
		.amdhsa_system_sgpr_workgroup_info 0
		.amdhsa_system_vgpr_workitem_id 0
		.amdhsa_next_free_vgpr 61
		.amdhsa_next_free_sgpr 46
		.amdhsa_accum_offset 64
		.amdhsa_reserve_vcc 1
		.amdhsa_reserve_flat_scratch 0
		.amdhsa_float_round_mode_32 0
		.amdhsa_float_round_mode_16_64 0
		.amdhsa_float_denorm_mode_32 3
		.amdhsa_float_denorm_mode_16_64 3
		.amdhsa_dx10_clamp 1
		.amdhsa_ieee_mode 1
		.amdhsa_fp16_overflow 0
		.amdhsa_tg_split 0
		.amdhsa_exception_fp_ieee_invalid_op 0
		.amdhsa_exception_fp_denorm_src 0
		.amdhsa_exception_fp_ieee_div_zero 0
		.amdhsa_exception_fp_ieee_overflow 0
		.amdhsa_exception_fp_ieee_underflow 0
		.amdhsa_exception_fp_ieee_inexact 0
		.amdhsa_exception_int_div_zero 0
	.end_amdhsa_kernel
	.section	.text._Z33per_token_group_quant_8bit_kernelIN3c104HalfENS0_15Float8_e4m3fnuzELb0ELb0EfEvPKT_PvPT3_iiifffii,"axG",@progbits,_Z33per_token_group_quant_8bit_kernelIN3c104HalfENS0_15Float8_e4m3fnuzELb0ELb0EfEvPKT_PvPT3_iiifffii,comdat
.Lfunc_end23:
	.size	_Z33per_token_group_quant_8bit_kernelIN3c104HalfENS0_15Float8_e4m3fnuzELb0ELb0EfEvPKT_PvPT3_iiifffii, .Lfunc_end23-_Z33per_token_group_quant_8bit_kernelIN3c104HalfENS0_15Float8_e4m3fnuzELb0ELb0EfEvPKT_PvPT3_iiifffii
                                        ; -- End function
	.section	.AMDGPU.csdata,"",@progbits
; Kernel info:
; codeLenInByte = 8580
; NumSgprs: 50
; NumVgprs: 61
; NumAgprs: 0
; TotalNumVgprs: 61
; ScratchSize: 0
; MemoryBound: 0
; FloatMode: 240
; IeeeMode: 1
; LDSByteSize: 0 bytes/workgroup (compile time only)
; SGPRBlocks: 6
; VGPRBlocks: 7
; NumSGPRsForWavesPerEU: 50
; NumVGPRsForWavesPerEU: 61
; AccumOffset: 64
; Occupancy: 8
; WaveLimiterHint : 0
; COMPUTE_PGM_RSRC2:SCRATCH_EN: 0
; COMPUTE_PGM_RSRC2:USER_SGPR: 6
; COMPUTE_PGM_RSRC2:TRAP_HANDLER: 0
; COMPUTE_PGM_RSRC2:TGID_X_EN: 1
; COMPUTE_PGM_RSRC2:TGID_Y_EN: 0
; COMPUTE_PGM_RSRC2:TGID_Z_EN: 0
; COMPUTE_PGM_RSRC2:TIDIG_COMP_CNT: 0
; COMPUTE_PGM_RSRC3_GFX90A:ACCUM_OFFSET: 15
; COMPUTE_PGM_RSRC3_GFX90A:TG_SPLIT: 0
	.section	.text._Z33per_token_group_quant_8bit_kernelIN3c108BFloat16EaLb1ELb1EfEvPKT_PvPT3_iiifffii,"axG",@progbits,_Z33per_token_group_quant_8bit_kernelIN3c108BFloat16EaLb1ELb1EfEvPKT_PvPT3_iiifffii,comdat
	.protected	_Z33per_token_group_quant_8bit_kernelIN3c108BFloat16EaLb1ELb1EfEvPKT_PvPT3_iiifffii ; -- Begin function _Z33per_token_group_quant_8bit_kernelIN3c108BFloat16EaLb1ELb1EfEvPKT_PvPT3_iiifffii
	.globl	_Z33per_token_group_quant_8bit_kernelIN3c108BFloat16EaLb1ELb1EfEvPKT_PvPT3_iiifffii
	.p2align	8
	.type	_Z33per_token_group_quant_8bit_kernelIN3c108BFloat16EaLb1ELb1EfEvPKT_PvPT3_iiifffii,@function
_Z33per_token_group_quant_8bit_kernelIN3c108BFloat16EaLb1ELb1EfEvPKT_PvPT3_iiifffii: ; @_Z33per_token_group_quant_8bit_kernelIN3c108BFloat16EaLb1ELb1EfEvPKT_PvPT3_iiifffii
; %bb.0:
	s_load_dword s20, s[4:5], 0x18
	s_load_dwordx2 s[0:1], s[4:5], 0x0
	s_load_dwordx4 s[8:11], s[4:5], 0x20
	s_load_dwordx2 s[2:3], s[4:5], 0x30
	v_lshrrev_b32_e32 v4, 4, v0
	s_waitcnt lgkmcnt(0)
	s_ashr_i32 s12, s20, 31
	v_and_b32_e32 v8, 15, v0
	s_mul_i32 s6, s6, s8
	v_add_co_u32_e32 v11, vcc, s6, v4
	v_addc_co_u32_e64 v12, s[6:7], 0, 0, vcc
	v_mul_lo_u32 v0, v12, s20
	v_mul_lo_u32 v1, v11, s12
	v_mad_u64_u32 v[2:3], s[6:7], v11, s20, 0
	v_add3_u32 v3, v3, v1, v0
	v_lshlrev_b64 v[0:1], 1, v[2:3]
	s_and_b32 s8, s20, 7
	v_mov_b32_e32 v6, s1
	v_add_co_u32_e32 v5, vcc, s0, v0
	s_cmp_eq_u32 s8, 0
	v_addc_co_u32_e32 v6, vcc, v6, v1, vcc
	v_mov_b32_e32 v15, 0
	v_and_b32_e32 v14, 15, v5
	s_cselect_b64 s[6:7], -1, 0
	s_cmp_lg_u32 s8, 0
	v_mul_lo_u32 v9, v4, s20
	v_cmp_ne_u64_e32 vcc, 0, v[14:15]
	s_cselect_b64 s[12:13], -1, 0
	v_lshl_add_u32 v10, v9, 1, 0
	s_or_b64 s[12:13], s[12:13], vcc
                                        ; implicit-def: $vgpr13
	s_and_saveexec_b64 s[14:15], s[12:13]
	s_xor_b64 s[12:13], exec, s[14:15]
	s_cbranch_execz .LBB24_12
; %bb.1:
	v_sub_u32_e32 v4, 0, v5
	v_bfe_u32 v4, v4, 1, 3
	v_min_i32_e32 v4, s20, v4
	v_cmp_gt_i32_e32 vcc, v4, v8
	v_mov_b32_e32 v13, s9
	s_and_saveexec_b64 s[14:15], vcc
	s_cbranch_execz .LBB24_3
; %bb.2:
	v_lshlrev_b32_e32 v7, 1, v8
	v_add_co_u32_e32 v14, vcc, v5, v7
	v_addc_co_u32_e32 v15, vcc, 0, v6, vcc
	global_load_ushort v5, v[14:15], off
	v_max_f32_e64 v6, s9, s9
	v_add_u32_e32 v7, v10, v7
	s_waitcnt vmcnt(0)
	v_lshlrev_b32_e32 v13, 16, v5
	v_max_f32_e64 v13, |v13|, |v13|
	v_max_f32_e32 v13, v6, v13
	ds_write_b16 v7, v5
.LBB24_3:
	s_or_b64 exec, exec, s[14:15]
	v_sub_u32_e32 v14, s20, v4
	v_ashrrev_i32_e32 v6, 31, v14
	v_lshrrev_b32_e32 v6, 29, v6
	v_add_u32_e32 v6, v14, v6
	v_ashrrev_i32_e32 v5, 31, v4
	v_ashrrev_i32_e32 v15, 3, v6
	v_cmp_gt_i32_e32 vcc, v15, v8
	v_lshlrev_b32_e32 v16, 1, v4
	v_lshlrev_b64 v[4:5], 1, v[4:5]
	s_and_saveexec_b64 s[14:15], vcc
	s_cbranch_execz .LBB24_7
; %bb.4:
	v_lshlrev_b32_e32 v6, 4, v8
	v_lshl_add_u32 v7, v9, 1, v6
	v_add_co_u32_e32 v6, vcc, v0, v6
	v_add3_u32 v17, v7, v16, 0
	v_addc_co_u32_e32 v7, vcc, 0, v1, vcc
	v_add_co_u32_e32 v6, vcc, v6, v4
	v_addc_co_u32_e32 v7, vcc, v7, v5, vcc
	v_mov_b32_e32 v18, s1
	v_add_co_u32_e32 v6, vcc, s0, v6
	v_addc_co_u32_e32 v7, vcc, v7, v18, vcc
	v_add_co_u32_e32 v6, vcc, 8, v6
	v_addc_co_u32_e32 v7, vcc, 0, v7, vcc
	s_mov_b64 s[16:17], 0
	v_mov_b32_e32 v18, v8
.LBB24_5:                               ; =>This Inner Loop Header: Depth=1
	global_load_dwordx4 v[20:23], v[6:7], off offset:-8
	v_add_co_u32_e32 v6, vcc, 0x100, v6
	v_add_u32_e32 v18, 16, v18
	v_addc_co_u32_e32 v7, vcc, 0, v7, vcc
	v_cmp_ge_i32_e32 vcc, v18, v15
	s_or_b64 s[16:17], vcc, s[16:17]
	s_waitcnt vmcnt(0)
	v_lshlrev_b32_e32 v19, 16, v20
	v_and_b32_e32 v24, 0xffff0000, v20
	v_lshlrev_b32_e32 v25, 16, v21
	v_and_b32_e32 v26, 0xffff0000, v21
	v_max3_f32 v13, v13, |v19|, |v24|
	v_lshlrev_b32_e32 v27, 16, v22
	v_and_b32_e32 v28, 0xffff0000, v22
	v_max3_f32 v13, v13, |v25|, |v26|
	;; [unrolled: 3-line block ×3, first 2 shown]
	ds_write_b128 v17, v[20:23]
	v_add_u32_e32 v17, 0x100, v17
	v_max3_f32 v13, v13, |v29|, |v30|
	s_andn2_b64 exec, exec, s[16:17]
	s_cbranch_execnz .LBB24_5
; %bb.6:
	s_or_b64 exec, exec, s[16:17]
.LBB24_7:
	s_or_b64 exec, exec, s[14:15]
	v_lshl_add_u32 v6, v15, 3, v8
	v_cmp_lt_i32_e32 vcc, v6, v14
	s_and_saveexec_b64 s[14:15], vcc
	s_cbranch_execz .LBB24_11
; %bb.8:
	v_lshlrev_b32_e32 v7, 1, v9
	v_lshlrev_b32_e32 v15, 4, v15
	v_add3_u32 v7, v7, v15, v16
	v_lshlrev_b32_e32 v15, 1, v8
	v_add3_u32 v15, v7, v15, 0
	v_add_co_u32_e32 v4, vcc, v0, v4
	v_ashrrev_i32_e32 v7, 31, v6
	v_addc_co_u32_e32 v5, vcc, v1, v5, vcc
	v_lshlrev_b64 v[0:1], 1, v[6:7]
	v_add_co_u32_e32 v0, vcc, v4, v0
	v_addc_co_u32_e32 v1, vcc, v5, v1, vcc
	v_mov_b32_e32 v4, s1
	v_add_co_u32_e32 v0, vcc, s0, v0
	v_addc_co_u32_e32 v1, vcc, v4, v1, vcc
	s_mov_b64 s[16:17], 0
.LBB24_9:                               ; =>This Inner Loop Header: Depth=1
	global_load_ushort v4, v[0:1], off
	v_add_co_u32_e32 v0, vcc, 32, v0
	v_add_u32_e32 v6, 16, v6
	v_addc_co_u32_e32 v1, vcc, 0, v1, vcc
	v_max_f32_e32 v5, v13, v13
	v_cmp_ge_i32_e32 vcc, v6, v14
	s_or_b64 s[16:17], vcc, s[16:17]
	s_waitcnt vmcnt(0)
	v_lshlrev_b32_e32 v7, 16, v4
	ds_write_b16 v15, v4
	v_max_f32_e64 v4, |v7|, |v7|
	v_add_u32_e32 v15, 32, v15
	v_max_f32_e32 v13, v5, v4
	s_andn2_b64 exec, exec, s[16:17]
	s_cbranch_execnz .LBB24_9
; %bb.10:
	s_or_b64 exec, exec, s[16:17]
.LBB24_11:
	s_or_b64 exec, exec, s[14:15]
                                        ; implicit-def: $vgpr0_vgpr1
.LBB24_12:
	s_andn2_saveexec_b64 s[12:13], s[12:13]
	s_cbranch_execz .LBB24_18
; %bb.13:
	s_ashr_i32 s8, s20, 3
	v_cmp_gt_i32_e32 vcc, s8, v8
	v_mov_b32_e32 v13, s9
	s_and_saveexec_b64 s[14:15], vcc
	s_cbranch_execz .LBB24_17
; %bb.14:
	v_lshlrev_b32_e32 v5, 4, v8
	v_add_co_u32_e32 v0, vcc, v0, v5
	v_lshlrev_b32_e32 v4, 1, v9
	v_addc_co_u32_e32 v1, vcc, 0, v1, vcc
	v_add3_u32 v4, v4, v5, 0
	v_mov_b32_e32 v5, s1
	v_add_co_u32_e32 v0, vcc, s0, v0
	v_addc_co_u32_e32 v1, vcc, v1, v5, vcc
	v_add_co_u32_e32 v0, vcc, 8, v0
	v_addc_co_u32_e32 v1, vcc, 0, v1, vcc
	s_mov_b64 s[0:1], 0
	v_mov_b32_e32 v13, s9
	v_mov_b32_e32 v5, v8
.LBB24_15:                              ; =>This Inner Loop Header: Depth=1
	global_load_dwordx4 v[14:17], v[0:1], off offset:-8
	v_add_co_u32_e32 v0, vcc, 0x100, v0
	v_add_u32_e32 v5, 16, v5
	v_addc_co_u32_e32 v1, vcc, 0, v1, vcc
	v_cmp_le_i32_e32 vcc, s8, v5
	s_or_b64 s[0:1], vcc, s[0:1]
	s_waitcnt vmcnt(0)
	v_lshlrev_b32_e32 v6, 16, v14
	v_and_b32_e32 v7, 0xffff0000, v14
	v_lshlrev_b32_e32 v18, 16, v15
	v_and_b32_e32 v19, 0xffff0000, v15
	v_max3_f32 v6, v13, |v6|, |v7|
	v_lshlrev_b32_e32 v20, 16, v16
	v_and_b32_e32 v21, 0xffff0000, v16
	v_max3_f32 v6, v6, |v18|, |v19|
	;; [unrolled: 3-line block ×3, first 2 shown]
	ds_write_b128 v4, v[14:17]
	v_add_u32_e32 v4, 0x100, v4
	v_max3_f32 v13, v6, |v22|, |v23|
	s_andn2_b64 exec, exec, s[0:1]
	s_cbranch_execnz .LBB24_15
; %bb.16:
	s_or_b64 exec, exec, s[0:1]
.LBB24_17:
	s_or_b64 exec, exec, s[14:15]
.LBB24_18:
	s_or_b64 exec, exec, s[12:13]
	v_mbcnt_lo_u32_b32 v0, -1, 0
	v_mbcnt_hi_u32_b32 v0, -1, v0
	v_and_b32_e32 v4, 0x70, v0
	v_xor_b32_e32 v1, 8, v0
	v_add_u32_e32 v4, 16, v4
	v_cmp_lt_i32_e32 vcc, v1, v4
	v_cndmask_b32_e32 v1, v0, v1, vcc
	v_lshlrev_b32_e32 v1, 2, v1
	ds_bpermute_b32 v1, v1, v13
	v_xor_b32_e32 v6, 4, v0
	v_max_f32_e32 v5, v13, v13
	v_cmp_lt_i32_e32 vcc, v6, v4
	s_load_dwordx2 s[8:9], s[4:5], 0x8
	s_waitcnt lgkmcnt(0)
	v_max_f32_e32 v1, v1, v1
	v_max_f32_e32 v1, v5, v1
	v_cndmask_b32_e32 v5, v0, v6, vcc
	v_lshlrev_b32_e32 v5, 2, v5
	ds_bpermute_b32 v5, v5, v1
	v_xor_b32_e32 v6, 2, v0
	v_cmp_lt_i32_e32 vcc, v6, v4
	s_waitcnt lgkmcnt(0)
	v_max_f32_e32 v5, v5, v5
	v_max_f32_e32 v1, v1, v5
	v_cndmask_b32_e32 v5, v0, v6, vcc
	v_lshlrev_b32_e32 v5, 2, v5
	ds_bpermute_b32 v5, v5, v1
	v_xor_b32_e32 v6, 1, v0
	v_cmp_lt_i32_e32 vcc, v6, v4
	v_cndmask_b32_e32 v0, v0, v6, vcc
	v_lshlrev_b32_e32 v0, 2, v0
	s_waitcnt lgkmcnt(0)
	v_max_f32_e32 v5, v5, v5
	v_max_f32_e32 v1, v1, v5
	ds_bpermute_b32 v0, v0, v1
	s_waitcnt lgkmcnt(0)
	v_max_f32_e32 v0, v0, v0
	v_max_f32_e32 v0, v1, v0
	v_div_scale_f32 v1, s[0:1], s11, s11, v0
	v_rcp_f32_e32 v4, v1
	v_div_scale_f32 v5, vcc, v0, s11, v0
	s_mov_b32 s0, 0x2edbe6ff
	v_fma_f32 v6, -v1, v4, 1.0
	v_fmac_f32_e32 v4, v6, v4
	v_mul_f32_e32 v6, v5, v4
	v_fma_f32 v7, -v1, v6, v5
	v_fmac_f32_e32 v6, v7, v4
	v_fma_f32 v1, -v1, v6, v5
	v_div_fmas_f32 v1, v1, v4, v6
	v_div_fixup_f32 v0, v1, s11, v0
	v_max_f32_e64 v0, |v0|, s0
	s_mov_b32 s0, 0x800000
	v_mov_b32_e32 v1, 0x4f800000
	v_cmp_gt_f32_e32 vcc, s0, v0
	v_cndmask_b32_e32 v1, 1.0, v1, vcc
	v_mul_f32_e32 v0, v0, v1
	v_log_f32_e32 v0, v0
	v_mov_b32_e32 v1, 0x42000000
	v_cndmask_b32_e32 v1, 0, v1, vcc
	s_mov_b32 s0, 0xc2fc0000
	v_sub_f32_e32 v0, v0, v1
	v_ceil_f32_e32 v0, v0
	v_mov_b32_e32 v1, 0x42800000
	v_cmp_gt_f32_e32 vcc, s0, v0
	v_cndmask_b32_e32 v1, 0, v1, vcc
	v_add_f32_e32 v0, v0, v1
	v_exp_f32_e32 v0, v0
	v_mov_b32_e32 v1, 0x1f800000
	v_cndmask_b32_e32 v1, 1.0, v1, vcc
	v_cmp_eq_u32_e32 vcc, 0, v8
	v_mul_f32_e32 v0, v0, v1
	s_and_saveexec_b64 s[12:13], vcc
	s_cbranch_execz .LBB24_24
; %bb.19:
	s_load_dwordx2 s[4:5], s[4:5], 0x10
	s_ashr_i32 s0, s2, 31
	v_or_b32_e32 v5, s0, v12
	v_mov_b32_e32 v4, 0
	v_cmp_ne_u64_e32 vcc, 0, v[4:5]
                                        ; implicit-def: $vgpr4_vgpr5
	s_and_saveexec_b64 s[14:15], vcc
	s_xor_b64 s[14:15], exec, s[14:15]
	s_cbranch_execz .LBB24_21
; %bb.20:
	s_add_u32 s18, s2, s0
	s_mov_b32 s16, s0
	s_mov_b32 s17, s0
	s_addc_u32 s19, s0, s0
	s_xor_b64 s[18:19], s[18:19], s[16:17]
	v_cvt_f32_u32_e32 v1, s18
	v_cvt_f32_u32_e32 v4, s19
	s_sub_u32 s0, 0, s18
	s_subb_u32 s1, 0, s19
	v_madmk_f32 v1, v4, 0x4f800000, v1
	v_rcp_f32_e32 v1, v1
	v_mul_f32_e32 v1, 0x5f7ffffc, v1
	v_mul_f32_e32 v4, 0x2f800000, v1
	v_trunc_f32_e32 v4, v4
	v_madmk_f32 v1, v4, 0xcf800000, v1
	v_cvt_u32_f32_e32 v4, v4
	v_cvt_u32_f32_e32 v1, v1
	v_mul_lo_u32 v5, s0, v4
	v_mul_hi_u32 v7, s0, v1
	v_mul_lo_u32 v6, s1, v1
	v_add_u32_e32 v5, v7, v5
	v_mul_lo_u32 v13, s0, v1
	v_add_u32_e32 v5, v5, v6
	v_mul_lo_u32 v7, v1, v5
	v_mul_hi_u32 v14, v1, v13
	v_mul_hi_u32 v6, v1, v5
	v_add_co_u32_e32 v7, vcc, v14, v7
	v_addc_co_u32_e32 v6, vcc, 0, v6, vcc
	v_mul_hi_u32 v15, v4, v13
	v_mul_lo_u32 v13, v4, v13
	v_add_co_u32_e32 v7, vcc, v7, v13
	v_mul_hi_u32 v14, v4, v5
	v_addc_co_u32_e32 v6, vcc, v6, v15, vcc
	v_addc_co_u32_e32 v7, vcc, 0, v14, vcc
	v_mul_lo_u32 v5, v4, v5
	v_add_co_u32_e32 v5, vcc, v6, v5
	v_addc_co_u32_e32 v6, vcc, 0, v7, vcc
	v_add_co_u32_e32 v1, vcc, v1, v5
	v_addc_co_u32_e32 v4, vcc, v4, v6, vcc
	v_mul_lo_u32 v5, s0, v4
	v_mul_hi_u32 v6, s0, v1
	v_add_u32_e32 v5, v6, v5
	v_mul_lo_u32 v6, s1, v1
	v_add_u32_e32 v5, v5, v6
	v_mul_lo_u32 v7, s0, v1
	v_mul_hi_u32 v13, v4, v7
	v_mul_lo_u32 v14, v4, v7
	v_mul_lo_u32 v16, v1, v5
	v_mul_hi_u32 v7, v1, v7
	v_mul_hi_u32 v15, v1, v5
	v_add_co_u32_e32 v7, vcc, v7, v16
	v_addc_co_u32_e32 v15, vcc, 0, v15, vcc
	v_add_co_u32_e32 v7, vcc, v7, v14
	v_mul_hi_u32 v6, v4, v5
	v_addc_co_u32_e32 v7, vcc, v15, v13, vcc
	v_addc_co_u32_e32 v6, vcc, 0, v6, vcc
	v_mul_lo_u32 v5, v4, v5
	v_add_co_u32_e32 v5, vcc, v7, v5
	v_addc_co_u32_e32 v6, vcc, 0, v6, vcc
	v_add_co_u32_e32 v1, vcc, v1, v5
	v_addc_co_u32_e32 v6, vcc, v4, v6, vcc
	v_mad_u64_u32 v[4:5], s[0:1], v11, v6, 0
	v_mul_hi_u32 v7, v11, v1
	v_add_co_u32_e32 v13, vcc, v7, v4
	v_addc_co_u32_e32 v14, vcc, 0, v5, vcc
	v_mad_u64_u32 v[4:5], s[0:1], v12, v6, 0
	v_mad_u64_u32 v[6:7], s[0:1], v12, v1, 0
	v_add_co_u32_e32 v1, vcc, v13, v6
	v_addc_co_u32_e32 v1, vcc, v14, v7, vcc
	v_addc_co_u32_e32 v5, vcc, 0, v5, vcc
	v_add_co_u32_e32 v1, vcc, v1, v4
	v_addc_co_u32_e32 v4, vcc, 0, v5, vcc
	v_mul_lo_u32 v6, s19, v1
	v_mul_lo_u32 v7, s18, v4
	v_mad_u64_u32 v[4:5], s[0:1], s18, v1, 0
	v_add3_u32 v5, v5, v7, v6
	v_sub_u32_e32 v6, v12, v5
	v_mov_b32_e32 v7, s19
	v_sub_co_u32_e32 v4, vcc, v11, v4
	v_subb_co_u32_e64 v6, s[0:1], v6, v7, vcc
	v_subrev_co_u32_e64 v7, s[0:1], s18, v4
	v_subbrev_co_u32_e64 v6, s[0:1], 0, v6, s[0:1]
	v_cmp_le_u32_e64 s[0:1], s19, v6
	v_subb_co_u32_e32 v5, vcc, v12, v5, vcc
	v_cndmask_b32_e64 v13, 0, -1, s[0:1]
	v_cmp_le_u32_e64 s[0:1], s18, v7
	v_cmp_le_u32_e32 vcc, s19, v5
	v_cndmask_b32_e64 v7, 0, -1, s[0:1]
	v_cmp_eq_u32_e64 s[0:1], s19, v6
	v_cndmask_b32_e64 v12, 0, -1, vcc
	v_cmp_le_u32_e32 vcc, s18, v4
	v_cndmask_b32_e64 v6, v13, v7, s[0:1]
	v_cndmask_b32_e64 v4, 0, -1, vcc
	v_cmp_eq_u32_e32 vcc, s19, v5
	v_add_co_u32_e64 v7, s[0:1], 2, v1
	v_add_co_u32_e64 v13, s[0:1], 1, v1
	v_cndmask_b32_e32 v4, v12, v4, vcc
	v_cmp_ne_u32_e32 vcc, 0, v6
	v_cndmask_b32_e32 v5, v13, v7, vcc
	v_cmp_ne_u32_e32 vcc, 0, v4
	v_cndmask_b32_e32 v1, v1, v5, vcc
	v_xor_b32_e32 v1, s16, v1
	v_subrev_co_u32_e32 v4, vcc, s16, v1
.LBB24_21:
	s_andn2_saveexec_b64 s[0:1], s[14:15]
	s_cbranch_execz .LBB24_23
; %bb.22:
	v_cvt_f32_u32_e32 v1, s2
	s_sub_i32 s14, 0, s2
	v_rcp_iflag_f32_e32 v1, v1
	v_mul_f32_e32 v1, 0x4f7ffffe, v1
	v_cvt_u32_f32_e32 v1, v1
	v_mul_lo_u32 v4, s14, v1
	v_mul_hi_u32 v4, v1, v4
	v_add_u32_e32 v1, v1, v4
	v_mul_hi_u32 v1, v11, v1
	v_mul_lo_u32 v4, v1, s2
	v_sub_u32_e32 v4, v11, v4
	v_add_u32_e32 v5, 1, v1
	v_subrev_u32_e32 v6, s2, v4
	v_cmp_le_u32_e32 vcc, s2, v4
	v_cndmask_b32_e32 v4, v4, v6, vcc
	v_cndmask_b32_e32 v1, v1, v5, vcc
	v_add_u32_e32 v5, 1, v1
	v_cmp_le_u32_e32 vcc, s2, v4
	v_cndmask_b32_e32 v4, v1, v5, vcc
.LBB24_23:
	s_or_b64 exec, exec, s[0:1]
	v_mul_lo_u32 v1, v4, s2
	v_sub_u32_e32 v1, v11, v1
	v_mad_u64_u32 v[4:5], s[0:1], v1, s3, v[4:5]
	v_ashrrev_i32_e32 v5, 31, v4
	v_lshlrev_b64 v[4:5], 2, v[4:5]
	s_waitcnt lgkmcnt(0)
	v_mov_b32_e32 v1, s5
	v_add_co_u32_e32 v4, vcc, s4, v4
	v_addc_co_u32_e32 v5, vcc, v1, v5, vcc
	global_store_dword v[4:5], v0, off
.LBB24_24:
	s_or_b64 exec, exec, s[12:13]
	v_and_b32_e32 v4, 15, v10
	v_mov_b32_e32 v5, 0
	v_cmp_ne_u64_e32 vcc, 0, v[4:5]
	s_xor_b64 s[0:1], s[6:7], -1
	s_or_b64 s[0:1], s[0:1], vcc
	s_barrier
	s_and_saveexec_b64 s[2:3], s[0:1]
	s_xor_b64 s[12:13], exec, s[2:3]
	s_cbranch_execz .LBB24_41
; %bb.25:
	v_sub_u32_e32 v5, 0, v10
	v_mov_b32_e32 v4, s9
	v_add_co_u32_e32 v1, vcc, s8, v2
	v_bfe_u32 v5, v5, 1, 3
	v_addc_co_u32_e32 v4, vcc, v4, v3, vcc
	v_min_i32_e32 v11, s20, v5
	v_cmp_gt_i32_e32 vcc, v11, v8
	s_and_saveexec_b64 s[0:1], vcc
	s_cbranch_execz .LBB24_27
; %bb.26:
	v_lshl_add_u32 v5, v8, 1, v10
	ds_read_u16 v5, v5
	v_max_f32_e64 v6, s10, s10
	v_max_f32_e64 v12, s11, s11
	s_waitcnt lgkmcnt(0)
	v_lshlrev_b32_e32 v5, 16, v5
	v_div_scale_f32 v7, s[2:3], v0, v0, v5
	v_rcp_f32_e32 v10, v7
	v_div_scale_f32 v13, vcc, v5, v0, v5
	v_fma_f32 v14, -v7, v10, 1.0
	v_fmac_f32_e32 v10, v14, v10
	v_mul_f32_e32 v14, v13, v10
	v_fma_f32 v15, -v7, v14, v13
	v_fmac_f32_e32 v14, v15, v10
	v_fma_f32 v7, -v7, v14, v13
	v_div_fmas_f32 v7, v7, v10, v14
	v_div_fixup_f32 v5, v7, v0, v5
	v_max_f32_e32 v5, v5, v6
	v_min_f32_e32 v5, v5, v12
	v_cvt_i32_f32_e32 v5, v5
	v_add_co_u32_e32 v6, vcc, v1, v8
	v_addc_co_u32_e32 v7, vcc, 0, v4, vcc
	global_store_byte v[6:7], v5, off
.LBB24_27:
	s_or_b64 exec, exec, s[0:1]
	v_sub_u32_e32 v18, s20, v11
	v_ashrrev_i32_e32 v6, 31, v18
	v_lshrrev_b32_e32 v6, 29, v6
	v_add_u32_e32 v6, v18, v6
	v_ashrrev_i32_e32 v10, 3, v6
	v_ashrrev_i32_e32 v5, 31, v11
	v_cmp_gt_i32_e32 vcc, v10, v8
	v_lshlrev_b32_e32 v19, 1, v11
	s_and_saveexec_b64 s[0:1], vcc
	s_cbranch_execz .LBB24_30
; %bb.28:
	v_lshlrev_b32_e32 v6, 4, v8
	v_lshl_add_u32 v6, v9, 1, v6
	v_lshlrev_b32_e32 v7, 1, v11
	v_add_co_u32_e32 v2, vcc, v11, v2
	v_add3_u32 v6, v6, v7, 0
	v_addc_co_u32_e32 v3, vcc, v5, v3, vcc
	v_lshlrev_b32_e32 v7, 3, v8
	v_add_co_u32_e32 v2, vcc, v2, v7
	v_addc_co_u32_e32 v3, vcc, 0, v3, vcc
	v_mov_b32_e32 v7, s9
	v_add_co_u32_e32 v2, vcc, s8, v2
	v_addc_co_u32_e32 v3, vcc, v7, v3, vcc
	s_mov_b64 s[2:3], 0
	v_max_f32_e64 v7, s10, s10
	v_max_f32_e64 v12, s11, s11
	v_mov_b32_e32 v13, 8
	v_mov_b32_e32 v14, v8
.LBB24_29:                              ; =>This Inner Loop Header: Depth=1
	ds_read_b128 v[20:23], v6
	v_add_u32_e32 v14, 16, v14
	v_add_u32_e32 v6, 0x100, v6
	s_waitcnt lgkmcnt(0)
	v_lshlrev_b32_e32 v15, 16, v20
	v_div_scale_f32 v16, s[4:5], v0, v0, v15
	v_rcp_f32_e32 v17, v16
	v_fma_f32 v24, -v16, v17, 1.0
	v_fmac_f32_e32 v17, v24, v17
	v_div_scale_f32 v24, vcc, v15, v0, v15
	v_mul_f32_e32 v25, v24, v17
	v_fma_f32 v26, -v16, v25, v24
	v_fmac_f32_e32 v25, v26, v17
	v_fma_f32 v16, -v16, v25, v24
	v_div_fmas_f32 v16, v16, v17, v25
	v_div_fixup_f32 v15, v16, v0, v15
	v_and_b32_e32 v16, 0xffff0000, v20
	v_div_scale_f32 v17, s[4:5], v0, v0, v16
	v_rcp_f32_e32 v20, v17
	v_max_f32_e32 v15, v15, v7
	v_min_f32_e32 v15, v15, v12
	v_cvt_i32_f32_e32 v15, v15
	v_fma_f32 v24, -v17, v20, 1.0
	v_fmac_f32_e32 v20, v24, v20
	v_div_scale_f32 v24, vcc, v16, v0, v16
	v_mul_f32_e32 v25, v24, v20
	v_fma_f32 v26, -v17, v25, v24
	v_fmac_f32_e32 v25, v26, v20
	v_fma_f32 v17, -v17, v25, v24
	v_div_fmas_f32 v17, v17, v20, v25
	v_div_fixup_f32 v16, v17, v0, v16
	v_lshlrev_b32_e32 v17, 16, v21
	v_div_scale_f32 v20, s[4:5], v0, v0, v17
	v_rcp_f32_e32 v24, v20
	v_max_f32_e32 v16, v16, v7
	v_min_f32_e32 v16, v16, v12
	v_cvt_i32_f32_e32 v16, v16
	v_fma_f32 v25, -v20, v24, 1.0
	v_fmac_f32_e32 v24, v25, v24
	v_div_scale_f32 v25, vcc, v17, v0, v17
	v_mul_f32_e32 v26, v25, v24
	v_fma_f32 v27, -v20, v26, v25
	v_fmac_f32_e32 v26, v27, v24
	v_fma_f32 v20, -v20, v26, v25
	v_div_fmas_f32 v20, v20, v24, v26
	v_div_fixup_f32 v17, v20, v0, v17
	v_max_f32_e32 v17, v17, v7
	v_min_f32_e32 v17, v17, v12
	v_cvt_i32_f32_e32 v20, v17
	v_and_b32_e32 v17, 0xffff0000, v21
	v_div_scale_f32 v21, s[4:5], v0, v0, v17
	v_rcp_f32_e32 v24, v21
	v_and_b32_e32 v20, 0xff, v20
	v_lshlrev_b32_e32 v20, 16, v20
	v_lshlrev_b32_sdwa v16, v13, v16 dst_sel:DWORD dst_unused:UNUSED_PAD src0_sel:DWORD src1_sel:BYTE_0
	v_fma_f32 v25, -v21, v24, 1.0
	v_fmac_f32_e32 v24, v25, v24
	v_div_scale_f32 v25, vcc, v17, v0, v17
	v_mul_f32_e32 v26, v25, v24
	v_fma_f32 v27, -v21, v26, v25
	v_fmac_f32_e32 v26, v27, v24
	v_fma_f32 v21, -v21, v26, v25
	v_div_fmas_f32 v21, v21, v24, v26
	v_div_fixup_f32 v17, v21, v0, v17
	v_max_f32_e32 v17, v17, v7
	v_min_f32_e32 v17, v17, v12
	v_cvt_i32_f32_sdwa v21, v17 dst_sel:BYTE_3 dst_unused:UNUSED_PAD src0_sel:DWORD
	v_lshlrev_b32_e32 v17, 16, v22
	v_div_scale_f32 v24, s[4:5], v0, v0, v17
	v_rcp_f32_e32 v25, v24
	v_and_b32_e32 v22, 0xffff0000, v22
	v_or3_b32 v16, v21, v20, v16
	v_or_b32_sdwa v16, v16, v15 dst_sel:DWORD dst_unused:UNUSED_PAD src0_sel:DWORD src1_sel:BYTE_0
	v_fma_f32 v26, -v24, v25, 1.0
	v_fmac_f32_e32 v25, v26, v25
	v_div_scale_f32 v26, vcc, v17, v0, v17
	v_mul_f32_e32 v27, v26, v25
	v_fma_f32 v28, -v24, v27, v26
	v_fmac_f32_e32 v27, v28, v25
	v_fma_f32 v24, -v24, v27, v26
	v_div_fmas_f32 v24, v24, v25, v27
	v_div_fixup_f32 v17, v24, v0, v17
	v_div_scale_f32 v24, s[4:5], v0, v0, v22
	v_rcp_f32_e32 v25, v24
	v_max_f32_e32 v17, v17, v7
	v_min_f32_e32 v17, v17, v12
	v_cvt_i32_f32_e32 v17, v17
	v_fma_f32 v26, -v24, v25, 1.0
	v_fmac_f32_e32 v25, v26, v25
	v_div_scale_f32 v26, vcc, v22, v0, v22
	v_mul_f32_e32 v27, v26, v25
	v_fma_f32 v28, -v24, v27, v26
	v_fmac_f32_e32 v27, v28, v25
	v_fma_f32 v24, -v24, v27, v26
	v_div_fmas_f32 v24, v24, v25, v27
	v_div_fixup_f32 v22, v24, v0, v22
	v_lshlrev_b32_e32 v24, 16, v23
	v_div_scale_f32 v25, s[4:5], v0, v0, v24
	v_rcp_f32_e32 v26, v25
	v_and_b32_e32 v23, 0xffff0000, v23
	v_max_f32_e32 v22, v22, v7
	v_min_f32_e32 v22, v22, v12
	v_fma_f32 v27, -v25, v26, 1.0
	v_fmac_f32_e32 v26, v27, v26
	v_div_scale_f32 v27, vcc, v24, v0, v24
	v_mul_f32_e32 v28, v27, v26
	v_fma_f32 v29, -v25, v28, v27
	v_fmac_f32_e32 v28, v29, v26
	v_fma_f32 v25, -v25, v28, v27
	v_div_fmas_f32 v25, v25, v26, v28
	v_div_fixup_f32 v24, v25, v0, v24
	v_div_scale_f32 v25, s[4:5], v0, v0, v23
	v_rcp_f32_e32 v26, v25
	v_max_f32_e32 v24, v24, v7
	v_min_f32_e32 v24, v24, v12
	v_cvt_i32_f32_e32 v24, v24
	v_fma_f32 v27, -v25, v26, 1.0
	v_fmac_f32_e32 v26, v27, v26
	v_div_scale_f32 v27, vcc, v23, v0, v23
	v_mul_f32_e32 v28, v27, v26
	v_fma_f32 v29, -v25, v28, v27
	v_fmac_f32_e32 v28, v29, v26
	v_fma_f32 v25, -v25, v28, v27
	v_div_fmas_f32 v25, v25, v26, v28
	v_div_fixup_f32 v23, v25, v0, v23
	v_max_f32_e32 v23, v23, v7
	v_min_f32_e32 v23, v23, v12
	v_cvt_i32_f32_e32 v22, v22
	v_cvt_i32_f32_sdwa v23, v23 dst_sel:BYTE_3 dst_unused:UNUSED_PAD src0_sel:DWORD
	v_and_b32_e32 v24, 0xff, v24
	v_lshlrev_b32_e32 v24, 16, v24
	v_lshlrev_b32_sdwa v22, v13, v22 dst_sel:DWORD dst_unused:UNUSED_PAD src0_sel:DWORD src1_sel:BYTE_0
	v_or_b32_e32 v23, v23, v24
	v_and_b32_e32 v17, 0xff, v17
	v_or3_b32 v17, v23, v22, v17
	global_store_dwordx2 v[2:3], v[16:17], off
	v_add_co_u32_e32 v2, vcc, 0x80, v2
	v_addc_co_u32_e32 v3, vcc, 0, v3, vcc
	v_cmp_ge_i32_e32 vcc, v14, v10
	s_or_b64 s[2:3], vcc, s[2:3]
	s_andn2_b64 exec, exec, s[2:3]
	s_cbranch_execnz .LBB24_29
.LBB24_30:
	s_or_b64 exec, exec, s[0:1]
	v_lshlrev_b32_e32 v6, 3, v10
	v_add_u32_e32 v2, v6, v8
	v_cmp_lt_i32_e32 vcc, v2, v18
	s_and_saveexec_b64 s[14:15], vcc
	s_cbranch_execz .LBB24_40
; %bb.31:
	v_add_u32_e32 v3, 16, v2
	v_add_co_u32_e32 v20, vcc, v1, v11
	v_max_i32_e32 v1, v3, v18
	v_xad_u32 v1, v8, -1, v1
	v_addc_co_u32_e32 v21, vcc, v4, v5, vcc
	v_sub_u32_e32 v1, v1, v6
	v_cmp_lt_u32_e32 vcc, 47, v1
	s_mov_b64 s[0:1], 0
                                        ; implicit-def: $vgpr22
	s_and_saveexec_b64 s[2:3], vcc
	s_xor_b64 s[16:17], exec, s[2:3]
	s_cbranch_execnz .LBB24_34
; %bb.32:
	s_andn2_saveexec_b64 s[2:3], s[16:17]
	s_cbranch_execnz .LBB24_37
.LBB24_33:
	s_or_b64 exec, exec, s[2:3]
	s_and_b64 exec, exec, s[0:1]
	s_cbranch_execnz .LBB24_38
	s_branch .LBB24_40
.LBB24_34:
	v_lshrrev_b32_e32 v1, 4, v1
	v_lshlrev_b32_e32 v22, 1, v9
	v_lshlrev_b32_e32 v9, 4, v10
	;; [unrolled: 1-line block ×3, first 2 shown]
	v_add_u32_e32 v23, 1, v1
	v_add_u32_e32 v5, 48, v2
	;; [unrolled: 1-line block ×3, first 2 shown]
	v_add3_u32 v9, v22, v9, v19
	v_lshlrev_b32_e32 v8, 1, v8
	v_and_b32_e32 v24, 0x1ffffffc, v23
	s_mov_b32 s0, s10
	s_mov_b32 s1, s10
	s_mov_b32 s2, s10
	s_mov_b32 s3, s10
	s_mov_b32 s4, s11
	s_mov_b32 s5, s11
	s_mov_b32 s6, s11
	s_mov_b32 s7, s11
	v_add3_u32 v25, v9, v8, 0
	v_pk_mov_b32 v[10:11], v[4:5], v[4:5] op_sel:[0,1]
	v_mov_b32_e32 v1, v0
	v_mov_b32_e32 v6, v0
	;; [unrolled: 1-line block ×3, first 2 shown]
	s_mov_b64 s[18:19], 0
	v_max_f32_e64 v26, s3, s3
	v_max_f32_e64 v27, s2, s2
	;; [unrolled: 1-line block ×8, first 2 shown]
	v_mov_b32_e32 v34, v24
	v_pk_mov_b32 v[8:9], v[2:3], v[2:3] op_sel:[0,1]
.LBB24_35:                              ; =>This Inner Loop Header: Depth=1
	ds_read_u16 v35, v25
	ds_read_u16 v36, v25 offset:32
	ds_read_u16 v37, v25 offset:64
	;; [unrolled: 1-line block ×3, first 2 shown]
	v_ashrrev_i32_e32 v3, 31, v11
	v_ashrrev_i32_e32 v13, 31, v10
	;; [unrolled: 1-line block ×4, first 2 shown]
	v_add_co_u32_e32 v4, vcc, v20, v9
	v_add_co_u32_e64 v12, s[0:1], v20, v10
	v_add_co_u32_e64 v14, s[2:3], v20, v11
	;; [unrolled: 1-line block ×3, first 2 shown]
	s_waitcnt lgkmcnt(3)
	v_lshlrev_b32_e32 v35, 16, v35
	v_addc_co_u32_e64 v17, s[4:5], v21, v15, s[4:5]
	v_addc_co_u32_e32 v5, vcc, v21, v5, vcc
	v_addc_co_u32_e64 v13, vcc, v21, v13, s[0:1]
	v_addc_co_u32_e64 v15, vcc, v21, v3, s[2:3]
	s_waitcnt lgkmcnt(0)
	v_lshlrev_b32_e32 v3, 16, v38
	v_lshlrev_b32_e32 v36, 16, v36
	v_div_scale_f32 v38, s[0:1], v0, v0, v35
	v_lshlrev_b32_e32 v37, 16, v37
	v_div_scale_f32 v40, s[0:1], v1, v1, v36
	v_rcp_f32_e32 v46, v38
	v_div_scale_f32 v42, s[2:3], v6, v6, v37
	v_div_scale_f32 v44, s[4:5], v7, v7, v3
	v_rcp_f32_e32 v47, v40
	v_rcp_f32_e32 v48, v42
	;; [unrolled: 1-line block ×3, first 2 shown]
	v_fma_f32 v50, -v38, v46, 1.0
	v_div_scale_f32 v39, vcc, v35, v0, v35
	v_fma_f32 v51, -v40, v47, 1.0
	v_fmac_f32_e32 v46, v50, v46
	v_div_scale_f32 v41, s[0:1], v36, v1, v36
	v_fma_f32 v52, -v42, v48, 1.0
	v_fma_f32 v53, -v44, v49, 1.0
	v_fmac_f32_e32 v47, v51, v47
	v_mul_f32_e32 v50, v39, v46
	v_div_scale_f32 v43, s[2:3], v37, v6, v37
	v_fmac_f32_e32 v48, v52, v48
	v_fmac_f32_e32 v49, v53, v49
	v_mul_f32_e32 v51, v41, v47
	v_fma_f32 v53, -v38, v50, v39
	v_mul_f32_e32 v52, v43, v48
	v_fmac_f32_e32 v50, v53, v46
	v_fma_f32 v53, -v40, v51, v41
	v_div_scale_f32 v45, s[4:5], v3, v7, v3
	v_fmac_f32_e32 v51, v53, v47
	v_fma_f32 v53, -v42, v52, v43
	v_fmac_f32_e32 v52, v53, v48
	v_mul_f32_e32 v53, v45, v49
	v_fma_f32 v38, -v38, v50, v39
	v_fma_f32 v54, -v44, v53, v45
	;; [unrolled: 1-line block ×3, first 2 shown]
	v_div_fmas_f32 v38, v38, v46, v50
	s_mov_b64 vcc, s[0:1]
	v_fmac_f32_e32 v53, v54, v49
	v_fma_f32 v40, -v42, v52, v43
	v_div_fixup_f32 v35, v38, v0, v35
	v_div_fmas_f32 v38, v39, v47, v51
	s_mov_b64 vcc, s[2:3]
	v_fma_f32 v41, -v44, v53, v45
	v_div_fixup_f32 v36, v38, v1, v36
	v_div_fmas_f32 v38, v40, v48, v52
	s_mov_b64 vcc, s[4:5]
	v_div_fixup_f32 v37, v38, v6, v37
	v_div_fmas_f32 v38, v41, v49, v53
	v_div_fixup_f32 v3, v38, v7, v3
	v_max_f32_e32 v35, v35, v29
	v_max_f32_e32 v36, v36, v28
	;; [unrolled: 1-line block ×4, first 2 shown]
	v_min_f32_e32 v35, v35, v30
	v_min_f32_e32 v36, v36, v31
	;; [unrolled: 1-line block ×4, first 2 shown]
	v_cvt_i32_f32_e32 v35, v35
	v_cvt_i32_f32_sdwa v36, v36 dst_sel:BYTE_1 dst_unused:UNUSED_PAD src0_sel:DWORD
	v_cvt_i32_f32_e32 v37, v37
	v_cvt_i32_f32_sdwa v3, v3 dst_sel:BYTE_1 dst_unused:UNUSED_PAD src0_sel:DWORD
	v_add_u32_e32 v34, -4, v34
	v_cmp_eq_u32_e64 s[6:7], 0, v34
	global_store_byte v[16:17], v35, off
	v_lshrrev_b32_e32 v16, 8, v36
	v_or_b32_sdwa v3, v37, v3 dst_sel:DWORD dst_unused:UNUSED_PAD src0_sel:BYTE_0 src1_sel:DWORD
	v_add_u32_e32 v11, 64, v11
	v_add_u32_e32 v10, 64, v10
	;; [unrolled: 1-line block ×5, first 2 shown]
	s_or_b64 s[18:19], s[6:7], s[18:19]
	global_store_byte v[4:5], v16, off
	global_store_byte v[12:13], v3, off
	v_lshrrev_b32_e32 v3, 8, v3
	global_store_byte v[14:15], v3, off
	s_andn2_b64 exec, exec, s[18:19]
	s_cbranch_execnz .LBB24_35
; %bb.36:
	s_or_b64 exec, exec, s[18:19]
	v_cmp_ne_u32_e32 vcc, v23, v24
	v_lshl_add_u32 v2, v24, 4, v2
	s_and_b64 s[0:1], vcc, exec
                                        ; implicit-def: $vgpr9
	s_andn2_saveexec_b64 s[2:3], s[16:17]
	s_cbranch_execz .LBB24_33
.LBB24_37:
	v_lshlrev_b32_e32 v22, 1, v9
	s_or_b64 s[0:1], s[0:1], exec
	s_or_b64 exec, exec, s[2:3]
	s_and_b64 exec, exec, s[0:1]
	s_cbranch_execz .LBB24_40
.LBB24_38:
	v_lshl_add_u32 v1, v2, 1, v22
	v_add3_u32 v3, v1, v19, 0
	v_ashrrev_i32_e32 v1, 31, v2
	s_mov_b64 s[2:3], 0
	v_max_f32_e64 v4, s10, s10
	v_max_f32_e64 v5, s11, s11
.LBB24_39:                              ; =>This Inner Loop Header: Depth=1
	ds_read_u16 v8, v3
	v_add_co_u32_e32 v6, vcc, v20, v2
	v_addc_co_u32_e32 v7, vcc, v21, v1, vcc
	s_waitcnt lgkmcnt(0)
	v_lshlrev_b32_e32 v8, 16, v8
	v_div_scale_f32 v9, s[4:5], v0, v0, v8
	v_rcp_f32_e32 v10, v9
	v_div_scale_f32 v11, vcc, v8, v0, v8
	v_add_co_u32_e64 v2, s[0:1], 16, v2
	v_fma_f32 v12, -v9, v10, 1.0
	v_fmac_f32_e32 v10, v12, v10
	v_mul_f32_e32 v12, v11, v10
	v_fma_f32 v13, -v9, v12, v11
	v_fmac_f32_e32 v12, v13, v10
	v_fma_f32 v9, -v9, v12, v11
	v_div_fmas_f32 v9, v9, v10, v12
	v_div_fixup_f32 v8, v9, v0, v8
	v_max_f32_e32 v8, v8, v4
	v_min_f32_e32 v8, v8, v5
	v_cvt_i32_f32_e32 v8, v8
	v_addc_co_u32_e64 v1, vcc, 0, v1, s[0:1]
	v_cmp_ge_i32_e32 vcc, v2, v18
	v_add_u32_e32 v3, 32, v3
	s_or_b64 s[2:3], vcc, s[2:3]
	global_store_byte v[6:7], v8, off
	s_andn2_b64 exec, exec, s[2:3]
	s_cbranch_execnz .LBB24_39
.LBB24_40:
	s_or_b64 exec, exec, s[14:15]
                                        ; implicit-def: $vgpr8
                                        ; implicit-def: $vgpr0
                                        ; implicit-def: $vgpr9
                                        ; implicit-def: $vgpr2_vgpr3
.LBB24_41:
	s_andn2_saveexec_b64 s[0:1], s[12:13]
	s_cbranch_execz .LBB24_45
; %bb.42:
	s_ashr_i32 s16, s20, 3
	v_cmp_gt_i32_e32 vcc, s16, v8
	s_and_saveexec_b64 s[0:1], vcc
	s_cbranch_execz .LBB24_45
; %bb.43:
	v_lshlrev_b32_e32 v1, 1, v9
	v_lshlrev_b32_e32 v4, 4, v8
	v_add3_u32 v1, v1, v4, 0
	v_lshlrev_b32_e32 v4, 3, v8
	v_add_co_u32_e32 v2, vcc, v2, v4
	v_addc_co_u32_e32 v3, vcc, 0, v3, vcc
	v_mov_b32_e32 v4, s9
	v_add_co_u32_e32 v6, vcc, s8, v2
	v_addc_co_u32_e32 v7, vcc, v4, v3, vcc
	s_mov_b64 s[14:15], 0
	v_max_f32_e64 v9, s10, s10
	v_max_f32_e64 v10, s11, s11
	v_mov_b32_e32 v11, 8
.LBB24_44:                              ; =>This Inner Loop Header: Depth=1
	ds_read_b128 v[2:5], v1
	v_add_u32_e32 v8, 16, v8
	v_cmp_le_i32_e32 vcc, s16, v8
	s_or_b64 s[14:15], vcc, s[14:15]
	v_add_u32_e32 v1, 0x100, v1
	s_waitcnt lgkmcnt(0)
	v_lshlrev_b32_e32 v12, 16, v2
	v_and_b32_e32 v2, 0xffff0000, v2
	v_div_scale_f32 v16, s[0:1], v0, v0, v12
	v_lshlrev_b32_e32 v13, 16, v3
	v_div_scale_f32 v18, s[0:1], v0, v0, v2
	v_rcp_f32_e32 v32, v16
	v_and_b32_e32 v3, 0xffff0000, v3
	v_div_scale_f32 v20, s[2:3], v0, v0, v13
	v_rcp_f32_e32 v33, v18
	v_lshlrev_b32_e32 v14, 16, v4
	v_div_scale_f32 v22, s[4:5], v0, v0, v3
	v_rcp_f32_e32 v34, v20
	v_and_b32_e32 v4, 0xffff0000, v4
	v_div_scale_f32 v24, s[6:7], v0, v0, v14
	v_rcp_f32_e32 v35, v22
	v_lshlrev_b32_e32 v15, 16, v5
	v_div_scale_f32 v26, s[8:9], v0, v0, v4
	v_rcp_f32_e32 v36, v24
	v_fma_f32 v40, -v16, v32, 1.0
	v_div_scale_f32 v17, vcc, v12, v0, v12
	v_div_scale_f32 v28, s[10:11], v0, v0, v15
	v_rcp_f32_e32 v37, v26
	v_fma_f32 v41, -v18, v33, 1.0
	v_fmac_f32_e32 v32, v40, v32
	v_and_b32_e32 v5, 0xffff0000, v5
	v_div_scale_f32 v19, s[0:1], v2, v0, v2
	v_rcp_f32_e32 v38, v28
	v_fma_f32 v42, -v20, v34, 1.0
	v_fmac_f32_e32 v33, v41, v33
	v_mul_f32_e32 v40, v17, v32
	v_div_scale_f32 v21, s[2:3], v13, v0, v13
	v_div_scale_f32 v30, s[12:13], v0, v0, v5
	v_fma_f32 v43, -v22, v35, 1.0
	v_fmac_f32_e32 v34, v42, v34
	v_mul_f32_e32 v41, v19, v33
	v_fma_f32 v48, -v16, v40, v17
	v_div_scale_f32 v23, s[4:5], v3, v0, v3
	v_rcp_f32_e32 v39, v30
	v_fma_f32 v44, -v24, v36, 1.0
	v_fmac_f32_e32 v35, v43, v35
	v_mul_f32_e32 v42, v21, v34
	v_fma_f32 v49, -v18, v41, v19
	v_fmac_f32_e32 v40, v48, v32
	v_div_scale_f32 v25, s[6:7], v14, v0, v14
	v_fma_f32 v45, -v26, v37, 1.0
	v_fmac_f32_e32 v36, v44, v36
	v_mul_f32_e32 v43, v23, v35
	v_fma_f32 v50, -v20, v42, v21
	v_fmac_f32_e32 v41, v49, v33
	v_fma_f32 v16, -v16, v40, v17
	v_div_scale_f32 v27, s[8:9], v4, v0, v4
	v_fma_f32 v46, -v28, v38, 1.0
	v_fmac_f32_e32 v37, v45, v37
	v_mul_f32_e32 v44, v25, v36
	v_fma_f32 v51, -v22, v43, v23
	v_fmac_f32_e32 v42, v50, v34
	v_fma_f32 v17, -v18, v41, v19
	v_div_fmas_f32 v16, v16, v32, v40
	s_mov_b64 vcc, s[0:1]
	v_div_scale_f32 v29, s[10:11], v15, v0, v15
	v_fmac_f32_e32 v38, v46, v38
	v_mul_f32_e32 v45, v27, v37
	v_fma_f32 v52, -v24, v44, v25
	v_fmac_f32_e32 v43, v51, v35
	v_fma_f32 v18, -v20, v42, v21
	v_div_fixup_f32 v12, v16, v0, v12
	v_div_fmas_f32 v16, v17, v33, v41
	s_mov_b64 vcc, s[2:3]
	v_fma_f32 v47, -v30, v39, 1.0
	v_mul_f32_e32 v46, v29, v38
	v_fma_f32 v53, -v26, v45, v27
	v_fmac_f32_e32 v44, v52, v36
	v_fma_f32 v19, -v22, v43, v23
	v_div_fixup_f32 v2, v16, v0, v2
	v_div_fmas_f32 v16, v18, v34, v42
	s_mov_b64 vcc, s[4:5]
	v_div_scale_f32 v31, s[12:13], v5, v0, v5
	v_fmac_f32_e32 v39, v47, v39
	v_fma_f32 v54, -v28, v46, v29
	v_fmac_f32_e32 v45, v53, v37
	v_fma_f32 v20, -v24, v44, v25
	v_div_fixup_f32 v13, v16, v0, v13
	v_div_fmas_f32 v16, v19, v35, v43
	s_mov_b64 vcc, s[6:7]
	v_mul_f32_e32 v47, v31, v39
	v_fmac_f32_e32 v46, v54, v38
	v_fma_f32 v21, -v26, v45, v27
	v_div_fixup_f32 v3, v16, v0, v3
	v_div_fmas_f32 v16, v20, v36, v44
	s_mov_b64 vcc, s[8:9]
	v_fma_f32 v55, -v30, v47, v31
	v_fma_f32 v22, -v28, v46, v29
	v_div_fixup_f32 v14, v16, v0, v14
	v_div_fmas_f32 v16, v21, v37, v45
	s_mov_b64 vcc, s[10:11]
	v_fmac_f32_e32 v47, v55, v39
	v_max_f32_e32 v13, v13, v9
	v_div_fixup_f32 v4, v16, v0, v4
	v_div_fmas_f32 v16, v22, v38, v46
	v_fma_f32 v23, -v30, v47, v31
	v_max_f32_e32 v2, v2, v9
	v_min_f32_e32 v13, v13, v10
	v_div_fixup_f32 v15, v16, v0, v15
	s_mov_b64 vcc, s[12:13]
	v_min_f32_e32 v2, v2, v10
	v_max_f32_e32 v3, v3, v9
	v_cvt_i32_f32_e32 v13, v13
	v_max_f32_e32 v4, v4, v9
	v_div_fmas_f32 v16, v23, v39, v47
	v_max_f32_e32 v15, v15, v9
	v_cvt_i32_f32_e32 v2, v2
	v_min_f32_e32 v3, v3, v10
	v_min_f32_e32 v4, v4, v10
	v_div_fixup_f32 v5, v16, v0, v5
	v_min_f32_e32 v15, v15, v10
	v_max_f32_e32 v14, v14, v9
	v_cvt_i32_f32_sdwa v3, v3 dst_sel:BYTE_3 dst_unused:UNUSED_PAD src0_sel:DWORD
	v_cvt_i32_f32_e32 v4, v4
	v_max_f32_e32 v5, v5, v9
	v_cvt_i32_f32_e32 v15, v15
	v_max_f32_e32 v12, v12, v9
	v_min_f32_e32 v14, v14, v10
	v_min_f32_e32 v5, v5, v10
	;; [unrolled: 1-line block ×3, first 2 shown]
	v_cvt_i32_f32_e32 v14, v14
	v_and_b32_e32 v13, 0xff, v13
	v_cvt_i32_f32_sdwa v5, v5 dst_sel:BYTE_3 dst_unused:UNUSED_PAD src0_sel:DWORD
	v_cvt_i32_f32_e32 v12, v12
	v_lshlrev_b32_sdwa v2, v11, v2 dst_sel:DWORD dst_unused:UNUSED_PAD src0_sel:DWORD src1_sel:BYTE_0
	v_lshlrev_b32_e32 v13, 16, v13
	v_or3_b32 v2, v3, v13, v2
	v_lshlrev_b32_sdwa v3, v11, v4 dst_sel:DWORD dst_unused:UNUSED_PAD src0_sel:DWORD src1_sel:BYTE_0
	v_and_b32_e32 v4, 0xff, v15
	v_lshlrev_b32_e32 v4, 16, v4
	v_and_b32_e32 v14, 0xff, v14
	v_or_b32_e32 v4, v5, v4
	v_or_b32_sdwa v2, v2, v12 dst_sel:DWORD dst_unused:UNUSED_PAD src0_sel:DWORD src1_sel:BYTE_0
	v_or3_b32 v3, v4, v3, v14
	global_store_dwordx2 v[6:7], v[2:3], off
	v_add_co_u32_e32 v6, vcc, 0x80, v6
	v_addc_co_u32_e32 v7, vcc, 0, v7, vcc
	s_andn2_b64 exec, exec, s[14:15]
	s_cbranch_execnz .LBB24_44
.LBB24_45:
	s_endpgm
	.section	.rodata,"a",@progbits
	.p2align	6, 0x0
	.amdhsa_kernel _Z33per_token_group_quant_8bit_kernelIN3c108BFloat16EaLb1ELb1EfEvPKT_PvPT3_iiifffii
		.amdhsa_group_segment_fixed_size 0
		.amdhsa_private_segment_fixed_size 0
		.amdhsa_kernarg_size 56
		.amdhsa_user_sgpr_count 6
		.amdhsa_user_sgpr_private_segment_buffer 1
		.amdhsa_user_sgpr_dispatch_ptr 0
		.amdhsa_user_sgpr_queue_ptr 0
		.amdhsa_user_sgpr_kernarg_segment_ptr 1
		.amdhsa_user_sgpr_dispatch_id 0
		.amdhsa_user_sgpr_flat_scratch_init 0
		.amdhsa_user_sgpr_kernarg_preload_length 0
		.amdhsa_user_sgpr_kernarg_preload_offset 0
		.amdhsa_user_sgpr_private_segment_size 0
		.amdhsa_uses_dynamic_stack 0
		.amdhsa_system_sgpr_private_segment_wavefront_offset 0
		.amdhsa_system_sgpr_workgroup_id_x 1
		.amdhsa_system_sgpr_workgroup_id_y 0
		.amdhsa_system_sgpr_workgroup_id_z 0
		.amdhsa_system_sgpr_workgroup_info 0
		.amdhsa_system_vgpr_workitem_id 0
		.amdhsa_next_free_vgpr 56
		.amdhsa_next_free_sgpr 21
		.amdhsa_accum_offset 56
		.amdhsa_reserve_vcc 1
		.amdhsa_reserve_flat_scratch 0
		.amdhsa_float_round_mode_32 0
		.amdhsa_float_round_mode_16_64 0
		.amdhsa_float_denorm_mode_32 3
		.amdhsa_float_denorm_mode_16_64 3
		.amdhsa_dx10_clamp 1
		.amdhsa_ieee_mode 1
		.amdhsa_fp16_overflow 0
		.amdhsa_tg_split 0
		.amdhsa_exception_fp_ieee_invalid_op 0
		.amdhsa_exception_fp_denorm_src 0
		.amdhsa_exception_fp_ieee_div_zero 0
		.amdhsa_exception_fp_ieee_overflow 0
		.amdhsa_exception_fp_ieee_underflow 0
		.amdhsa_exception_fp_ieee_inexact 0
		.amdhsa_exception_int_div_zero 0
	.end_amdhsa_kernel
	.section	.text._Z33per_token_group_quant_8bit_kernelIN3c108BFloat16EaLb1ELb1EfEvPKT_PvPT3_iiifffii,"axG",@progbits,_Z33per_token_group_quant_8bit_kernelIN3c108BFloat16EaLb1ELb1EfEvPKT_PvPT3_iiifffii,comdat
.Lfunc_end24:
	.size	_Z33per_token_group_quant_8bit_kernelIN3c108BFloat16EaLb1ELb1EfEvPKT_PvPT3_iiifffii, .Lfunc_end24-_Z33per_token_group_quant_8bit_kernelIN3c108BFloat16EaLb1ELb1EfEvPKT_PvPT3_iiifffii
                                        ; -- End function
	.section	.AMDGPU.csdata,"",@progbits
; Kernel info:
; codeLenInByte = 5440
; NumSgprs: 25
; NumVgprs: 56
; NumAgprs: 0
; TotalNumVgprs: 56
; ScratchSize: 0
; MemoryBound: 0
; FloatMode: 240
; IeeeMode: 1
; LDSByteSize: 0 bytes/workgroup (compile time only)
; SGPRBlocks: 3
; VGPRBlocks: 6
; NumSGPRsForWavesPerEU: 25
; NumVGPRsForWavesPerEU: 56
; AccumOffset: 56
; Occupancy: 8
; WaveLimiterHint : 0
; COMPUTE_PGM_RSRC2:SCRATCH_EN: 0
; COMPUTE_PGM_RSRC2:USER_SGPR: 6
; COMPUTE_PGM_RSRC2:TRAP_HANDLER: 0
; COMPUTE_PGM_RSRC2:TGID_X_EN: 1
; COMPUTE_PGM_RSRC2:TGID_Y_EN: 0
; COMPUTE_PGM_RSRC2:TGID_Z_EN: 0
; COMPUTE_PGM_RSRC2:TIDIG_COMP_CNT: 0
; COMPUTE_PGM_RSRC3_GFX90A:ACCUM_OFFSET: 13
; COMPUTE_PGM_RSRC3_GFX90A:TG_SPLIT: 0
	.section	.text._Z33per_token_group_quant_8bit_kernelIN3c108BFloat16EaLb1ELb0EfEvPKT_PvPT3_iiifffii,"axG",@progbits,_Z33per_token_group_quant_8bit_kernelIN3c108BFloat16EaLb1ELb0EfEvPKT_PvPT3_iiifffii,comdat
	.protected	_Z33per_token_group_quant_8bit_kernelIN3c108BFloat16EaLb1ELb0EfEvPKT_PvPT3_iiifffii ; -- Begin function _Z33per_token_group_quant_8bit_kernelIN3c108BFloat16EaLb1ELb0EfEvPKT_PvPT3_iiifffii
	.globl	_Z33per_token_group_quant_8bit_kernelIN3c108BFloat16EaLb1ELb0EfEvPKT_PvPT3_iiifffii
	.p2align	8
	.type	_Z33per_token_group_quant_8bit_kernelIN3c108BFloat16EaLb1ELb0EfEvPKT_PvPT3_iiifffii,@function
_Z33per_token_group_quant_8bit_kernelIN3c108BFloat16EaLb1ELb0EfEvPKT_PvPT3_iiifffii: ; @_Z33per_token_group_quant_8bit_kernelIN3c108BFloat16EaLb1ELb0EfEvPKT_PvPT3_iiifffii
; %bb.0:
	s_load_dword s20, s[4:5], 0x18
	s_load_dwordx2 s[0:1], s[4:5], 0x0
	s_load_dwordx4 s[8:11], s[4:5], 0x20
	s_load_dwordx2 s[2:3], s[4:5], 0x30
	v_lshrrev_b32_e32 v4, 4, v0
	s_waitcnt lgkmcnt(0)
	s_ashr_i32 s12, s20, 31
	v_and_b32_e32 v8, 15, v0
	s_mul_i32 s6, s6, s8
	v_add_co_u32_e32 v11, vcc, s6, v4
	v_addc_co_u32_e64 v12, s[6:7], 0, 0, vcc
	v_mul_lo_u32 v0, v12, s20
	v_mul_lo_u32 v1, v11, s12
	v_mad_u64_u32 v[2:3], s[6:7], v11, s20, 0
	v_add3_u32 v3, v3, v1, v0
	v_lshlrev_b64 v[0:1], 1, v[2:3]
	s_and_b32 s8, s20, 7
	v_mov_b32_e32 v6, s1
	v_add_co_u32_e32 v5, vcc, s0, v0
	s_cmp_eq_u32 s8, 0
	v_addc_co_u32_e32 v6, vcc, v6, v1, vcc
	v_mov_b32_e32 v15, 0
	v_and_b32_e32 v14, 15, v5
	s_cselect_b64 s[6:7], -1, 0
	s_cmp_lg_u32 s8, 0
	v_mul_lo_u32 v9, v4, s20
	v_cmp_ne_u64_e32 vcc, 0, v[14:15]
	s_cselect_b64 s[12:13], -1, 0
	v_lshl_add_u32 v10, v9, 1, 0
	s_or_b64 s[12:13], s[12:13], vcc
                                        ; implicit-def: $vgpr13
	s_and_saveexec_b64 s[14:15], s[12:13]
	s_xor_b64 s[12:13], exec, s[14:15]
	s_cbranch_execz .LBB25_12
; %bb.1:
	v_sub_u32_e32 v4, 0, v5
	v_bfe_u32 v4, v4, 1, 3
	v_min_i32_e32 v4, s20, v4
	v_cmp_gt_i32_e32 vcc, v4, v8
	v_mov_b32_e32 v13, s9
	s_and_saveexec_b64 s[14:15], vcc
	s_cbranch_execz .LBB25_3
; %bb.2:
	v_lshlrev_b32_e32 v7, 1, v8
	v_add_co_u32_e32 v14, vcc, v5, v7
	v_addc_co_u32_e32 v15, vcc, 0, v6, vcc
	global_load_ushort v5, v[14:15], off
	v_max_f32_e64 v6, s9, s9
	v_add_u32_e32 v7, v10, v7
	s_waitcnt vmcnt(0)
	v_lshlrev_b32_e32 v13, 16, v5
	v_max_f32_e64 v13, |v13|, |v13|
	v_max_f32_e32 v13, v6, v13
	ds_write_b16 v7, v5
.LBB25_3:
	s_or_b64 exec, exec, s[14:15]
	v_sub_u32_e32 v14, s20, v4
	v_ashrrev_i32_e32 v6, 31, v14
	v_lshrrev_b32_e32 v6, 29, v6
	v_add_u32_e32 v6, v14, v6
	v_ashrrev_i32_e32 v5, 31, v4
	v_ashrrev_i32_e32 v15, 3, v6
	v_cmp_gt_i32_e32 vcc, v15, v8
	v_lshlrev_b32_e32 v16, 1, v4
	v_lshlrev_b64 v[4:5], 1, v[4:5]
	s_and_saveexec_b64 s[14:15], vcc
	s_cbranch_execz .LBB25_7
; %bb.4:
	v_lshlrev_b32_e32 v6, 4, v8
	v_lshl_add_u32 v7, v9, 1, v6
	v_add_co_u32_e32 v6, vcc, v0, v6
	v_add3_u32 v17, v7, v16, 0
	v_addc_co_u32_e32 v7, vcc, 0, v1, vcc
	v_add_co_u32_e32 v6, vcc, v6, v4
	v_addc_co_u32_e32 v7, vcc, v7, v5, vcc
	v_mov_b32_e32 v18, s1
	v_add_co_u32_e32 v6, vcc, s0, v6
	v_addc_co_u32_e32 v7, vcc, v7, v18, vcc
	v_add_co_u32_e32 v6, vcc, 8, v6
	v_addc_co_u32_e32 v7, vcc, 0, v7, vcc
	s_mov_b64 s[16:17], 0
	v_mov_b32_e32 v18, v8
.LBB25_5:                               ; =>This Inner Loop Header: Depth=1
	global_load_dwordx4 v[20:23], v[6:7], off offset:-8
	v_add_co_u32_e32 v6, vcc, 0x100, v6
	v_add_u32_e32 v18, 16, v18
	v_addc_co_u32_e32 v7, vcc, 0, v7, vcc
	v_cmp_ge_i32_e32 vcc, v18, v15
	s_or_b64 s[16:17], vcc, s[16:17]
	s_waitcnt vmcnt(0)
	v_lshlrev_b32_e32 v19, 16, v20
	v_and_b32_e32 v24, 0xffff0000, v20
	v_lshlrev_b32_e32 v25, 16, v21
	v_and_b32_e32 v26, 0xffff0000, v21
	v_max3_f32 v13, v13, |v19|, |v24|
	v_lshlrev_b32_e32 v27, 16, v22
	v_and_b32_e32 v28, 0xffff0000, v22
	v_max3_f32 v13, v13, |v25|, |v26|
	;; [unrolled: 3-line block ×3, first 2 shown]
	ds_write_b128 v17, v[20:23]
	v_add_u32_e32 v17, 0x100, v17
	v_max3_f32 v13, v13, |v29|, |v30|
	s_andn2_b64 exec, exec, s[16:17]
	s_cbranch_execnz .LBB25_5
; %bb.6:
	s_or_b64 exec, exec, s[16:17]
.LBB25_7:
	s_or_b64 exec, exec, s[14:15]
	v_lshl_add_u32 v6, v15, 3, v8
	v_cmp_lt_i32_e32 vcc, v6, v14
	s_and_saveexec_b64 s[14:15], vcc
	s_cbranch_execz .LBB25_11
; %bb.8:
	v_lshlrev_b32_e32 v7, 1, v9
	v_lshlrev_b32_e32 v15, 4, v15
	v_add3_u32 v7, v7, v15, v16
	v_lshlrev_b32_e32 v15, 1, v8
	v_add3_u32 v15, v7, v15, 0
	v_add_co_u32_e32 v4, vcc, v0, v4
	v_ashrrev_i32_e32 v7, 31, v6
	v_addc_co_u32_e32 v5, vcc, v1, v5, vcc
	v_lshlrev_b64 v[0:1], 1, v[6:7]
	v_add_co_u32_e32 v0, vcc, v4, v0
	v_addc_co_u32_e32 v1, vcc, v5, v1, vcc
	v_mov_b32_e32 v4, s1
	v_add_co_u32_e32 v0, vcc, s0, v0
	v_addc_co_u32_e32 v1, vcc, v4, v1, vcc
	s_mov_b64 s[16:17], 0
.LBB25_9:                               ; =>This Inner Loop Header: Depth=1
	global_load_ushort v4, v[0:1], off
	v_add_co_u32_e32 v0, vcc, 32, v0
	v_add_u32_e32 v6, 16, v6
	v_addc_co_u32_e32 v1, vcc, 0, v1, vcc
	v_max_f32_e32 v5, v13, v13
	v_cmp_ge_i32_e32 vcc, v6, v14
	s_or_b64 s[16:17], vcc, s[16:17]
	s_waitcnt vmcnt(0)
	v_lshlrev_b32_e32 v7, 16, v4
	ds_write_b16 v15, v4
	v_max_f32_e64 v4, |v7|, |v7|
	v_add_u32_e32 v15, 32, v15
	v_max_f32_e32 v13, v5, v4
	s_andn2_b64 exec, exec, s[16:17]
	s_cbranch_execnz .LBB25_9
; %bb.10:
	s_or_b64 exec, exec, s[16:17]
.LBB25_11:
	s_or_b64 exec, exec, s[14:15]
                                        ; implicit-def: $vgpr0_vgpr1
.LBB25_12:
	s_andn2_saveexec_b64 s[12:13], s[12:13]
	s_cbranch_execz .LBB25_18
; %bb.13:
	s_ashr_i32 s8, s20, 3
	v_cmp_gt_i32_e32 vcc, s8, v8
	v_mov_b32_e32 v13, s9
	s_and_saveexec_b64 s[14:15], vcc
	s_cbranch_execz .LBB25_17
; %bb.14:
	v_lshlrev_b32_e32 v5, 4, v8
	v_add_co_u32_e32 v0, vcc, v0, v5
	v_lshlrev_b32_e32 v4, 1, v9
	v_addc_co_u32_e32 v1, vcc, 0, v1, vcc
	v_add3_u32 v4, v4, v5, 0
	v_mov_b32_e32 v5, s1
	v_add_co_u32_e32 v0, vcc, s0, v0
	v_addc_co_u32_e32 v1, vcc, v1, v5, vcc
	v_add_co_u32_e32 v0, vcc, 8, v0
	v_addc_co_u32_e32 v1, vcc, 0, v1, vcc
	s_mov_b64 s[0:1], 0
	v_mov_b32_e32 v13, s9
	v_mov_b32_e32 v5, v8
.LBB25_15:                              ; =>This Inner Loop Header: Depth=1
	global_load_dwordx4 v[14:17], v[0:1], off offset:-8
	v_add_co_u32_e32 v0, vcc, 0x100, v0
	v_add_u32_e32 v5, 16, v5
	v_addc_co_u32_e32 v1, vcc, 0, v1, vcc
	v_cmp_le_i32_e32 vcc, s8, v5
	s_or_b64 s[0:1], vcc, s[0:1]
	s_waitcnt vmcnt(0)
	v_lshlrev_b32_e32 v6, 16, v14
	v_and_b32_e32 v7, 0xffff0000, v14
	v_lshlrev_b32_e32 v18, 16, v15
	v_and_b32_e32 v19, 0xffff0000, v15
	v_max3_f32 v6, v13, |v6|, |v7|
	v_lshlrev_b32_e32 v20, 16, v16
	v_and_b32_e32 v21, 0xffff0000, v16
	v_max3_f32 v6, v6, |v18|, |v19|
	;; [unrolled: 3-line block ×3, first 2 shown]
	ds_write_b128 v4, v[14:17]
	v_add_u32_e32 v4, 0x100, v4
	v_max3_f32 v13, v6, |v22|, |v23|
	s_andn2_b64 exec, exec, s[0:1]
	s_cbranch_execnz .LBB25_15
; %bb.16:
	s_or_b64 exec, exec, s[0:1]
.LBB25_17:
	s_or_b64 exec, exec, s[14:15]
.LBB25_18:
	s_or_b64 exec, exec, s[12:13]
	v_mbcnt_lo_u32_b32 v0, -1, 0
	v_mbcnt_hi_u32_b32 v0, -1, v0
	v_and_b32_e32 v4, 0x70, v0
	v_xor_b32_e32 v1, 8, v0
	v_add_u32_e32 v4, 16, v4
	v_cmp_lt_i32_e32 vcc, v1, v4
	v_cndmask_b32_e32 v1, v0, v1, vcc
	v_lshlrev_b32_e32 v1, 2, v1
	ds_bpermute_b32 v1, v1, v13
	v_xor_b32_e32 v6, 4, v0
	v_max_f32_e32 v5, v13, v13
	v_cmp_lt_i32_e32 vcc, v6, v4
	s_load_dwordx2 s[8:9], s[4:5], 0x8
	s_waitcnt lgkmcnt(0)
	v_max_f32_e32 v1, v1, v1
	v_max_f32_e32 v1, v5, v1
	v_cndmask_b32_e32 v5, v0, v6, vcc
	v_lshlrev_b32_e32 v5, 2, v5
	ds_bpermute_b32 v5, v5, v1
	v_xor_b32_e32 v6, 2, v0
	v_cmp_lt_i32_e32 vcc, v6, v4
	s_waitcnt lgkmcnt(0)
	v_max_f32_e32 v5, v5, v5
	v_max_f32_e32 v1, v1, v5
	v_cndmask_b32_e32 v5, v0, v6, vcc
	v_lshlrev_b32_e32 v5, 2, v5
	ds_bpermute_b32 v5, v5, v1
	v_xor_b32_e32 v6, 1, v0
	v_cmp_lt_i32_e32 vcc, v6, v4
	v_cndmask_b32_e32 v0, v0, v6, vcc
	v_lshlrev_b32_e32 v0, 2, v0
	s_waitcnt lgkmcnt(0)
	v_max_f32_e32 v5, v5, v5
	v_max_f32_e32 v1, v1, v5
	ds_bpermute_b32 v0, v0, v1
	s_waitcnt lgkmcnt(0)
	v_max_f32_e32 v0, v0, v0
	v_max_f32_e32 v0, v1, v0
	v_div_scale_f32 v1, s[0:1], s11, s11, v0
	v_rcp_f32_e32 v4, v1
	v_div_scale_f32 v5, vcc, v0, s11, v0
	v_fma_f32 v6, -v1, v4, 1.0
	v_fmac_f32_e32 v4, v6, v4
	v_mul_f32_e32 v6, v5, v4
	v_fma_f32 v7, -v1, v6, v5
	v_fmac_f32_e32 v6, v7, v4
	v_fma_f32 v1, -v1, v6, v5
	v_div_fmas_f32 v1, v1, v4, v6
	v_div_fixup_f32 v0, v1, s11, v0
	v_cmp_eq_u32_e32 vcc, 0, v8
	s_and_saveexec_b64 s[12:13], vcc
	s_cbranch_execz .LBB25_24
; %bb.19:
	s_load_dwordx2 s[4:5], s[4:5], 0x10
	s_ashr_i32 s0, s2, 31
	v_or_b32_e32 v5, s0, v12
	v_mov_b32_e32 v4, 0
	v_cmp_ne_u64_e32 vcc, 0, v[4:5]
                                        ; implicit-def: $vgpr4_vgpr5
	s_and_saveexec_b64 s[14:15], vcc
	s_xor_b64 s[14:15], exec, s[14:15]
	s_cbranch_execz .LBB25_21
; %bb.20:
	s_add_u32 s18, s2, s0
	s_mov_b32 s16, s0
	s_mov_b32 s17, s0
	s_addc_u32 s19, s0, s0
	s_xor_b64 s[18:19], s[18:19], s[16:17]
	v_cvt_f32_u32_e32 v1, s18
	v_cvt_f32_u32_e32 v4, s19
	s_sub_u32 s0, 0, s18
	s_subb_u32 s1, 0, s19
	v_madmk_f32 v1, v4, 0x4f800000, v1
	v_rcp_f32_e32 v1, v1
	v_mul_f32_e32 v1, 0x5f7ffffc, v1
	v_mul_f32_e32 v4, 0x2f800000, v1
	v_trunc_f32_e32 v4, v4
	v_madmk_f32 v1, v4, 0xcf800000, v1
	v_cvt_u32_f32_e32 v4, v4
	v_cvt_u32_f32_e32 v1, v1
	v_mul_lo_u32 v5, s0, v4
	v_mul_hi_u32 v7, s0, v1
	v_mul_lo_u32 v6, s1, v1
	v_add_u32_e32 v5, v7, v5
	v_mul_lo_u32 v13, s0, v1
	v_add_u32_e32 v5, v5, v6
	v_mul_lo_u32 v7, v1, v5
	v_mul_hi_u32 v14, v1, v13
	v_mul_hi_u32 v6, v1, v5
	v_add_co_u32_e32 v7, vcc, v14, v7
	v_addc_co_u32_e32 v6, vcc, 0, v6, vcc
	v_mul_hi_u32 v15, v4, v13
	v_mul_lo_u32 v13, v4, v13
	v_add_co_u32_e32 v7, vcc, v7, v13
	v_mul_hi_u32 v14, v4, v5
	v_addc_co_u32_e32 v6, vcc, v6, v15, vcc
	v_addc_co_u32_e32 v7, vcc, 0, v14, vcc
	v_mul_lo_u32 v5, v4, v5
	v_add_co_u32_e32 v5, vcc, v6, v5
	v_addc_co_u32_e32 v6, vcc, 0, v7, vcc
	v_add_co_u32_e32 v1, vcc, v1, v5
	v_addc_co_u32_e32 v4, vcc, v4, v6, vcc
	v_mul_lo_u32 v5, s0, v4
	v_mul_hi_u32 v6, s0, v1
	v_add_u32_e32 v5, v6, v5
	v_mul_lo_u32 v6, s1, v1
	v_add_u32_e32 v5, v5, v6
	v_mul_lo_u32 v7, s0, v1
	v_mul_hi_u32 v13, v4, v7
	v_mul_lo_u32 v14, v4, v7
	v_mul_lo_u32 v16, v1, v5
	v_mul_hi_u32 v7, v1, v7
	v_mul_hi_u32 v15, v1, v5
	v_add_co_u32_e32 v7, vcc, v7, v16
	v_addc_co_u32_e32 v15, vcc, 0, v15, vcc
	v_add_co_u32_e32 v7, vcc, v7, v14
	v_mul_hi_u32 v6, v4, v5
	v_addc_co_u32_e32 v7, vcc, v15, v13, vcc
	v_addc_co_u32_e32 v6, vcc, 0, v6, vcc
	v_mul_lo_u32 v5, v4, v5
	v_add_co_u32_e32 v5, vcc, v7, v5
	v_addc_co_u32_e32 v6, vcc, 0, v6, vcc
	v_add_co_u32_e32 v1, vcc, v1, v5
	v_addc_co_u32_e32 v6, vcc, v4, v6, vcc
	v_mad_u64_u32 v[4:5], s[0:1], v11, v6, 0
	v_mul_hi_u32 v7, v11, v1
	v_add_co_u32_e32 v13, vcc, v7, v4
	v_addc_co_u32_e32 v14, vcc, 0, v5, vcc
	v_mad_u64_u32 v[4:5], s[0:1], v12, v6, 0
	v_mad_u64_u32 v[6:7], s[0:1], v12, v1, 0
	v_add_co_u32_e32 v1, vcc, v13, v6
	v_addc_co_u32_e32 v1, vcc, v14, v7, vcc
	v_addc_co_u32_e32 v5, vcc, 0, v5, vcc
	v_add_co_u32_e32 v1, vcc, v1, v4
	v_addc_co_u32_e32 v4, vcc, 0, v5, vcc
	v_mul_lo_u32 v6, s19, v1
	v_mul_lo_u32 v7, s18, v4
	v_mad_u64_u32 v[4:5], s[0:1], s18, v1, 0
	v_add3_u32 v5, v5, v7, v6
	v_sub_u32_e32 v6, v12, v5
	v_mov_b32_e32 v7, s19
	v_sub_co_u32_e32 v4, vcc, v11, v4
	v_subb_co_u32_e64 v6, s[0:1], v6, v7, vcc
	v_subrev_co_u32_e64 v7, s[0:1], s18, v4
	v_subbrev_co_u32_e64 v6, s[0:1], 0, v6, s[0:1]
	v_cmp_le_u32_e64 s[0:1], s19, v6
	v_subb_co_u32_e32 v5, vcc, v12, v5, vcc
	v_cndmask_b32_e64 v13, 0, -1, s[0:1]
	v_cmp_le_u32_e64 s[0:1], s18, v7
	v_cmp_le_u32_e32 vcc, s19, v5
	v_cndmask_b32_e64 v7, 0, -1, s[0:1]
	v_cmp_eq_u32_e64 s[0:1], s19, v6
	v_cndmask_b32_e64 v12, 0, -1, vcc
	v_cmp_le_u32_e32 vcc, s18, v4
	v_cndmask_b32_e64 v6, v13, v7, s[0:1]
	v_cndmask_b32_e64 v4, 0, -1, vcc
	v_cmp_eq_u32_e32 vcc, s19, v5
	v_add_co_u32_e64 v7, s[0:1], 2, v1
	v_add_co_u32_e64 v13, s[0:1], 1, v1
	v_cndmask_b32_e32 v4, v12, v4, vcc
	v_cmp_ne_u32_e32 vcc, 0, v6
	v_cndmask_b32_e32 v5, v13, v7, vcc
	v_cmp_ne_u32_e32 vcc, 0, v4
	v_cndmask_b32_e32 v1, v1, v5, vcc
	v_xor_b32_e32 v1, s16, v1
	v_subrev_co_u32_e32 v4, vcc, s16, v1
.LBB25_21:
	s_andn2_saveexec_b64 s[0:1], s[14:15]
	s_cbranch_execz .LBB25_23
; %bb.22:
	v_cvt_f32_u32_e32 v1, s2
	s_sub_i32 s14, 0, s2
	v_rcp_iflag_f32_e32 v1, v1
	v_mul_f32_e32 v1, 0x4f7ffffe, v1
	v_cvt_u32_f32_e32 v1, v1
	v_mul_lo_u32 v4, s14, v1
	v_mul_hi_u32 v4, v1, v4
	v_add_u32_e32 v1, v1, v4
	v_mul_hi_u32 v1, v11, v1
	v_mul_lo_u32 v4, v1, s2
	v_sub_u32_e32 v4, v11, v4
	v_add_u32_e32 v5, 1, v1
	v_subrev_u32_e32 v6, s2, v4
	v_cmp_le_u32_e32 vcc, s2, v4
	v_cndmask_b32_e32 v4, v4, v6, vcc
	v_cndmask_b32_e32 v1, v1, v5, vcc
	v_add_u32_e32 v5, 1, v1
	v_cmp_le_u32_e32 vcc, s2, v4
	v_cndmask_b32_e32 v4, v1, v5, vcc
.LBB25_23:
	s_or_b64 exec, exec, s[0:1]
	v_mul_lo_u32 v1, v4, s2
	v_sub_u32_e32 v1, v11, v1
	v_mad_u64_u32 v[4:5], s[0:1], v1, s3, v[4:5]
	v_ashrrev_i32_e32 v5, 31, v4
	v_lshlrev_b64 v[4:5], 2, v[4:5]
	s_waitcnt lgkmcnt(0)
	v_mov_b32_e32 v1, s5
	v_add_co_u32_e32 v4, vcc, s4, v4
	v_addc_co_u32_e32 v5, vcc, v1, v5, vcc
	global_store_dword v[4:5], v0, off
.LBB25_24:
	s_or_b64 exec, exec, s[12:13]
	v_and_b32_e32 v4, 15, v10
	v_mov_b32_e32 v5, 0
	v_cmp_ne_u64_e32 vcc, 0, v[4:5]
	s_xor_b64 s[0:1], s[6:7], -1
	s_or_b64 s[0:1], s[0:1], vcc
	s_barrier
	s_and_saveexec_b64 s[2:3], s[0:1]
	s_xor_b64 s[12:13], exec, s[2:3]
	s_cbranch_execz .LBB25_41
; %bb.25:
	v_sub_u32_e32 v5, 0, v10
	v_mov_b32_e32 v4, s9
	v_add_co_u32_e32 v1, vcc, s8, v2
	v_bfe_u32 v5, v5, 1, 3
	v_addc_co_u32_e32 v4, vcc, v4, v3, vcc
	v_min_i32_e32 v11, s20, v5
	v_cmp_gt_i32_e32 vcc, v11, v8
	s_and_saveexec_b64 s[0:1], vcc
	s_cbranch_execz .LBB25_27
; %bb.26:
	v_lshl_add_u32 v5, v8, 1, v10
	ds_read_u16 v5, v5
	v_max_f32_e64 v6, s10, s10
	v_max_f32_e64 v12, s11, s11
	s_waitcnt lgkmcnt(0)
	v_lshlrev_b32_e32 v5, 16, v5
	v_div_scale_f32 v7, s[2:3], v0, v0, v5
	v_rcp_f32_e32 v10, v7
	v_div_scale_f32 v13, vcc, v5, v0, v5
	v_fma_f32 v14, -v7, v10, 1.0
	v_fmac_f32_e32 v10, v14, v10
	v_mul_f32_e32 v14, v13, v10
	v_fma_f32 v15, -v7, v14, v13
	v_fmac_f32_e32 v14, v15, v10
	v_fma_f32 v7, -v7, v14, v13
	v_div_fmas_f32 v7, v7, v10, v14
	v_div_fixup_f32 v5, v7, v0, v5
	v_max_f32_e32 v5, v5, v6
	v_min_f32_e32 v5, v5, v12
	v_cvt_i32_f32_e32 v5, v5
	v_add_co_u32_e32 v6, vcc, v1, v8
	v_addc_co_u32_e32 v7, vcc, 0, v4, vcc
	global_store_byte v[6:7], v5, off
.LBB25_27:
	s_or_b64 exec, exec, s[0:1]
	v_sub_u32_e32 v18, s20, v11
	v_ashrrev_i32_e32 v6, 31, v18
	v_lshrrev_b32_e32 v6, 29, v6
	v_add_u32_e32 v6, v18, v6
	v_ashrrev_i32_e32 v10, 3, v6
	v_ashrrev_i32_e32 v5, 31, v11
	v_cmp_gt_i32_e32 vcc, v10, v8
	v_lshlrev_b32_e32 v19, 1, v11
	s_and_saveexec_b64 s[0:1], vcc
	s_cbranch_execz .LBB25_30
; %bb.28:
	v_lshlrev_b32_e32 v6, 4, v8
	v_lshl_add_u32 v6, v9, 1, v6
	v_lshlrev_b32_e32 v7, 1, v11
	v_add_co_u32_e32 v2, vcc, v11, v2
	v_add3_u32 v6, v6, v7, 0
	v_addc_co_u32_e32 v3, vcc, v5, v3, vcc
	v_lshlrev_b32_e32 v7, 3, v8
	v_add_co_u32_e32 v2, vcc, v2, v7
	v_addc_co_u32_e32 v3, vcc, 0, v3, vcc
	v_mov_b32_e32 v7, s9
	v_add_co_u32_e32 v2, vcc, s8, v2
	v_addc_co_u32_e32 v3, vcc, v7, v3, vcc
	s_mov_b64 s[2:3], 0
	v_max_f32_e64 v7, s10, s10
	v_max_f32_e64 v12, s11, s11
	v_mov_b32_e32 v13, 8
	v_mov_b32_e32 v14, v8
.LBB25_29:                              ; =>This Inner Loop Header: Depth=1
	ds_read_b128 v[20:23], v6
	v_add_u32_e32 v14, 16, v14
	v_add_u32_e32 v6, 0x100, v6
	s_waitcnt lgkmcnt(0)
	v_lshlrev_b32_e32 v15, 16, v20
	v_div_scale_f32 v16, s[4:5], v0, v0, v15
	v_rcp_f32_e32 v17, v16
	v_fma_f32 v24, -v16, v17, 1.0
	v_fmac_f32_e32 v17, v24, v17
	v_div_scale_f32 v24, vcc, v15, v0, v15
	v_mul_f32_e32 v25, v24, v17
	v_fma_f32 v26, -v16, v25, v24
	v_fmac_f32_e32 v25, v26, v17
	v_fma_f32 v16, -v16, v25, v24
	v_div_fmas_f32 v16, v16, v17, v25
	v_div_fixup_f32 v15, v16, v0, v15
	v_and_b32_e32 v16, 0xffff0000, v20
	v_div_scale_f32 v17, s[4:5], v0, v0, v16
	v_rcp_f32_e32 v20, v17
	v_max_f32_e32 v15, v15, v7
	v_min_f32_e32 v15, v15, v12
	v_cvt_i32_f32_e32 v15, v15
	v_fma_f32 v24, -v17, v20, 1.0
	v_fmac_f32_e32 v20, v24, v20
	v_div_scale_f32 v24, vcc, v16, v0, v16
	v_mul_f32_e32 v25, v24, v20
	v_fma_f32 v26, -v17, v25, v24
	v_fmac_f32_e32 v25, v26, v20
	v_fma_f32 v17, -v17, v25, v24
	v_div_fmas_f32 v17, v17, v20, v25
	v_div_fixup_f32 v16, v17, v0, v16
	v_lshlrev_b32_e32 v17, 16, v21
	v_div_scale_f32 v20, s[4:5], v0, v0, v17
	v_rcp_f32_e32 v24, v20
	v_max_f32_e32 v16, v16, v7
	v_min_f32_e32 v16, v16, v12
	v_cvt_i32_f32_e32 v16, v16
	v_fma_f32 v25, -v20, v24, 1.0
	v_fmac_f32_e32 v24, v25, v24
	v_div_scale_f32 v25, vcc, v17, v0, v17
	v_mul_f32_e32 v26, v25, v24
	v_fma_f32 v27, -v20, v26, v25
	v_fmac_f32_e32 v26, v27, v24
	v_fma_f32 v20, -v20, v26, v25
	v_div_fmas_f32 v20, v20, v24, v26
	v_div_fixup_f32 v17, v20, v0, v17
	v_max_f32_e32 v17, v17, v7
	v_min_f32_e32 v17, v17, v12
	v_cvt_i32_f32_e32 v20, v17
	v_and_b32_e32 v17, 0xffff0000, v21
	v_div_scale_f32 v21, s[4:5], v0, v0, v17
	v_rcp_f32_e32 v24, v21
	v_and_b32_e32 v20, 0xff, v20
	v_lshlrev_b32_e32 v20, 16, v20
	v_lshlrev_b32_sdwa v16, v13, v16 dst_sel:DWORD dst_unused:UNUSED_PAD src0_sel:DWORD src1_sel:BYTE_0
	v_fma_f32 v25, -v21, v24, 1.0
	v_fmac_f32_e32 v24, v25, v24
	v_div_scale_f32 v25, vcc, v17, v0, v17
	v_mul_f32_e32 v26, v25, v24
	v_fma_f32 v27, -v21, v26, v25
	v_fmac_f32_e32 v26, v27, v24
	v_fma_f32 v21, -v21, v26, v25
	v_div_fmas_f32 v21, v21, v24, v26
	v_div_fixup_f32 v17, v21, v0, v17
	v_max_f32_e32 v17, v17, v7
	v_min_f32_e32 v17, v17, v12
	v_cvt_i32_f32_sdwa v21, v17 dst_sel:BYTE_3 dst_unused:UNUSED_PAD src0_sel:DWORD
	v_lshlrev_b32_e32 v17, 16, v22
	v_div_scale_f32 v24, s[4:5], v0, v0, v17
	v_rcp_f32_e32 v25, v24
	v_and_b32_e32 v22, 0xffff0000, v22
	v_or3_b32 v16, v21, v20, v16
	v_or_b32_sdwa v16, v16, v15 dst_sel:DWORD dst_unused:UNUSED_PAD src0_sel:DWORD src1_sel:BYTE_0
	v_fma_f32 v26, -v24, v25, 1.0
	v_fmac_f32_e32 v25, v26, v25
	v_div_scale_f32 v26, vcc, v17, v0, v17
	v_mul_f32_e32 v27, v26, v25
	v_fma_f32 v28, -v24, v27, v26
	v_fmac_f32_e32 v27, v28, v25
	v_fma_f32 v24, -v24, v27, v26
	v_div_fmas_f32 v24, v24, v25, v27
	v_div_fixup_f32 v17, v24, v0, v17
	v_div_scale_f32 v24, s[4:5], v0, v0, v22
	v_rcp_f32_e32 v25, v24
	v_max_f32_e32 v17, v17, v7
	v_min_f32_e32 v17, v17, v12
	v_cvt_i32_f32_e32 v17, v17
	v_fma_f32 v26, -v24, v25, 1.0
	v_fmac_f32_e32 v25, v26, v25
	v_div_scale_f32 v26, vcc, v22, v0, v22
	v_mul_f32_e32 v27, v26, v25
	v_fma_f32 v28, -v24, v27, v26
	v_fmac_f32_e32 v27, v28, v25
	v_fma_f32 v24, -v24, v27, v26
	v_div_fmas_f32 v24, v24, v25, v27
	v_div_fixup_f32 v22, v24, v0, v22
	v_lshlrev_b32_e32 v24, 16, v23
	v_div_scale_f32 v25, s[4:5], v0, v0, v24
	v_rcp_f32_e32 v26, v25
	v_and_b32_e32 v23, 0xffff0000, v23
	v_max_f32_e32 v22, v22, v7
	v_min_f32_e32 v22, v22, v12
	v_fma_f32 v27, -v25, v26, 1.0
	v_fmac_f32_e32 v26, v27, v26
	v_div_scale_f32 v27, vcc, v24, v0, v24
	v_mul_f32_e32 v28, v27, v26
	v_fma_f32 v29, -v25, v28, v27
	v_fmac_f32_e32 v28, v29, v26
	v_fma_f32 v25, -v25, v28, v27
	v_div_fmas_f32 v25, v25, v26, v28
	v_div_fixup_f32 v24, v25, v0, v24
	v_div_scale_f32 v25, s[4:5], v0, v0, v23
	v_rcp_f32_e32 v26, v25
	v_max_f32_e32 v24, v24, v7
	v_min_f32_e32 v24, v24, v12
	v_cvt_i32_f32_e32 v24, v24
	v_fma_f32 v27, -v25, v26, 1.0
	v_fmac_f32_e32 v26, v27, v26
	v_div_scale_f32 v27, vcc, v23, v0, v23
	v_mul_f32_e32 v28, v27, v26
	v_fma_f32 v29, -v25, v28, v27
	v_fmac_f32_e32 v28, v29, v26
	v_fma_f32 v25, -v25, v28, v27
	v_div_fmas_f32 v25, v25, v26, v28
	v_div_fixup_f32 v23, v25, v0, v23
	v_max_f32_e32 v23, v23, v7
	v_min_f32_e32 v23, v23, v12
	v_cvt_i32_f32_e32 v22, v22
	v_cvt_i32_f32_sdwa v23, v23 dst_sel:BYTE_3 dst_unused:UNUSED_PAD src0_sel:DWORD
	v_and_b32_e32 v24, 0xff, v24
	v_lshlrev_b32_e32 v24, 16, v24
	v_lshlrev_b32_sdwa v22, v13, v22 dst_sel:DWORD dst_unused:UNUSED_PAD src0_sel:DWORD src1_sel:BYTE_0
	v_or_b32_e32 v23, v23, v24
	v_and_b32_e32 v17, 0xff, v17
	v_or3_b32 v17, v23, v22, v17
	global_store_dwordx2 v[2:3], v[16:17], off
	v_add_co_u32_e32 v2, vcc, 0x80, v2
	v_addc_co_u32_e32 v3, vcc, 0, v3, vcc
	v_cmp_ge_i32_e32 vcc, v14, v10
	s_or_b64 s[2:3], vcc, s[2:3]
	s_andn2_b64 exec, exec, s[2:3]
	s_cbranch_execnz .LBB25_29
.LBB25_30:
	s_or_b64 exec, exec, s[0:1]
	v_lshlrev_b32_e32 v6, 3, v10
	v_add_u32_e32 v2, v6, v8
	v_cmp_lt_i32_e32 vcc, v2, v18
	s_and_saveexec_b64 s[14:15], vcc
	s_cbranch_execz .LBB25_40
; %bb.31:
	v_add_u32_e32 v3, 16, v2
	v_add_co_u32_e32 v20, vcc, v1, v11
	v_max_i32_e32 v1, v3, v18
	v_xad_u32 v1, v8, -1, v1
	v_addc_co_u32_e32 v21, vcc, v4, v5, vcc
	v_sub_u32_e32 v1, v1, v6
	v_cmp_lt_u32_e32 vcc, 47, v1
	s_mov_b64 s[0:1], 0
                                        ; implicit-def: $vgpr22
	s_and_saveexec_b64 s[2:3], vcc
	s_xor_b64 s[16:17], exec, s[2:3]
	s_cbranch_execnz .LBB25_34
; %bb.32:
	s_andn2_saveexec_b64 s[2:3], s[16:17]
	s_cbranch_execnz .LBB25_37
.LBB25_33:
	s_or_b64 exec, exec, s[2:3]
	s_and_b64 exec, exec, s[0:1]
	s_cbranch_execnz .LBB25_38
	s_branch .LBB25_40
.LBB25_34:
	v_lshrrev_b32_e32 v1, 4, v1
	v_lshlrev_b32_e32 v22, 1, v9
	v_lshlrev_b32_e32 v9, 4, v10
	;; [unrolled: 1-line block ×3, first 2 shown]
	v_add_u32_e32 v23, 1, v1
	v_add_u32_e32 v5, 48, v2
	;; [unrolled: 1-line block ×3, first 2 shown]
	v_add3_u32 v9, v22, v9, v19
	v_lshlrev_b32_e32 v8, 1, v8
	v_and_b32_e32 v24, 0x1ffffffc, v23
	s_mov_b32 s0, s10
	s_mov_b32 s1, s10
	;; [unrolled: 1-line block ×8, first 2 shown]
	v_add3_u32 v25, v9, v8, 0
	v_pk_mov_b32 v[10:11], v[4:5], v[4:5] op_sel:[0,1]
	v_mov_b32_e32 v1, v0
	v_mov_b32_e32 v6, v0
	;; [unrolled: 1-line block ×3, first 2 shown]
	s_mov_b64 s[18:19], 0
	v_max_f32_e64 v26, s3, s3
	v_max_f32_e64 v27, s2, s2
	v_max_f32_e64 v28, s1, s1
	v_max_f32_e64 v29, s0, s0
	v_max_f32_e64 v30, s4, s4
	v_max_f32_e64 v31, s5, s5
	v_max_f32_e64 v32, s6, s6
	v_max_f32_e64 v33, s7, s7
	v_mov_b32_e32 v34, v24
	v_pk_mov_b32 v[8:9], v[2:3], v[2:3] op_sel:[0,1]
.LBB25_35:                              ; =>This Inner Loop Header: Depth=1
	ds_read_u16 v35, v25
	ds_read_u16 v36, v25 offset:32
	ds_read_u16 v37, v25 offset:64
	;; [unrolled: 1-line block ×3, first 2 shown]
	v_ashrrev_i32_e32 v3, 31, v11
	v_ashrrev_i32_e32 v13, 31, v10
	;; [unrolled: 1-line block ×4, first 2 shown]
	v_add_co_u32_e32 v4, vcc, v20, v9
	v_add_co_u32_e64 v12, s[0:1], v20, v10
	v_add_co_u32_e64 v14, s[2:3], v20, v11
	v_add_co_u32_e64 v16, s[4:5], v20, v8
	s_waitcnt lgkmcnt(3)
	v_lshlrev_b32_e32 v35, 16, v35
	v_addc_co_u32_e64 v17, s[4:5], v21, v15, s[4:5]
	v_addc_co_u32_e32 v5, vcc, v21, v5, vcc
	v_addc_co_u32_e64 v13, vcc, v21, v13, s[0:1]
	v_addc_co_u32_e64 v15, vcc, v21, v3, s[2:3]
	s_waitcnt lgkmcnt(0)
	v_lshlrev_b32_e32 v3, 16, v38
	v_lshlrev_b32_e32 v36, 16, v36
	v_div_scale_f32 v38, s[0:1], v0, v0, v35
	v_lshlrev_b32_e32 v37, 16, v37
	v_div_scale_f32 v40, s[0:1], v1, v1, v36
	v_rcp_f32_e32 v46, v38
	v_div_scale_f32 v42, s[2:3], v6, v6, v37
	v_div_scale_f32 v44, s[4:5], v7, v7, v3
	v_rcp_f32_e32 v47, v40
	v_rcp_f32_e32 v48, v42
	;; [unrolled: 1-line block ×3, first 2 shown]
	v_fma_f32 v50, -v38, v46, 1.0
	v_div_scale_f32 v39, vcc, v35, v0, v35
	v_fma_f32 v51, -v40, v47, 1.0
	v_fmac_f32_e32 v46, v50, v46
	v_div_scale_f32 v41, s[0:1], v36, v1, v36
	v_fma_f32 v52, -v42, v48, 1.0
	v_fma_f32 v53, -v44, v49, 1.0
	v_fmac_f32_e32 v47, v51, v47
	v_mul_f32_e32 v50, v39, v46
	v_div_scale_f32 v43, s[2:3], v37, v6, v37
	v_fmac_f32_e32 v48, v52, v48
	v_fmac_f32_e32 v49, v53, v49
	v_mul_f32_e32 v51, v41, v47
	v_fma_f32 v53, -v38, v50, v39
	v_mul_f32_e32 v52, v43, v48
	v_fmac_f32_e32 v50, v53, v46
	v_fma_f32 v53, -v40, v51, v41
	v_div_scale_f32 v45, s[4:5], v3, v7, v3
	v_fmac_f32_e32 v51, v53, v47
	v_fma_f32 v53, -v42, v52, v43
	v_fmac_f32_e32 v52, v53, v48
	v_mul_f32_e32 v53, v45, v49
	v_fma_f32 v38, -v38, v50, v39
	v_fma_f32 v54, -v44, v53, v45
	;; [unrolled: 1-line block ×3, first 2 shown]
	v_div_fmas_f32 v38, v38, v46, v50
	s_mov_b64 vcc, s[0:1]
	v_fmac_f32_e32 v53, v54, v49
	v_fma_f32 v40, -v42, v52, v43
	v_div_fixup_f32 v35, v38, v0, v35
	v_div_fmas_f32 v38, v39, v47, v51
	s_mov_b64 vcc, s[2:3]
	v_fma_f32 v41, -v44, v53, v45
	v_div_fixup_f32 v36, v38, v1, v36
	v_div_fmas_f32 v38, v40, v48, v52
	s_mov_b64 vcc, s[4:5]
	v_div_fixup_f32 v37, v38, v6, v37
	v_div_fmas_f32 v38, v41, v49, v53
	v_div_fixup_f32 v3, v38, v7, v3
	v_max_f32_e32 v35, v35, v29
	v_max_f32_e32 v36, v36, v28
	;; [unrolled: 1-line block ×4, first 2 shown]
	v_min_f32_e32 v35, v35, v30
	v_min_f32_e32 v36, v36, v31
	;; [unrolled: 1-line block ×4, first 2 shown]
	v_cvt_i32_f32_e32 v35, v35
	v_cvt_i32_f32_sdwa v36, v36 dst_sel:BYTE_1 dst_unused:UNUSED_PAD src0_sel:DWORD
	v_cvt_i32_f32_e32 v37, v37
	v_cvt_i32_f32_sdwa v3, v3 dst_sel:BYTE_1 dst_unused:UNUSED_PAD src0_sel:DWORD
	v_add_u32_e32 v34, -4, v34
	v_cmp_eq_u32_e64 s[6:7], 0, v34
	global_store_byte v[16:17], v35, off
	v_lshrrev_b32_e32 v16, 8, v36
	v_or_b32_sdwa v3, v37, v3 dst_sel:DWORD dst_unused:UNUSED_PAD src0_sel:BYTE_0 src1_sel:DWORD
	v_add_u32_e32 v11, 64, v11
	v_add_u32_e32 v10, 64, v10
	;; [unrolled: 1-line block ×5, first 2 shown]
	s_or_b64 s[18:19], s[6:7], s[18:19]
	global_store_byte v[4:5], v16, off
	global_store_byte v[12:13], v3, off
	v_lshrrev_b32_e32 v3, 8, v3
	global_store_byte v[14:15], v3, off
	s_andn2_b64 exec, exec, s[18:19]
	s_cbranch_execnz .LBB25_35
; %bb.36:
	s_or_b64 exec, exec, s[18:19]
	v_cmp_ne_u32_e32 vcc, v23, v24
	v_lshl_add_u32 v2, v24, 4, v2
	s_and_b64 s[0:1], vcc, exec
                                        ; implicit-def: $vgpr9
	s_andn2_saveexec_b64 s[2:3], s[16:17]
	s_cbranch_execz .LBB25_33
.LBB25_37:
	v_lshlrev_b32_e32 v22, 1, v9
	s_or_b64 s[0:1], s[0:1], exec
	s_or_b64 exec, exec, s[2:3]
	s_and_b64 exec, exec, s[0:1]
	s_cbranch_execz .LBB25_40
.LBB25_38:
	v_lshl_add_u32 v1, v2, 1, v22
	v_add3_u32 v3, v1, v19, 0
	v_ashrrev_i32_e32 v1, 31, v2
	s_mov_b64 s[2:3], 0
	v_max_f32_e64 v4, s10, s10
	v_max_f32_e64 v5, s11, s11
.LBB25_39:                              ; =>This Inner Loop Header: Depth=1
	ds_read_u16 v8, v3
	v_add_co_u32_e32 v6, vcc, v20, v2
	v_addc_co_u32_e32 v7, vcc, v21, v1, vcc
	s_waitcnt lgkmcnt(0)
	v_lshlrev_b32_e32 v8, 16, v8
	v_div_scale_f32 v9, s[4:5], v0, v0, v8
	v_rcp_f32_e32 v10, v9
	v_div_scale_f32 v11, vcc, v8, v0, v8
	v_add_co_u32_e64 v2, s[0:1], 16, v2
	v_fma_f32 v12, -v9, v10, 1.0
	v_fmac_f32_e32 v10, v12, v10
	v_mul_f32_e32 v12, v11, v10
	v_fma_f32 v13, -v9, v12, v11
	v_fmac_f32_e32 v12, v13, v10
	v_fma_f32 v9, -v9, v12, v11
	v_div_fmas_f32 v9, v9, v10, v12
	v_div_fixup_f32 v8, v9, v0, v8
	v_max_f32_e32 v8, v8, v4
	v_min_f32_e32 v8, v8, v5
	v_cvt_i32_f32_e32 v8, v8
	v_addc_co_u32_e64 v1, vcc, 0, v1, s[0:1]
	v_cmp_ge_i32_e32 vcc, v2, v18
	v_add_u32_e32 v3, 32, v3
	s_or_b64 s[2:3], vcc, s[2:3]
	global_store_byte v[6:7], v8, off
	s_andn2_b64 exec, exec, s[2:3]
	s_cbranch_execnz .LBB25_39
.LBB25_40:
	s_or_b64 exec, exec, s[14:15]
                                        ; implicit-def: $vgpr8
                                        ; implicit-def: $vgpr0
                                        ; implicit-def: $vgpr9
                                        ; implicit-def: $vgpr2_vgpr3
.LBB25_41:
	s_andn2_saveexec_b64 s[0:1], s[12:13]
	s_cbranch_execz .LBB25_45
; %bb.42:
	s_ashr_i32 s16, s20, 3
	v_cmp_gt_i32_e32 vcc, s16, v8
	s_and_saveexec_b64 s[0:1], vcc
	s_cbranch_execz .LBB25_45
; %bb.43:
	v_lshlrev_b32_e32 v1, 1, v9
	v_lshlrev_b32_e32 v4, 4, v8
	v_add3_u32 v1, v1, v4, 0
	v_lshlrev_b32_e32 v4, 3, v8
	v_add_co_u32_e32 v2, vcc, v2, v4
	v_addc_co_u32_e32 v3, vcc, 0, v3, vcc
	v_mov_b32_e32 v4, s9
	v_add_co_u32_e32 v6, vcc, s8, v2
	v_addc_co_u32_e32 v7, vcc, v4, v3, vcc
	s_mov_b64 s[14:15], 0
	v_max_f32_e64 v9, s10, s10
	v_max_f32_e64 v10, s11, s11
	v_mov_b32_e32 v11, 8
.LBB25_44:                              ; =>This Inner Loop Header: Depth=1
	ds_read_b128 v[2:5], v1
	v_add_u32_e32 v8, 16, v8
	v_cmp_le_i32_e32 vcc, s16, v8
	s_or_b64 s[14:15], vcc, s[14:15]
	v_add_u32_e32 v1, 0x100, v1
	s_waitcnt lgkmcnt(0)
	v_lshlrev_b32_e32 v12, 16, v2
	v_and_b32_e32 v2, 0xffff0000, v2
	v_div_scale_f32 v16, s[0:1], v0, v0, v12
	v_lshlrev_b32_e32 v13, 16, v3
	v_div_scale_f32 v18, s[0:1], v0, v0, v2
	v_rcp_f32_e32 v32, v16
	v_and_b32_e32 v3, 0xffff0000, v3
	v_div_scale_f32 v20, s[2:3], v0, v0, v13
	v_rcp_f32_e32 v33, v18
	v_lshlrev_b32_e32 v14, 16, v4
	v_div_scale_f32 v22, s[4:5], v0, v0, v3
	v_rcp_f32_e32 v34, v20
	v_and_b32_e32 v4, 0xffff0000, v4
	v_div_scale_f32 v24, s[6:7], v0, v0, v14
	v_rcp_f32_e32 v35, v22
	v_lshlrev_b32_e32 v15, 16, v5
	v_div_scale_f32 v26, s[8:9], v0, v0, v4
	v_rcp_f32_e32 v36, v24
	v_fma_f32 v40, -v16, v32, 1.0
	v_div_scale_f32 v17, vcc, v12, v0, v12
	v_div_scale_f32 v28, s[10:11], v0, v0, v15
	v_rcp_f32_e32 v37, v26
	v_fma_f32 v41, -v18, v33, 1.0
	v_fmac_f32_e32 v32, v40, v32
	v_and_b32_e32 v5, 0xffff0000, v5
	v_div_scale_f32 v19, s[0:1], v2, v0, v2
	v_rcp_f32_e32 v38, v28
	v_fma_f32 v42, -v20, v34, 1.0
	v_fmac_f32_e32 v33, v41, v33
	v_mul_f32_e32 v40, v17, v32
	v_div_scale_f32 v21, s[2:3], v13, v0, v13
	v_div_scale_f32 v30, s[12:13], v0, v0, v5
	v_fma_f32 v43, -v22, v35, 1.0
	v_fmac_f32_e32 v34, v42, v34
	v_mul_f32_e32 v41, v19, v33
	v_fma_f32 v48, -v16, v40, v17
	v_div_scale_f32 v23, s[4:5], v3, v0, v3
	v_rcp_f32_e32 v39, v30
	v_fma_f32 v44, -v24, v36, 1.0
	v_fmac_f32_e32 v35, v43, v35
	v_mul_f32_e32 v42, v21, v34
	v_fma_f32 v49, -v18, v41, v19
	v_fmac_f32_e32 v40, v48, v32
	v_div_scale_f32 v25, s[6:7], v14, v0, v14
	v_fma_f32 v45, -v26, v37, 1.0
	v_fmac_f32_e32 v36, v44, v36
	v_mul_f32_e32 v43, v23, v35
	v_fma_f32 v50, -v20, v42, v21
	v_fmac_f32_e32 v41, v49, v33
	v_fma_f32 v16, -v16, v40, v17
	v_div_scale_f32 v27, s[8:9], v4, v0, v4
	v_fma_f32 v46, -v28, v38, 1.0
	v_fmac_f32_e32 v37, v45, v37
	v_mul_f32_e32 v44, v25, v36
	v_fma_f32 v51, -v22, v43, v23
	v_fmac_f32_e32 v42, v50, v34
	v_fma_f32 v17, -v18, v41, v19
	v_div_fmas_f32 v16, v16, v32, v40
	s_mov_b64 vcc, s[0:1]
	v_div_scale_f32 v29, s[10:11], v15, v0, v15
	v_fmac_f32_e32 v38, v46, v38
	v_mul_f32_e32 v45, v27, v37
	v_fma_f32 v52, -v24, v44, v25
	v_fmac_f32_e32 v43, v51, v35
	v_fma_f32 v18, -v20, v42, v21
	v_div_fixup_f32 v12, v16, v0, v12
	v_div_fmas_f32 v16, v17, v33, v41
	s_mov_b64 vcc, s[2:3]
	v_fma_f32 v47, -v30, v39, 1.0
	v_mul_f32_e32 v46, v29, v38
	v_fma_f32 v53, -v26, v45, v27
	v_fmac_f32_e32 v44, v52, v36
	v_fma_f32 v19, -v22, v43, v23
	v_div_fixup_f32 v2, v16, v0, v2
	v_div_fmas_f32 v16, v18, v34, v42
	s_mov_b64 vcc, s[4:5]
	v_div_scale_f32 v31, s[12:13], v5, v0, v5
	v_fmac_f32_e32 v39, v47, v39
	v_fma_f32 v54, -v28, v46, v29
	v_fmac_f32_e32 v45, v53, v37
	v_fma_f32 v20, -v24, v44, v25
	v_div_fixup_f32 v13, v16, v0, v13
	v_div_fmas_f32 v16, v19, v35, v43
	s_mov_b64 vcc, s[6:7]
	v_mul_f32_e32 v47, v31, v39
	v_fmac_f32_e32 v46, v54, v38
	v_fma_f32 v21, -v26, v45, v27
	v_div_fixup_f32 v3, v16, v0, v3
	v_div_fmas_f32 v16, v20, v36, v44
	s_mov_b64 vcc, s[8:9]
	v_fma_f32 v55, -v30, v47, v31
	v_fma_f32 v22, -v28, v46, v29
	v_div_fixup_f32 v14, v16, v0, v14
	v_div_fmas_f32 v16, v21, v37, v45
	s_mov_b64 vcc, s[10:11]
	v_fmac_f32_e32 v47, v55, v39
	v_max_f32_e32 v13, v13, v9
	v_div_fixup_f32 v4, v16, v0, v4
	v_div_fmas_f32 v16, v22, v38, v46
	v_fma_f32 v23, -v30, v47, v31
	v_max_f32_e32 v2, v2, v9
	v_min_f32_e32 v13, v13, v10
	v_div_fixup_f32 v15, v16, v0, v15
	s_mov_b64 vcc, s[12:13]
	v_min_f32_e32 v2, v2, v10
	v_max_f32_e32 v3, v3, v9
	v_cvt_i32_f32_e32 v13, v13
	v_max_f32_e32 v4, v4, v9
	v_div_fmas_f32 v16, v23, v39, v47
	v_max_f32_e32 v15, v15, v9
	v_cvt_i32_f32_e32 v2, v2
	v_min_f32_e32 v3, v3, v10
	v_min_f32_e32 v4, v4, v10
	v_div_fixup_f32 v5, v16, v0, v5
	v_min_f32_e32 v15, v15, v10
	v_max_f32_e32 v14, v14, v9
	v_cvt_i32_f32_sdwa v3, v3 dst_sel:BYTE_3 dst_unused:UNUSED_PAD src0_sel:DWORD
	v_cvt_i32_f32_e32 v4, v4
	v_max_f32_e32 v5, v5, v9
	v_cvt_i32_f32_e32 v15, v15
	v_max_f32_e32 v12, v12, v9
	v_min_f32_e32 v14, v14, v10
	v_min_f32_e32 v5, v5, v10
	;; [unrolled: 1-line block ×3, first 2 shown]
	v_cvt_i32_f32_e32 v14, v14
	v_and_b32_e32 v13, 0xff, v13
	v_cvt_i32_f32_sdwa v5, v5 dst_sel:BYTE_3 dst_unused:UNUSED_PAD src0_sel:DWORD
	v_cvt_i32_f32_e32 v12, v12
	v_lshlrev_b32_sdwa v2, v11, v2 dst_sel:DWORD dst_unused:UNUSED_PAD src0_sel:DWORD src1_sel:BYTE_0
	v_lshlrev_b32_e32 v13, 16, v13
	v_or3_b32 v2, v3, v13, v2
	v_lshlrev_b32_sdwa v3, v11, v4 dst_sel:DWORD dst_unused:UNUSED_PAD src0_sel:DWORD src1_sel:BYTE_0
	v_and_b32_e32 v4, 0xff, v15
	v_lshlrev_b32_e32 v4, 16, v4
	v_and_b32_e32 v14, 0xff, v14
	v_or_b32_e32 v4, v5, v4
	v_or_b32_sdwa v2, v2, v12 dst_sel:DWORD dst_unused:UNUSED_PAD src0_sel:DWORD src1_sel:BYTE_0
	v_or3_b32 v3, v4, v3, v14
	global_store_dwordx2 v[6:7], v[2:3], off
	v_add_co_u32_e32 v6, vcc, 0x80, v6
	v_addc_co_u32_e32 v7, vcc, 0, v7, vcc
	s_andn2_b64 exec, exec, s[14:15]
	s_cbranch_execnz .LBB25_44
.LBB25_45:
	s_endpgm
	.section	.rodata,"a",@progbits
	.p2align	6, 0x0
	.amdhsa_kernel _Z33per_token_group_quant_8bit_kernelIN3c108BFloat16EaLb1ELb0EfEvPKT_PvPT3_iiifffii
		.amdhsa_group_segment_fixed_size 0
		.amdhsa_private_segment_fixed_size 0
		.amdhsa_kernarg_size 56
		.amdhsa_user_sgpr_count 6
		.amdhsa_user_sgpr_private_segment_buffer 1
		.amdhsa_user_sgpr_dispatch_ptr 0
		.amdhsa_user_sgpr_queue_ptr 0
		.amdhsa_user_sgpr_kernarg_segment_ptr 1
		.amdhsa_user_sgpr_dispatch_id 0
		.amdhsa_user_sgpr_flat_scratch_init 0
		.amdhsa_user_sgpr_kernarg_preload_length 0
		.amdhsa_user_sgpr_kernarg_preload_offset 0
		.amdhsa_user_sgpr_private_segment_size 0
		.amdhsa_uses_dynamic_stack 0
		.amdhsa_system_sgpr_private_segment_wavefront_offset 0
		.amdhsa_system_sgpr_workgroup_id_x 1
		.amdhsa_system_sgpr_workgroup_id_y 0
		.amdhsa_system_sgpr_workgroup_id_z 0
		.amdhsa_system_sgpr_workgroup_info 0
		.amdhsa_system_vgpr_workitem_id 0
		.amdhsa_next_free_vgpr 56
		.amdhsa_next_free_sgpr 21
		.amdhsa_accum_offset 56
		.amdhsa_reserve_vcc 1
		.amdhsa_reserve_flat_scratch 0
		.amdhsa_float_round_mode_32 0
		.amdhsa_float_round_mode_16_64 0
		.amdhsa_float_denorm_mode_32 3
		.amdhsa_float_denorm_mode_16_64 3
		.amdhsa_dx10_clamp 1
		.amdhsa_ieee_mode 1
		.amdhsa_fp16_overflow 0
		.amdhsa_tg_split 0
		.amdhsa_exception_fp_ieee_invalid_op 0
		.amdhsa_exception_fp_denorm_src 0
		.amdhsa_exception_fp_ieee_div_zero 0
		.amdhsa_exception_fp_ieee_overflow 0
		.amdhsa_exception_fp_ieee_underflow 0
		.amdhsa_exception_fp_ieee_inexact 0
		.amdhsa_exception_int_div_zero 0
	.end_amdhsa_kernel
	.section	.text._Z33per_token_group_quant_8bit_kernelIN3c108BFloat16EaLb1ELb0EfEvPKT_PvPT3_iiifffii,"axG",@progbits,_Z33per_token_group_quant_8bit_kernelIN3c108BFloat16EaLb1ELb0EfEvPKT_PvPT3_iiifffii,comdat
.Lfunc_end25:
	.size	_Z33per_token_group_quant_8bit_kernelIN3c108BFloat16EaLb1ELb0EfEvPKT_PvPT3_iiifffii, .Lfunc_end25-_Z33per_token_group_quant_8bit_kernelIN3c108BFloat16EaLb1ELb0EfEvPKT_PvPT3_iiifffii
                                        ; -- End function
	.section	.AMDGPU.csdata,"",@progbits
; Kernel info:
; codeLenInByte = 5324
; NumSgprs: 25
; NumVgprs: 56
; NumAgprs: 0
; TotalNumVgprs: 56
; ScratchSize: 0
; MemoryBound: 0
; FloatMode: 240
; IeeeMode: 1
; LDSByteSize: 0 bytes/workgroup (compile time only)
; SGPRBlocks: 3
; VGPRBlocks: 6
; NumSGPRsForWavesPerEU: 25
; NumVGPRsForWavesPerEU: 56
; AccumOffset: 56
; Occupancy: 8
; WaveLimiterHint : 0
; COMPUTE_PGM_RSRC2:SCRATCH_EN: 0
; COMPUTE_PGM_RSRC2:USER_SGPR: 6
; COMPUTE_PGM_RSRC2:TRAP_HANDLER: 0
; COMPUTE_PGM_RSRC2:TGID_X_EN: 1
; COMPUTE_PGM_RSRC2:TGID_Y_EN: 0
; COMPUTE_PGM_RSRC2:TGID_Z_EN: 0
; COMPUTE_PGM_RSRC2:TIDIG_COMP_CNT: 0
; COMPUTE_PGM_RSRC3_GFX90A:ACCUM_OFFSET: 13
; COMPUTE_PGM_RSRC3_GFX90A:TG_SPLIT: 0
	.section	.text._Z33per_token_group_quant_8bit_kernelIN3c108BFloat16EaLb0ELb1EfEvPKT_PvPT3_iiifffii,"axG",@progbits,_Z33per_token_group_quant_8bit_kernelIN3c108BFloat16EaLb0ELb1EfEvPKT_PvPT3_iiifffii,comdat
	.protected	_Z33per_token_group_quant_8bit_kernelIN3c108BFloat16EaLb0ELb1EfEvPKT_PvPT3_iiifffii ; -- Begin function _Z33per_token_group_quant_8bit_kernelIN3c108BFloat16EaLb0ELb1EfEvPKT_PvPT3_iiifffii
	.globl	_Z33per_token_group_quant_8bit_kernelIN3c108BFloat16EaLb0ELb1EfEvPKT_PvPT3_iiifffii
	.p2align	8
	.type	_Z33per_token_group_quant_8bit_kernelIN3c108BFloat16EaLb0ELb1EfEvPKT_PvPT3_iiifffii,@function
_Z33per_token_group_quant_8bit_kernelIN3c108BFloat16EaLb0ELb1EfEvPKT_PvPT3_iiifffii: ; @_Z33per_token_group_quant_8bit_kernelIN3c108BFloat16EaLb0ELb1EfEvPKT_PvPT3_iiifffii
; %bb.0:
	s_load_dword s20, s[4:5], 0x18
	s_load_dwordx4 s[8:11], s[4:5], 0x20
	s_load_dwordx2 s[2:3], s[4:5], 0x0
	v_lshrrev_b32_e32 v6, 4, v0
	v_and_b32_e32 v10, 15, v0
	s_waitcnt lgkmcnt(0)
	s_ashr_i32 s7, s20, 31
	s_mul_i32 s6, s6, s8
	v_add_co_u32_e32 v4, vcc, s6, v6
	v_addc_co_u32_e64 v5, s[0:1], 0, 0, vcc
	v_mul_lo_u32 v0, v5, s20
	v_mul_lo_u32 v1, v4, s7
	v_mad_u64_u32 v[2:3], s[0:1], v4, s20, 0
	v_add3_u32 v3, v3, v1, v0
	v_lshlrev_b64 v[0:1], 1, v[2:3]
	s_and_b32 s6, s20, 7
	v_mov_b32_e32 v8, s3
	v_add_co_u32_e32 v7, vcc, s2, v0
	s_cmp_eq_u32 s6, 0
	v_addc_co_u32_e32 v8, vcc, v8, v1, vcc
	v_mov_b32_e32 v15, 0
	v_and_b32_e32 v14, 15, v7
	s_cselect_b64 s[0:1], -1, 0
	s_cmp_lg_u32 s6, 0
	v_mul_lo_u32 v11, v6, s20
	v_cmp_ne_u64_e32 vcc, 0, v[14:15]
	s_cselect_b64 s[6:7], -1, 0
	v_lshl_add_u32 v12, v11, 1, 0
	s_or_b64 s[6:7], s[6:7], vcc
                                        ; implicit-def: $vgpr13
	s_and_saveexec_b64 s[12:13], s[6:7]
	s_xor_b64 s[6:7], exec, s[12:13]
	s_cbranch_execz .LBB26_12
; %bb.1:
	v_sub_u32_e32 v6, 0, v7
	v_bfe_u32 v6, v6, 1, 3
	v_min_i32_e32 v6, s20, v6
	v_cmp_gt_i32_e32 vcc, v6, v10
	v_mov_b32_e32 v13, s9
	s_and_saveexec_b64 s[12:13], vcc
	s_cbranch_execz .LBB26_3
; %bb.2:
	v_lshlrev_b32_e32 v9, 1, v10
	v_add_co_u32_e32 v14, vcc, v7, v9
	v_addc_co_u32_e32 v15, vcc, 0, v8, vcc
	global_load_ushort v7, v[14:15], off
	v_max_f32_e64 v8, s9, s9
	v_add_u32_e32 v9, v12, v9
	s_waitcnt vmcnt(0)
	v_lshlrev_b32_e32 v13, 16, v7
	v_max_f32_e64 v13, |v13|, |v13|
	v_max_f32_e32 v13, v8, v13
	ds_write_b16 v9, v7
.LBB26_3:
	s_or_b64 exec, exec, s[12:13]
	v_sub_u32_e32 v14, s20, v6
	v_ashrrev_i32_e32 v8, 31, v14
	v_lshrrev_b32_e32 v8, 29, v8
	v_add_u32_e32 v8, v14, v8
	v_ashrrev_i32_e32 v7, 31, v6
	v_ashrrev_i32_e32 v15, 3, v8
	v_cmp_gt_i32_e32 vcc, v15, v10
	v_lshlrev_b32_e32 v16, 1, v6
	v_lshlrev_b64 v[6:7], 1, v[6:7]
	s_and_saveexec_b64 s[12:13], vcc
	s_cbranch_execz .LBB26_7
; %bb.4:
	v_lshlrev_b32_e32 v8, 4, v10
	v_lshl_add_u32 v9, v11, 1, v8
	v_add_co_u32_e32 v8, vcc, v0, v8
	v_add3_u32 v17, v9, v16, 0
	v_addc_co_u32_e32 v9, vcc, 0, v1, vcc
	v_add_co_u32_e32 v8, vcc, v8, v6
	v_addc_co_u32_e32 v9, vcc, v9, v7, vcc
	v_mov_b32_e32 v18, s3
	v_add_co_u32_e32 v8, vcc, s2, v8
	v_addc_co_u32_e32 v9, vcc, v9, v18, vcc
	v_add_co_u32_e32 v8, vcc, 8, v8
	v_addc_co_u32_e32 v9, vcc, 0, v9, vcc
	s_mov_b64 s[14:15], 0
	v_mov_b32_e32 v18, v10
.LBB26_5:                               ; =>This Inner Loop Header: Depth=1
	global_load_dwordx4 v[20:23], v[8:9], off offset:-8
	v_add_co_u32_e32 v8, vcc, 0x100, v8
	v_add_u32_e32 v18, 16, v18
	v_addc_co_u32_e32 v9, vcc, 0, v9, vcc
	v_cmp_ge_i32_e32 vcc, v18, v15
	s_or_b64 s[14:15], vcc, s[14:15]
	s_waitcnt vmcnt(0)
	v_lshlrev_b32_e32 v19, 16, v20
	v_and_b32_e32 v24, 0xffff0000, v20
	v_lshlrev_b32_e32 v25, 16, v21
	v_and_b32_e32 v26, 0xffff0000, v21
	v_max3_f32 v13, v13, |v19|, |v24|
	v_lshlrev_b32_e32 v27, 16, v22
	v_and_b32_e32 v28, 0xffff0000, v22
	v_max3_f32 v13, v13, |v25|, |v26|
	;; [unrolled: 3-line block ×3, first 2 shown]
	ds_write_b128 v17, v[20:23]
	v_add_u32_e32 v17, 0x100, v17
	v_max3_f32 v13, v13, |v29|, |v30|
	s_andn2_b64 exec, exec, s[14:15]
	s_cbranch_execnz .LBB26_5
; %bb.6:
	s_or_b64 exec, exec, s[14:15]
.LBB26_7:
	s_or_b64 exec, exec, s[12:13]
	v_lshl_add_u32 v8, v15, 3, v10
	v_cmp_lt_i32_e32 vcc, v8, v14
	s_and_saveexec_b64 s[12:13], vcc
	s_cbranch_execz .LBB26_11
; %bb.8:
	v_lshlrev_b32_e32 v9, 1, v11
	v_lshlrev_b32_e32 v15, 4, v15
	v_add3_u32 v9, v9, v15, v16
	v_lshlrev_b32_e32 v15, 1, v10
	v_add3_u32 v15, v9, v15, 0
	v_add_co_u32_e32 v6, vcc, v0, v6
	v_ashrrev_i32_e32 v9, 31, v8
	v_addc_co_u32_e32 v7, vcc, v1, v7, vcc
	v_lshlrev_b64 v[0:1], 1, v[8:9]
	v_add_co_u32_e32 v0, vcc, v6, v0
	v_addc_co_u32_e32 v1, vcc, v7, v1, vcc
	v_mov_b32_e32 v6, s3
	v_add_co_u32_e32 v0, vcc, s2, v0
	v_addc_co_u32_e32 v1, vcc, v6, v1, vcc
	s_mov_b64 s[14:15], 0
.LBB26_9:                               ; =>This Inner Loop Header: Depth=1
	global_load_ushort v6, v[0:1], off
	v_add_co_u32_e32 v0, vcc, 32, v0
	v_add_u32_e32 v8, 16, v8
	v_addc_co_u32_e32 v1, vcc, 0, v1, vcc
	v_max_f32_e32 v7, v13, v13
	v_cmp_ge_i32_e32 vcc, v8, v14
	s_or_b64 s[14:15], vcc, s[14:15]
	s_waitcnt vmcnt(0)
	v_lshlrev_b32_e32 v9, 16, v6
	ds_write_b16 v15, v6
	v_max_f32_e64 v6, |v9|, |v9|
	v_add_u32_e32 v15, 32, v15
	v_max_f32_e32 v13, v7, v6
	s_andn2_b64 exec, exec, s[14:15]
	s_cbranch_execnz .LBB26_9
; %bb.10:
	s_or_b64 exec, exec, s[14:15]
.LBB26_11:
	s_or_b64 exec, exec, s[12:13]
                                        ; implicit-def: $vgpr0_vgpr1
.LBB26_12:
	s_andn2_saveexec_b64 s[6:7], s[6:7]
	s_cbranch_execz .LBB26_18
; %bb.13:
	s_ashr_i32 s8, s20, 3
	v_cmp_gt_i32_e32 vcc, s8, v10
	v_mov_b32_e32 v13, s9
	s_and_saveexec_b64 s[12:13], vcc
	s_cbranch_execz .LBB26_17
; %bb.14:
	v_lshlrev_b32_e32 v7, 4, v10
	v_add_co_u32_e32 v0, vcc, v0, v7
	v_lshlrev_b32_e32 v6, 1, v11
	v_addc_co_u32_e32 v1, vcc, 0, v1, vcc
	v_add3_u32 v6, v6, v7, 0
	v_mov_b32_e32 v7, s3
	v_add_co_u32_e32 v0, vcc, s2, v0
	v_addc_co_u32_e32 v1, vcc, v1, v7, vcc
	v_add_co_u32_e32 v0, vcc, 8, v0
	v_addc_co_u32_e32 v1, vcc, 0, v1, vcc
	s_mov_b64 s[2:3], 0
	v_mov_b32_e32 v13, s9
	v_mov_b32_e32 v7, v10
.LBB26_15:                              ; =>This Inner Loop Header: Depth=1
	global_load_dwordx4 v[14:17], v[0:1], off offset:-8
	v_add_co_u32_e32 v0, vcc, 0x100, v0
	v_add_u32_e32 v7, 16, v7
	v_addc_co_u32_e32 v1, vcc, 0, v1, vcc
	v_cmp_le_i32_e32 vcc, s8, v7
	s_or_b64 s[2:3], vcc, s[2:3]
	s_waitcnt vmcnt(0)
	v_lshlrev_b32_e32 v8, 16, v14
	v_and_b32_e32 v9, 0xffff0000, v14
	v_lshlrev_b32_e32 v18, 16, v15
	v_and_b32_e32 v19, 0xffff0000, v15
	v_max3_f32 v8, v13, |v8|, |v9|
	v_lshlrev_b32_e32 v20, 16, v16
	v_and_b32_e32 v21, 0xffff0000, v16
	v_max3_f32 v8, v8, |v18|, |v19|
	;; [unrolled: 3-line block ×3, first 2 shown]
	ds_write_b128 v6, v[14:17]
	v_add_u32_e32 v6, 0x100, v6
	v_max3_f32 v13, v8, |v22|, |v23|
	s_andn2_b64 exec, exec, s[2:3]
	s_cbranch_execnz .LBB26_15
; %bb.16:
	s_or_b64 exec, exec, s[2:3]
.LBB26_17:
	s_or_b64 exec, exec, s[12:13]
.LBB26_18:
	s_or_b64 exec, exec, s[6:7]
	v_mbcnt_lo_u32_b32 v0, -1, 0
	v_mbcnt_hi_u32_b32 v0, -1, v0
	v_and_b32_e32 v6, 0x70, v0
	v_xor_b32_e32 v1, 8, v0
	v_add_u32_e32 v6, 16, v6
	v_cmp_lt_i32_e32 vcc, v1, v6
	v_cndmask_b32_e32 v1, v0, v1, vcc
	v_lshlrev_b32_e32 v1, 2, v1
	ds_bpermute_b32 v1, v1, v13
	v_xor_b32_e32 v8, 4, v0
	v_max_f32_e32 v7, v13, v13
	v_cmp_lt_i32_e32 vcc, v8, v6
	s_load_dwordx2 s[8:9], s[4:5], 0x8
	s_waitcnt lgkmcnt(0)
	v_max_f32_e32 v1, v1, v1
	v_max_f32_e32 v1, v7, v1
	v_cndmask_b32_e32 v7, v0, v8, vcc
	v_lshlrev_b32_e32 v7, 2, v7
	ds_bpermute_b32 v7, v7, v1
	v_xor_b32_e32 v8, 2, v0
	v_cmp_lt_i32_e32 vcc, v8, v6
	s_waitcnt lgkmcnt(0)
	v_max_f32_e32 v7, v7, v7
	v_max_f32_e32 v1, v1, v7
	v_cndmask_b32_e32 v7, v0, v8, vcc
	v_lshlrev_b32_e32 v7, 2, v7
	ds_bpermute_b32 v7, v7, v1
	v_xor_b32_e32 v8, 1, v0
	v_cmp_lt_i32_e32 vcc, v8, v6
	v_cndmask_b32_e32 v0, v0, v8, vcc
	v_lshlrev_b32_e32 v0, 2, v0
	s_waitcnt lgkmcnt(0)
	v_max_f32_e32 v7, v7, v7
	v_max_f32_e32 v1, v1, v7
	ds_bpermute_b32 v0, v0, v1
	s_waitcnt lgkmcnt(0)
	v_max_f32_e32 v0, v0, v0
	v_max_f32_e32 v0, v1, v0
	v_div_scale_f32 v1, s[2:3], s11, s11, v0
	v_rcp_f32_e32 v6, v1
	v_div_scale_f32 v7, vcc, v0, s11, v0
	s_mov_b32 s2, 0x2edbe6ff
	v_fma_f32 v8, -v1, v6, 1.0
	v_fmac_f32_e32 v6, v8, v6
	v_mul_f32_e32 v8, v7, v6
	v_fma_f32 v9, -v1, v8, v7
	v_fmac_f32_e32 v8, v9, v6
	v_fma_f32 v1, -v1, v8, v7
	v_div_fmas_f32 v1, v1, v6, v8
	v_div_fixup_f32 v0, v1, s11, v0
	v_max_f32_e64 v0, |v0|, s2
	s_mov_b32 s2, 0x800000
	v_mov_b32_e32 v1, 0x4f800000
	v_cmp_gt_f32_e32 vcc, s2, v0
	v_cndmask_b32_e32 v1, 1.0, v1, vcc
	v_mul_f32_e32 v0, v0, v1
	v_log_f32_e32 v0, v0
	v_mov_b32_e32 v1, 0x42000000
	v_cndmask_b32_e32 v1, 0, v1, vcc
	s_mov_b32 s2, 0xc2fc0000
	v_sub_f32_e32 v0, v0, v1
	v_ceil_f32_e32 v0, v0
	v_mov_b32_e32 v1, 0x42800000
	v_cmp_gt_f32_e32 vcc, s2, v0
	v_cndmask_b32_e32 v1, 0, v1, vcc
	v_add_f32_e32 v0, v0, v1
	v_exp_f32_e32 v0, v0
	v_mov_b32_e32 v1, 0x1f800000
	v_cndmask_b32_e32 v1, 1.0, v1, vcc
	v_cmp_eq_u32_e32 vcc, 0, v10
	v_mul_f32_e32 v0, v0, v1
	s_and_saveexec_b64 s[2:3], vcc
	s_cbranch_execz .LBB26_20
; %bb.19:
	s_load_dwordx2 s[4:5], s[4:5], 0x10
	v_lshlrev_b64 v[4:5], 2, v[4:5]
	s_waitcnt lgkmcnt(0)
	v_mov_b32_e32 v1, s5
	v_add_co_u32_e32 v4, vcc, s4, v4
	v_addc_co_u32_e32 v5, vcc, v1, v5, vcc
	global_store_dword v[4:5], v0, off
.LBB26_20:
	s_or_b64 exec, exec, s[2:3]
	v_and_b32_e32 v4, 15, v12
	v_mov_b32_e32 v5, 0
	v_cmp_ne_u64_e32 vcc, 0, v[4:5]
	s_xor_b64 s[0:1], s[0:1], -1
	s_or_b64 s[0:1], s[0:1], vcc
	s_barrier
	s_and_saveexec_b64 s[2:3], s[0:1]
	s_xor_b64 s[12:13], exec, s[2:3]
	s_cbranch_execz .LBB26_37
; %bb.21:
	v_sub_u32_e32 v5, 0, v12
	v_mov_b32_e32 v4, s9
	v_add_co_u32_e32 v1, vcc, s8, v2
	v_bfe_u32 v5, v5, 1, 3
	v_addc_co_u32_e32 v4, vcc, v4, v3, vcc
	v_min_i32_e32 v8, s20, v5
	v_cmp_gt_i32_e32 vcc, v8, v10
	s_and_saveexec_b64 s[0:1], vcc
	s_cbranch_execz .LBB26_23
; %bb.22:
	v_lshl_add_u32 v5, v10, 1, v12
	ds_read_u16 v5, v5
	v_max_f32_e64 v6, s10, s10
	v_max_f32_e64 v12, s11, s11
	s_waitcnt lgkmcnt(0)
	v_lshlrev_b32_e32 v5, 16, v5
	v_div_scale_f32 v7, s[2:3], v0, v0, v5
	v_rcp_f32_e32 v9, v7
	v_div_scale_f32 v13, vcc, v5, v0, v5
	v_fma_f32 v14, -v7, v9, 1.0
	v_fmac_f32_e32 v9, v14, v9
	v_mul_f32_e32 v14, v13, v9
	v_fma_f32 v15, -v7, v14, v13
	v_fmac_f32_e32 v14, v15, v9
	v_fma_f32 v7, -v7, v14, v13
	v_div_fmas_f32 v7, v7, v9, v14
	v_div_fixup_f32 v5, v7, v0, v5
	v_max_f32_e32 v5, v5, v6
	v_min_f32_e32 v5, v5, v12
	v_cvt_i32_f32_e32 v5, v5
	v_add_co_u32_e32 v6, vcc, v1, v10
	v_addc_co_u32_e32 v7, vcc, 0, v4, vcc
	global_store_byte v[6:7], v5, off
.LBB26_23:
	s_or_b64 exec, exec, s[0:1]
	v_sub_u32_e32 v18, s20, v8
	v_ashrrev_i32_e32 v6, 31, v18
	v_lshrrev_b32_e32 v6, 29, v6
	v_add_u32_e32 v6, v18, v6
	v_ashrrev_i32_e32 v9, 3, v6
	v_ashrrev_i32_e32 v5, 31, v8
	v_cmp_gt_i32_e32 vcc, v9, v10
	v_lshlrev_b32_e32 v19, 1, v8
	s_and_saveexec_b64 s[0:1], vcc
	s_cbranch_execz .LBB26_26
; %bb.24:
	v_lshlrev_b32_e32 v6, 4, v10
	v_lshl_add_u32 v6, v11, 1, v6
	v_lshlrev_b32_e32 v7, 1, v8
	v_add_co_u32_e32 v2, vcc, v8, v2
	v_add3_u32 v6, v6, v7, 0
	v_addc_co_u32_e32 v3, vcc, v5, v3, vcc
	v_lshlrev_b32_e32 v7, 3, v10
	v_add_co_u32_e32 v2, vcc, v2, v7
	v_addc_co_u32_e32 v3, vcc, 0, v3, vcc
	v_mov_b32_e32 v7, s9
	v_add_co_u32_e32 v2, vcc, s8, v2
	v_addc_co_u32_e32 v3, vcc, v7, v3, vcc
	s_mov_b64 s[2:3], 0
	v_max_f32_e64 v7, s10, s10
	v_max_f32_e64 v12, s11, s11
	v_mov_b32_e32 v13, 8
	v_mov_b32_e32 v14, v10
.LBB26_25:                              ; =>This Inner Loop Header: Depth=1
	ds_read_b128 v[20:23], v6
	v_add_u32_e32 v14, 16, v14
	v_add_u32_e32 v6, 0x100, v6
	s_waitcnt lgkmcnt(0)
	v_lshlrev_b32_e32 v15, 16, v20
	v_div_scale_f32 v16, s[4:5], v0, v0, v15
	v_rcp_f32_e32 v17, v16
	v_fma_f32 v24, -v16, v17, 1.0
	v_fmac_f32_e32 v17, v24, v17
	v_div_scale_f32 v24, vcc, v15, v0, v15
	v_mul_f32_e32 v25, v24, v17
	v_fma_f32 v26, -v16, v25, v24
	v_fmac_f32_e32 v25, v26, v17
	v_fma_f32 v16, -v16, v25, v24
	v_div_fmas_f32 v16, v16, v17, v25
	v_div_fixup_f32 v15, v16, v0, v15
	v_and_b32_e32 v16, 0xffff0000, v20
	v_div_scale_f32 v17, s[4:5], v0, v0, v16
	v_rcp_f32_e32 v20, v17
	v_max_f32_e32 v15, v15, v7
	v_min_f32_e32 v15, v15, v12
	v_cvt_i32_f32_e32 v15, v15
	v_fma_f32 v24, -v17, v20, 1.0
	v_fmac_f32_e32 v20, v24, v20
	v_div_scale_f32 v24, vcc, v16, v0, v16
	v_mul_f32_e32 v25, v24, v20
	v_fma_f32 v26, -v17, v25, v24
	v_fmac_f32_e32 v25, v26, v20
	v_fma_f32 v17, -v17, v25, v24
	v_div_fmas_f32 v17, v17, v20, v25
	v_div_fixup_f32 v16, v17, v0, v16
	v_lshlrev_b32_e32 v17, 16, v21
	v_div_scale_f32 v20, s[4:5], v0, v0, v17
	v_rcp_f32_e32 v24, v20
	v_max_f32_e32 v16, v16, v7
	v_min_f32_e32 v16, v16, v12
	v_cvt_i32_f32_e32 v16, v16
	v_fma_f32 v25, -v20, v24, 1.0
	v_fmac_f32_e32 v24, v25, v24
	v_div_scale_f32 v25, vcc, v17, v0, v17
	v_mul_f32_e32 v26, v25, v24
	v_fma_f32 v27, -v20, v26, v25
	v_fmac_f32_e32 v26, v27, v24
	v_fma_f32 v20, -v20, v26, v25
	v_div_fmas_f32 v20, v20, v24, v26
	v_div_fixup_f32 v17, v20, v0, v17
	v_max_f32_e32 v17, v17, v7
	v_min_f32_e32 v17, v17, v12
	v_cvt_i32_f32_e32 v20, v17
	v_and_b32_e32 v17, 0xffff0000, v21
	v_div_scale_f32 v21, s[4:5], v0, v0, v17
	v_rcp_f32_e32 v24, v21
	v_and_b32_e32 v20, 0xff, v20
	v_lshlrev_b32_e32 v20, 16, v20
	v_lshlrev_b32_sdwa v16, v13, v16 dst_sel:DWORD dst_unused:UNUSED_PAD src0_sel:DWORD src1_sel:BYTE_0
	v_fma_f32 v25, -v21, v24, 1.0
	v_fmac_f32_e32 v24, v25, v24
	v_div_scale_f32 v25, vcc, v17, v0, v17
	v_mul_f32_e32 v26, v25, v24
	v_fma_f32 v27, -v21, v26, v25
	v_fmac_f32_e32 v26, v27, v24
	v_fma_f32 v21, -v21, v26, v25
	v_div_fmas_f32 v21, v21, v24, v26
	v_div_fixup_f32 v17, v21, v0, v17
	v_max_f32_e32 v17, v17, v7
	v_min_f32_e32 v17, v17, v12
	v_cvt_i32_f32_sdwa v21, v17 dst_sel:BYTE_3 dst_unused:UNUSED_PAD src0_sel:DWORD
	v_lshlrev_b32_e32 v17, 16, v22
	v_div_scale_f32 v24, s[4:5], v0, v0, v17
	v_rcp_f32_e32 v25, v24
	v_and_b32_e32 v22, 0xffff0000, v22
	v_or3_b32 v16, v21, v20, v16
	v_or_b32_sdwa v16, v16, v15 dst_sel:DWORD dst_unused:UNUSED_PAD src0_sel:DWORD src1_sel:BYTE_0
	v_fma_f32 v26, -v24, v25, 1.0
	v_fmac_f32_e32 v25, v26, v25
	v_div_scale_f32 v26, vcc, v17, v0, v17
	v_mul_f32_e32 v27, v26, v25
	v_fma_f32 v28, -v24, v27, v26
	v_fmac_f32_e32 v27, v28, v25
	v_fma_f32 v24, -v24, v27, v26
	v_div_fmas_f32 v24, v24, v25, v27
	v_div_fixup_f32 v17, v24, v0, v17
	v_div_scale_f32 v24, s[4:5], v0, v0, v22
	v_rcp_f32_e32 v25, v24
	v_max_f32_e32 v17, v17, v7
	v_min_f32_e32 v17, v17, v12
	v_cvt_i32_f32_e32 v17, v17
	v_fma_f32 v26, -v24, v25, 1.0
	v_fmac_f32_e32 v25, v26, v25
	v_div_scale_f32 v26, vcc, v22, v0, v22
	v_mul_f32_e32 v27, v26, v25
	v_fma_f32 v28, -v24, v27, v26
	v_fmac_f32_e32 v27, v28, v25
	v_fma_f32 v24, -v24, v27, v26
	v_div_fmas_f32 v24, v24, v25, v27
	v_div_fixup_f32 v22, v24, v0, v22
	v_lshlrev_b32_e32 v24, 16, v23
	v_div_scale_f32 v25, s[4:5], v0, v0, v24
	v_rcp_f32_e32 v26, v25
	v_and_b32_e32 v23, 0xffff0000, v23
	v_max_f32_e32 v22, v22, v7
	v_min_f32_e32 v22, v22, v12
	v_fma_f32 v27, -v25, v26, 1.0
	v_fmac_f32_e32 v26, v27, v26
	v_div_scale_f32 v27, vcc, v24, v0, v24
	v_mul_f32_e32 v28, v27, v26
	v_fma_f32 v29, -v25, v28, v27
	v_fmac_f32_e32 v28, v29, v26
	v_fma_f32 v25, -v25, v28, v27
	v_div_fmas_f32 v25, v25, v26, v28
	v_div_fixup_f32 v24, v25, v0, v24
	v_div_scale_f32 v25, s[4:5], v0, v0, v23
	v_rcp_f32_e32 v26, v25
	v_max_f32_e32 v24, v24, v7
	v_min_f32_e32 v24, v24, v12
	v_cvt_i32_f32_e32 v24, v24
	v_fma_f32 v27, -v25, v26, 1.0
	v_fmac_f32_e32 v26, v27, v26
	v_div_scale_f32 v27, vcc, v23, v0, v23
	v_mul_f32_e32 v28, v27, v26
	v_fma_f32 v29, -v25, v28, v27
	v_fmac_f32_e32 v28, v29, v26
	v_fma_f32 v25, -v25, v28, v27
	v_div_fmas_f32 v25, v25, v26, v28
	v_div_fixup_f32 v23, v25, v0, v23
	v_max_f32_e32 v23, v23, v7
	v_min_f32_e32 v23, v23, v12
	v_cvt_i32_f32_e32 v22, v22
	v_cvt_i32_f32_sdwa v23, v23 dst_sel:BYTE_3 dst_unused:UNUSED_PAD src0_sel:DWORD
	v_and_b32_e32 v24, 0xff, v24
	v_lshlrev_b32_e32 v24, 16, v24
	v_lshlrev_b32_sdwa v22, v13, v22 dst_sel:DWORD dst_unused:UNUSED_PAD src0_sel:DWORD src1_sel:BYTE_0
	v_or_b32_e32 v23, v23, v24
	v_and_b32_e32 v17, 0xff, v17
	v_or3_b32 v17, v23, v22, v17
	global_store_dwordx2 v[2:3], v[16:17], off
	v_add_co_u32_e32 v2, vcc, 0x80, v2
	v_addc_co_u32_e32 v3, vcc, 0, v3, vcc
	v_cmp_ge_i32_e32 vcc, v14, v9
	s_or_b64 s[2:3], vcc, s[2:3]
	s_andn2_b64 exec, exec, s[2:3]
	s_cbranch_execnz .LBB26_25
.LBB26_26:
	s_or_b64 exec, exec, s[0:1]
	v_lshlrev_b32_e32 v6, 3, v9
	v_add_u32_e32 v2, v6, v10
	v_cmp_lt_i32_e32 vcc, v2, v18
	s_and_saveexec_b64 s[14:15], vcc
	s_cbranch_execz .LBB26_36
; %bb.27:
	v_add_u32_e32 v3, 16, v2
	v_add_co_u32_e32 v20, vcc, v1, v8
	v_max_i32_e32 v1, v3, v18
	v_xad_u32 v1, v10, -1, v1
	v_addc_co_u32_e32 v21, vcc, v4, v5, vcc
	v_sub_u32_e32 v1, v1, v6
	v_cmp_lt_u32_e32 vcc, 47, v1
	s_mov_b64 s[0:1], 0
                                        ; implicit-def: $vgpr22
	s_and_saveexec_b64 s[2:3], vcc
	s_xor_b64 s[16:17], exec, s[2:3]
	s_cbranch_execnz .LBB26_30
; %bb.28:
	s_andn2_saveexec_b64 s[2:3], s[16:17]
	s_cbranch_execnz .LBB26_33
.LBB26_29:
	s_or_b64 exec, exec, s[2:3]
	s_and_b64 exec, exec, s[0:1]
	s_cbranch_execnz .LBB26_34
	s_branch .LBB26_36
.LBB26_30:
	v_lshrrev_b32_e32 v1, 4, v1
	v_lshlrev_b32_e32 v22, 1, v11
	v_lshlrev_b32_e32 v9, 4, v9
	v_lshlrev_b32_e32 v19, 1, v8
	v_add_u32_e32 v23, 1, v1
	v_add_u32_e32 v5, 48, v2
	;; [unrolled: 1-line block ×3, first 2 shown]
	v_add3_u32 v8, v22, v9, v19
	v_lshlrev_b32_e32 v9, 1, v10
	v_and_b32_e32 v24, 0x1ffffffc, v23
	s_mov_b32 s0, s10
	s_mov_b32 s1, s10
	;; [unrolled: 1-line block ×8, first 2 shown]
	v_add3_u32 v25, v8, v9, 0
	v_pk_mov_b32 v[10:11], v[4:5], v[4:5] op_sel:[0,1]
	v_mov_b32_e32 v1, v0
	v_mov_b32_e32 v6, v0
	;; [unrolled: 1-line block ×3, first 2 shown]
	s_mov_b64 s[18:19], 0
	v_max_f32_e64 v26, s3, s3
	v_max_f32_e64 v27, s2, s2
	;; [unrolled: 1-line block ×8, first 2 shown]
	v_mov_b32_e32 v34, v24
	v_pk_mov_b32 v[8:9], v[2:3], v[2:3] op_sel:[0,1]
.LBB26_31:                              ; =>This Inner Loop Header: Depth=1
	ds_read_u16 v35, v25
	ds_read_u16 v36, v25 offset:32
	ds_read_u16 v37, v25 offset:64
	ds_read_u16 v38, v25 offset:96
	v_ashrrev_i32_e32 v3, 31, v11
	v_ashrrev_i32_e32 v13, 31, v10
	;; [unrolled: 1-line block ×4, first 2 shown]
	v_add_co_u32_e32 v4, vcc, v20, v9
	v_add_co_u32_e64 v12, s[0:1], v20, v10
	v_add_co_u32_e64 v14, s[2:3], v20, v11
	;; [unrolled: 1-line block ×3, first 2 shown]
	s_waitcnt lgkmcnt(3)
	v_lshlrev_b32_e32 v35, 16, v35
	v_addc_co_u32_e64 v17, s[4:5], v21, v15, s[4:5]
	v_addc_co_u32_e32 v5, vcc, v21, v5, vcc
	v_addc_co_u32_e64 v13, vcc, v21, v13, s[0:1]
	v_addc_co_u32_e64 v15, vcc, v21, v3, s[2:3]
	s_waitcnt lgkmcnt(0)
	v_lshlrev_b32_e32 v3, 16, v38
	v_lshlrev_b32_e32 v36, 16, v36
	v_div_scale_f32 v38, s[0:1], v0, v0, v35
	v_lshlrev_b32_e32 v37, 16, v37
	v_div_scale_f32 v40, s[0:1], v1, v1, v36
	v_rcp_f32_e32 v46, v38
	v_div_scale_f32 v42, s[2:3], v6, v6, v37
	v_div_scale_f32 v44, s[4:5], v7, v7, v3
	v_rcp_f32_e32 v47, v40
	v_rcp_f32_e32 v48, v42
	;; [unrolled: 1-line block ×3, first 2 shown]
	v_fma_f32 v50, -v38, v46, 1.0
	v_div_scale_f32 v39, vcc, v35, v0, v35
	v_fma_f32 v51, -v40, v47, 1.0
	v_fmac_f32_e32 v46, v50, v46
	v_div_scale_f32 v41, s[0:1], v36, v1, v36
	v_fma_f32 v52, -v42, v48, 1.0
	v_fma_f32 v53, -v44, v49, 1.0
	v_fmac_f32_e32 v47, v51, v47
	v_mul_f32_e32 v50, v39, v46
	v_div_scale_f32 v43, s[2:3], v37, v6, v37
	v_fmac_f32_e32 v48, v52, v48
	v_fmac_f32_e32 v49, v53, v49
	v_mul_f32_e32 v51, v41, v47
	v_fma_f32 v53, -v38, v50, v39
	v_mul_f32_e32 v52, v43, v48
	v_fmac_f32_e32 v50, v53, v46
	v_fma_f32 v53, -v40, v51, v41
	v_div_scale_f32 v45, s[4:5], v3, v7, v3
	v_fmac_f32_e32 v51, v53, v47
	v_fma_f32 v53, -v42, v52, v43
	v_fmac_f32_e32 v52, v53, v48
	v_mul_f32_e32 v53, v45, v49
	v_fma_f32 v38, -v38, v50, v39
	v_fma_f32 v54, -v44, v53, v45
	;; [unrolled: 1-line block ×3, first 2 shown]
	v_div_fmas_f32 v38, v38, v46, v50
	s_mov_b64 vcc, s[0:1]
	v_fmac_f32_e32 v53, v54, v49
	v_fma_f32 v40, -v42, v52, v43
	v_div_fixup_f32 v35, v38, v0, v35
	v_div_fmas_f32 v38, v39, v47, v51
	s_mov_b64 vcc, s[2:3]
	v_fma_f32 v41, -v44, v53, v45
	v_div_fixup_f32 v36, v38, v1, v36
	v_div_fmas_f32 v38, v40, v48, v52
	s_mov_b64 vcc, s[4:5]
	v_div_fixup_f32 v37, v38, v6, v37
	v_div_fmas_f32 v38, v41, v49, v53
	v_div_fixup_f32 v3, v38, v7, v3
	v_max_f32_e32 v35, v35, v29
	v_max_f32_e32 v36, v36, v28
	;; [unrolled: 1-line block ×4, first 2 shown]
	v_min_f32_e32 v35, v35, v30
	v_min_f32_e32 v36, v36, v31
	;; [unrolled: 1-line block ×4, first 2 shown]
	v_cvt_i32_f32_e32 v35, v35
	v_cvt_i32_f32_sdwa v36, v36 dst_sel:BYTE_1 dst_unused:UNUSED_PAD src0_sel:DWORD
	v_cvt_i32_f32_e32 v37, v37
	v_cvt_i32_f32_sdwa v3, v3 dst_sel:BYTE_1 dst_unused:UNUSED_PAD src0_sel:DWORD
	v_add_u32_e32 v34, -4, v34
	v_cmp_eq_u32_e64 s[6:7], 0, v34
	global_store_byte v[16:17], v35, off
	v_lshrrev_b32_e32 v16, 8, v36
	v_or_b32_sdwa v3, v37, v3 dst_sel:DWORD dst_unused:UNUSED_PAD src0_sel:BYTE_0 src1_sel:DWORD
	v_add_u32_e32 v11, 64, v11
	v_add_u32_e32 v10, 64, v10
	;; [unrolled: 1-line block ×5, first 2 shown]
	s_or_b64 s[18:19], s[6:7], s[18:19]
	global_store_byte v[4:5], v16, off
	global_store_byte v[12:13], v3, off
	v_lshrrev_b32_e32 v3, 8, v3
	global_store_byte v[14:15], v3, off
	s_andn2_b64 exec, exec, s[18:19]
	s_cbranch_execnz .LBB26_31
; %bb.32:
	s_or_b64 exec, exec, s[18:19]
	v_cmp_ne_u32_e32 vcc, v23, v24
	v_lshl_add_u32 v2, v24, 4, v2
	s_and_b64 s[0:1], vcc, exec
                                        ; implicit-def: $vgpr11
	s_andn2_saveexec_b64 s[2:3], s[16:17]
	s_cbranch_execz .LBB26_29
.LBB26_33:
	v_lshlrev_b32_e32 v22, 1, v11
	s_or_b64 s[0:1], s[0:1], exec
	s_or_b64 exec, exec, s[2:3]
	s_and_b64 exec, exec, s[0:1]
	s_cbranch_execz .LBB26_36
.LBB26_34:
	v_lshl_add_u32 v1, v2, 1, v22
	v_add3_u32 v3, v1, v19, 0
	v_ashrrev_i32_e32 v1, 31, v2
	s_mov_b64 s[2:3], 0
	v_max_f32_e64 v4, s10, s10
	v_max_f32_e64 v5, s11, s11
.LBB26_35:                              ; =>This Inner Loop Header: Depth=1
	ds_read_u16 v8, v3
	v_add_co_u32_e32 v6, vcc, v20, v2
	v_addc_co_u32_e32 v7, vcc, v21, v1, vcc
	s_waitcnt lgkmcnt(0)
	v_lshlrev_b32_e32 v8, 16, v8
	v_div_scale_f32 v9, s[4:5], v0, v0, v8
	v_rcp_f32_e32 v10, v9
	v_div_scale_f32 v11, vcc, v8, v0, v8
	v_add_co_u32_e64 v2, s[0:1], 16, v2
	v_fma_f32 v12, -v9, v10, 1.0
	v_fmac_f32_e32 v10, v12, v10
	v_mul_f32_e32 v12, v11, v10
	v_fma_f32 v13, -v9, v12, v11
	v_fmac_f32_e32 v12, v13, v10
	v_fma_f32 v9, -v9, v12, v11
	v_div_fmas_f32 v9, v9, v10, v12
	v_div_fixup_f32 v8, v9, v0, v8
	v_max_f32_e32 v8, v8, v4
	v_min_f32_e32 v8, v8, v5
	v_cvt_i32_f32_e32 v8, v8
	v_addc_co_u32_e64 v1, vcc, 0, v1, s[0:1]
	v_cmp_ge_i32_e32 vcc, v2, v18
	v_add_u32_e32 v3, 32, v3
	s_or_b64 s[2:3], vcc, s[2:3]
	global_store_byte v[6:7], v8, off
	s_andn2_b64 exec, exec, s[2:3]
	s_cbranch_execnz .LBB26_35
.LBB26_36:
	s_or_b64 exec, exec, s[14:15]
                                        ; implicit-def: $vgpr10
                                        ; implicit-def: $vgpr0
                                        ; implicit-def: $vgpr11
                                        ; implicit-def: $vgpr2_vgpr3
.LBB26_37:
	s_andn2_saveexec_b64 s[0:1], s[12:13]
	s_cbranch_execz .LBB26_41
; %bb.38:
	s_ashr_i32 s16, s20, 3
	v_cmp_gt_i32_e32 vcc, s16, v10
	s_and_saveexec_b64 s[0:1], vcc
	s_cbranch_execz .LBB26_41
; %bb.39:
	v_lshlrev_b32_e32 v1, 1, v11
	v_lshlrev_b32_e32 v4, 4, v10
	v_add3_u32 v1, v1, v4, 0
	v_lshlrev_b32_e32 v4, 3, v10
	v_add_co_u32_e32 v2, vcc, v2, v4
	v_addc_co_u32_e32 v3, vcc, 0, v3, vcc
	v_mov_b32_e32 v4, s9
	v_add_co_u32_e32 v6, vcc, s8, v2
	v_addc_co_u32_e32 v7, vcc, v4, v3, vcc
	s_mov_b64 s[14:15], 0
	v_max_f32_e64 v8, s10, s10
	v_max_f32_e64 v9, s11, s11
	v_mov_b32_e32 v11, 8
.LBB26_40:                              ; =>This Inner Loop Header: Depth=1
	ds_read_b128 v[2:5], v1
	v_add_u32_e32 v10, 16, v10
	v_cmp_le_i32_e32 vcc, s16, v10
	s_or_b64 s[14:15], vcc, s[14:15]
	v_add_u32_e32 v1, 0x100, v1
	s_waitcnt lgkmcnt(0)
	v_lshlrev_b32_e32 v12, 16, v2
	v_and_b32_e32 v2, 0xffff0000, v2
	v_div_scale_f32 v16, s[0:1], v0, v0, v12
	v_lshlrev_b32_e32 v13, 16, v3
	v_div_scale_f32 v18, s[0:1], v0, v0, v2
	v_rcp_f32_e32 v32, v16
	v_and_b32_e32 v3, 0xffff0000, v3
	v_div_scale_f32 v20, s[2:3], v0, v0, v13
	v_rcp_f32_e32 v33, v18
	v_lshlrev_b32_e32 v14, 16, v4
	v_div_scale_f32 v22, s[4:5], v0, v0, v3
	v_rcp_f32_e32 v34, v20
	v_and_b32_e32 v4, 0xffff0000, v4
	v_div_scale_f32 v24, s[6:7], v0, v0, v14
	v_rcp_f32_e32 v35, v22
	v_lshlrev_b32_e32 v15, 16, v5
	v_div_scale_f32 v26, s[8:9], v0, v0, v4
	v_rcp_f32_e32 v36, v24
	v_fma_f32 v40, -v16, v32, 1.0
	v_div_scale_f32 v17, vcc, v12, v0, v12
	v_div_scale_f32 v28, s[10:11], v0, v0, v15
	v_rcp_f32_e32 v37, v26
	v_fma_f32 v41, -v18, v33, 1.0
	v_fmac_f32_e32 v32, v40, v32
	v_and_b32_e32 v5, 0xffff0000, v5
	v_div_scale_f32 v19, s[0:1], v2, v0, v2
	v_rcp_f32_e32 v38, v28
	v_fma_f32 v42, -v20, v34, 1.0
	v_fmac_f32_e32 v33, v41, v33
	v_mul_f32_e32 v40, v17, v32
	v_div_scale_f32 v21, s[2:3], v13, v0, v13
	v_div_scale_f32 v30, s[12:13], v0, v0, v5
	v_fma_f32 v43, -v22, v35, 1.0
	v_fmac_f32_e32 v34, v42, v34
	v_mul_f32_e32 v41, v19, v33
	v_fma_f32 v48, -v16, v40, v17
	v_div_scale_f32 v23, s[4:5], v3, v0, v3
	v_rcp_f32_e32 v39, v30
	v_fma_f32 v44, -v24, v36, 1.0
	v_fmac_f32_e32 v35, v43, v35
	v_mul_f32_e32 v42, v21, v34
	v_fma_f32 v49, -v18, v41, v19
	v_fmac_f32_e32 v40, v48, v32
	v_div_scale_f32 v25, s[6:7], v14, v0, v14
	v_fma_f32 v45, -v26, v37, 1.0
	v_fmac_f32_e32 v36, v44, v36
	v_mul_f32_e32 v43, v23, v35
	v_fma_f32 v50, -v20, v42, v21
	v_fmac_f32_e32 v41, v49, v33
	v_fma_f32 v16, -v16, v40, v17
	v_div_scale_f32 v27, s[8:9], v4, v0, v4
	v_fma_f32 v46, -v28, v38, 1.0
	v_fmac_f32_e32 v37, v45, v37
	v_mul_f32_e32 v44, v25, v36
	v_fma_f32 v51, -v22, v43, v23
	v_fmac_f32_e32 v42, v50, v34
	v_fma_f32 v17, -v18, v41, v19
	v_div_fmas_f32 v16, v16, v32, v40
	s_mov_b64 vcc, s[0:1]
	v_div_scale_f32 v29, s[10:11], v15, v0, v15
	v_fmac_f32_e32 v38, v46, v38
	v_mul_f32_e32 v45, v27, v37
	v_fma_f32 v52, -v24, v44, v25
	v_fmac_f32_e32 v43, v51, v35
	v_fma_f32 v18, -v20, v42, v21
	v_div_fixup_f32 v12, v16, v0, v12
	v_div_fmas_f32 v16, v17, v33, v41
	s_mov_b64 vcc, s[2:3]
	v_fma_f32 v47, -v30, v39, 1.0
	v_mul_f32_e32 v46, v29, v38
	v_fma_f32 v53, -v26, v45, v27
	v_fmac_f32_e32 v44, v52, v36
	v_fma_f32 v19, -v22, v43, v23
	v_div_fixup_f32 v2, v16, v0, v2
	v_div_fmas_f32 v16, v18, v34, v42
	s_mov_b64 vcc, s[4:5]
	v_div_scale_f32 v31, s[12:13], v5, v0, v5
	v_fmac_f32_e32 v39, v47, v39
	v_fma_f32 v54, -v28, v46, v29
	v_fmac_f32_e32 v45, v53, v37
	v_fma_f32 v20, -v24, v44, v25
	v_div_fixup_f32 v13, v16, v0, v13
	v_div_fmas_f32 v16, v19, v35, v43
	s_mov_b64 vcc, s[6:7]
	v_mul_f32_e32 v47, v31, v39
	v_fmac_f32_e32 v46, v54, v38
	v_fma_f32 v21, -v26, v45, v27
	v_div_fixup_f32 v3, v16, v0, v3
	v_div_fmas_f32 v16, v20, v36, v44
	s_mov_b64 vcc, s[8:9]
	v_fma_f32 v55, -v30, v47, v31
	v_fma_f32 v22, -v28, v46, v29
	v_div_fixup_f32 v14, v16, v0, v14
	v_div_fmas_f32 v16, v21, v37, v45
	s_mov_b64 vcc, s[10:11]
	v_fmac_f32_e32 v47, v55, v39
	v_max_f32_e32 v13, v13, v8
	v_div_fixup_f32 v4, v16, v0, v4
	v_div_fmas_f32 v16, v22, v38, v46
	v_fma_f32 v23, -v30, v47, v31
	v_max_f32_e32 v2, v2, v8
	v_min_f32_e32 v13, v13, v9
	v_div_fixup_f32 v15, v16, v0, v15
	s_mov_b64 vcc, s[12:13]
	v_min_f32_e32 v2, v2, v9
	v_max_f32_e32 v3, v3, v8
	v_cvt_i32_f32_e32 v13, v13
	v_max_f32_e32 v4, v4, v8
	v_div_fmas_f32 v16, v23, v39, v47
	v_max_f32_e32 v15, v15, v8
	v_cvt_i32_f32_e32 v2, v2
	v_min_f32_e32 v3, v3, v9
	v_min_f32_e32 v4, v4, v9
	v_div_fixup_f32 v5, v16, v0, v5
	v_min_f32_e32 v15, v15, v9
	v_max_f32_e32 v14, v14, v8
	v_cvt_i32_f32_sdwa v3, v3 dst_sel:BYTE_3 dst_unused:UNUSED_PAD src0_sel:DWORD
	v_cvt_i32_f32_e32 v4, v4
	v_max_f32_e32 v5, v5, v8
	v_cvt_i32_f32_e32 v15, v15
	v_max_f32_e32 v12, v12, v8
	v_min_f32_e32 v14, v14, v9
	v_min_f32_e32 v5, v5, v9
	;; [unrolled: 1-line block ×3, first 2 shown]
	v_cvt_i32_f32_e32 v14, v14
	v_and_b32_e32 v13, 0xff, v13
	v_cvt_i32_f32_sdwa v5, v5 dst_sel:BYTE_3 dst_unused:UNUSED_PAD src0_sel:DWORD
	v_cvt_i32_f32_e32 v12, v12
	v_lshlrev_b32_sdwa v2, v11, v2 dst_sel:DWORD dst_unused:UNUSED_PAD src0_sel:DWORD src1_sel:BYTE_0
	v_lshlrev_b32_e32 v13, 16, v13
	v_or3_b32 v2, v3, v13, v2
	v_lshlrev_b32_sdwa v3, v11, v4 dst_sel:DWORD dst_unused:UNUSED_PAD src0_sel:DWORD src1_sel:BYTE_0
	v_and_b32_e32 v4, 0xff, v15
	v_lshlrev_b32_e32 v4, 16, v4
	v_and_b32_e32 v14, 0xff, v14
	v_or_b32_e32 v4, v5, v4
	v_or_b32_sdwa v2, v2, v12 dst_sel:DWORD dst_unused:UNUSED_PAD src0_sel:DWORD src1_sel:BYTE_0
	v_or3_b32 v3, v4, v3, v14
	global_store_dwordx2 v[6:7], v[2:3], off
	v_add_co_u32_e32 v6, vcc, 0x80, v6
	v_addc_co_u32_e32 v7, vcc, 0, v7, vcc
	s_andn2_b64 exec, exec, s[14:15]
	s_cbranch_execnz .LBB26_40
.LBB26_41:
	s_endpgm
	.section	.rodata,"a",@progbits
	.p2align	6, 0x0
	.amdhsa_kernel _Z33per_token_group_quant_8bit_kernelIN3c108BFloat16EaLb0ELb1EfEvPKT_PvPT3_iiifffii
		.amdhsa_group_segment_fixed_size 0
		.amdhsa_private_segment_fixed_size 0
		.amdhsa_kernarg_size 56
		.amdhsa_user_sgpr_count 6
		.amdhsa_user_sgpr_private_segment_buffer 1
		.amdhsa_user_sgpr_dispatch_ptr 0
		.amdhsa_user_sgpr_queue_ptr 0
		.amdhsa_user_sgpr_kernarg_segment_ptr 1
		.amdhsa_user_sgpr_dispatch_id 0
		.amdhsa_user_sgpr_flat_scratch_init 0
		.amdhsa_user_sgpr_kernarg_preload_length 0
		.amdhsa_user_sgpr_kernarg_preload_offset 0
		.amdhsa_user_sgpr_private_segment_size 0
		.amdhsa_uses_dynamic_stack 0
		.amdhsa_system_sgpr_private_segment_wavefront_offset 0
		.amdhsa_system_sgpr_workgroup_id_x 1
		.amdhsa_system_sgpr_workgroup_id_y 0
		.amdhsa_system_sgpr_workgroup_id_z 0
		.amdhsa_system_sgpr_workgroup_info 0
		.amdhsa_system_vgpr_workitem_id 0
		.amdhsa_next_free_vgpr 56
		.amdhsa_next_free_sgpr 21
		.amdhsa_accum_offset 56
		.amdhsa_reserve_vcc 1
		.amdhsa_reserve_flat_scratch 0
		.amdhsa_float_round_mode_32 0
		.amdhsa_float_round_mode_16_64 0
		.amdhsa_float_denorm_mode_32 3
		.amdhsa_float_denorm_mode_16_64 3
		.amdhsa_dx10_clamp 1
		.amdhsa_ieee_mode 1
		.amdhsa_fp16_overflow 0
		.amdhsa_tg_split 0
		.amdhsa_exception_fp_ieee_invalid_op 0
		.amdhsa_exception_fp_denorm_src 0
		.amdhsa_exception_fp_ieee_div_zero 0
		.amdhsa_exception_fp_ieee_overflow 0
		.amdhsa_exception_fp_ieee_underflow 0
		.amdhsa_exception_fp_ieee_inexact 0
		.amdhsa_exception_int_div_zero 0
	.end_amdhsa_kernel
	.section	.text._Z33per_token_group_quant_8bit_kernelIN3c108BFloat16EaLb0ELb1EfEvPKT_PvPT3_iiifffii,"axG",@progbits,_Z33per_token_group_quant_8bit_kernelIN3c108BFloat16EaLb0ELb1EfEvPKT_PvPT3_iiifffii,comdat
.Lfunc_end26:
	.size	_Z33per_token_group_quant_8bit_kernelIN3c108BFloat16EaLb0ELb1EfEvPKT_PvPT3_iiifffii, .Lfunc_end26-_Z33per_token_group_quant_8bit_kernelIN3c108BFloat16EaLb0ELb1EfEvPKT_PvPT3_iiifffii
                                        ; -- End function
	.section	.AMDGPU.csdata,"",@progbits
; Kernel info:
; codeLenInByte = 4664
; NumSgprs: 25
; NumVgprs: 56
; NumAgprs: 0
; TotalNumVgprs: 56
; ScratchSize: 0
; MemoryBound: 0
; FloatMode: 240
; IeeeMode: 1
; LDSByteSize: 0 bytes/workgroup (compile time only)
; SGPRBlocks: 3
; VGPRBlocks: 6
; NumSGPRsForWavesPerEU: 25
; NumVGPRsForWavesPerEU: 56
; AccumOffset: 56
; Occupancy: 8
; WaveLimiterHint : 0
; COMPUTE_PGM_RSRC2:SCRATCH_EN: 0
; COMPUTE_PGM_RSRC2:USER_SGPR: 6
; COMPUTE_PGM_RSRC2:TRAP_HANDLER: 0
; COMPUTE_PGM_RSRC2:TGID_X_EN: 1
; COMPUTE_PGM_RSRC2:TGID_Y_EN: 0
; COMPUTE_PGM_RSRC2:TGID_Z_EN: 0
; COMPUTE_PGM_RSRC2:TIDIG_COMP_CNT: 0
; COMPUTE_PGM_RSRC3_GFX90A:ACCUM_OFFSET: 13
; COMPUTE_PGM_RSRC3_GFX90A:TG_SPLIT: 0
	.section	.text._Z33per_token_group_quant_8bit_kernelIN3c108BFloat16EaLb0ELb0EfEvPKT_PvPT3_iiifffii,"axG",@progbits,_Z33per_token_group_quant_8bit_kernelIN3c108BFloat16EaLb0ELb0EfEvPKT_PvPT3_iiifffii,comdat
	.protected	_Z33per_token_group_quant_8bit_kernelIN3c108BFloat16EaLb0ELb0EfEvPKT_PvPT3_iiifffii ; -- Begin function _Z33per_token_group_quant_8bit_kernelIN3c108BFloat16EaLb0ELb0EfEvPKT_PvPT3_iiifffii
	.globl	_Z33per_token_group_quant_8bit_kernelIN3c108BFloat16EaLb0ELb0EfEvPKT_PvPT3_iiifffii
	.p2align	8
	.type	_Z33per_token_group_quant_8bit_kernelIN3c108BFloat16EaLb0ELb0EfEvPKT_PvPT3_iiifffii,@function
_Z33per_token_group_quant_8bit_kernelIN3c108BFloat16EaLb0ELb0EfEvPKT_PvPT3_iiifffii: ; @_Z33per_token_group_quant_8bit_kernelIN3c108BFloat16EaLb0ELb0EfEvPKT_PvPT3_iiifffii
; %bb.0:
	s_load_dword s20, s[4:5], 0x18
	s_load_dwordx4 s[8:11], s[4:5], 0x20
	s_load_dwordx2 s[2:3], s[4:5], 0x0
	v_lshrrev_b32_e32 v6, 4, v0
	v_and_b32_e32 v10, 15, v0
	s_waitcnt lgkmcnt(0)
	s_ashr_i32 s7, s20, 31
	s_mul_i32 s6, s6, s8
	v_add_co_u32_e32 v4, vcc, s6, v6
	v_addc_co_u32_e64 v5, s[0:1], 0, 0, vcc
	v_mul_lo_u32 v0, v5, s20
	v_mul_lo_u32 v1, v4, s7
	v_mad_u64_u32 v[2:3], s[0:1], v4, s20, 0
	v_add3_u32 v3, v3, v1, v0
	v_lshlrev_b64 v[0:1], 1, v[2:3]
	s_and_b32 s6, s20, 7
	v_mov_b32_e32 v8, s3
	v_add_co_u32_e32 v7, vcc, s2, v0
	s_cmp_eq_u32 s6, 0
	v_addc_co_u32_e32 v8, vcc, v8, v1, vcc
	v_mov_b32_e32 v15, 0
	v_and_b32_e32 v14, 15, v7
	s_cselect_b64 s[0:1], -1, 0
	s_cmp_lg_u32 s6, 0
	v_mul_lo_u32 v11, v6, s20
	v_cmp_ne_u64_e32 vcc, 0, v[14:15]
	s_cselect_b64 s[6:7], -1, 0
	v_lshl_add_u32 v12, v11, 1, 0
	s_or_b64 s[6:7], s[6:7], vcc
                                        ; implicit-def: $vgpr13
	s_and_saveexec_b64 s[12:13], s[6:7]
	s_xor_b64 s[6:7], exec, s[12:13]
	s_cbranch_execz .LBB27_12
; %bb.1:
	v_sub_u32_e32 v6, 0, v7
	v_bfe_u32 v6, v6, 1, 3
	v_min_i32_e32 v6, s20, v6
	v_cmp_gt_i32_e32 vcc, v6, v10
	v_mov_b32_e32 v13, s9
	s_and_saveexec_b64 s[12:13], vcc
	s_cbranch_execz .LBB27_3
; %bb.2:
	v_lshlrev_b32_e32 v9, 1, v10
	v_add_co_u32_e32 v14, vcc, v7, v9
	v_addc_co_u32_e32 v15, vcc, 0, v8, vcc
	global_load_ushort v7, v[14:15], off
	v_max_f32_e64 v8, s9, s9
	v_add_u32_e32 v9, v12, v9
	s_waitcnt vmcnt(0)
	v_lshlrev_b32_e32 v13, 16, v7
	v_max_f32_e64 v13, |v13|, |v13|
	v_max_f32_e32 v13, v8, v13
	ds_write_b16 v9, v7
.LBB27_3:
	s_or_b64 exec, exec, s[12:13]
	v_sub_u32_e32 v14, s20, v6
	v_ashrrev_i32_e32 v8, 31, v14
	v_lshrrev_b32_e32 v8, 29, v8
	v_add_u32_e32 v8, v14, v8
	v_ashrrev_i32_e32 v7, 31, v6
	v_ashrrev_i32_e32 v15, 3, v8
	v_cmp_gt_i32_e32 vcc, v15, v10
	v_lshlrev_b32_e32 v16, 1, v6
	v_lshlrev_b64 v[6:7], 1, v[6:7]
	s_and_saveexec_b64 s[12:13], vcc
	s_cbranch_execz .LBB27_7
; %bb.4:
	v_lshlrev_b32_e32 v8, 4, v10
	v_lshl_add_u32 v9, v11, 1, v8
	v_add_co_u32_e32 v8, vcc, v0, v8
	v_add3_u32 v17, v9, v16, 0
	v_addc_co_u32_e32 v9, vcc, 0, v1, vcc
	v_add_co_u32_e32 v8, vcc, v8, v6
	v_addc_co_u32_e32 v9, vcc, v9, v7, vcc
	v_mov_b32_e32 v18, s3
	v_add_co_u32_e32 v8, vcc, s2, v8
	v_addc_co_u32_e32 v9, vcc, v9, v18, vcc
	v_add_co_u32_e32 v8, vcc, 8, v8
	v_addc_co_u32_e32 v9, vcc, 0, v9, vcc
	s_mov_b64 s[14:15], 0
	v_mov_b32_e32 v18, v10
.LBB27_5:                               ; =>This Inner Loop Header: Depth=1
	global_load_dwordx4 v[20:23], v[8:9], off offset:-8
	v_add_co_u32_e32 v8, vcc, 0x100, v8
	v_add_u32_e32 v18, 16, v18
	v_addc_co_u32_e32 v9, vcc, 0, v9, vcc
	v_cmp_ge_i32_e32 vcc, v18, v15
	s_or_b64 s[14:15], vcc, s[14:15]
	s_waitcnt vmcnt(0)
	v_lshlrev_b32_e32 v19, 16, v20
	v_and_b32_e32 v24, 0xffff0000, v20
	v_lshlrev_b32_e32 v25, 16, v21
	v_and_b32_e32 v26, 0xffff0000, v21
	v_max3_f32 v13, v13, |v19|, |v24|
	v_lshlrev_b32_e32 v27, 16, v22
	v_and_b32_e32 v28, 0xffff0000, v22
	v_max3_f32 v13, v13, |v25|, |v26|
	;; [unrolled: 3-line block ×3, first 2 shown]
	ds_write_b128 v17, v[20:23]
	v_add_u32_e32 v17, 0x100, v17
	v_max3_f32 v13, v13, |v29|, |v30|
	s_andn2_b64 exec, exec, s[14:15]
	s_cbranch_execnz .LBB27_5
; %bb.6:
	s_or_b64 exec, exec, s[14:15]
.LBB27_7:
	s_or_b64 exec, exec, s[12:13]
	v_lshl_add_u32 v8, v15, 3, v10
	v_cmp_lt_i32_e32 vcc, v8, v14
	s_and_saveexec_b64 s[12:13], vcc
	s_cbranch_execz .LBB27_11
; %bb.8:
	v_lshlrev_b32_e32 v9, 1, v11
	v_lshlrev_b32_e32 v15, 4, v15
	v_add3_u32 v9, v9, v15, v16
	v_lshlrev_b32_e32 v15, 1, v10
	v_add3_u32 v15, v9, v15, 0
	v_add_co_u32_e32 v6, vcc, v0, v6
	v_ashrrev_i32_e32 v9, 31, v8
	v_addc_co_u32_e32 v7, vcc, v1, v7, vcc
	v_lshlrev_b64 v[0:1], 1, v[8:9]
	v_add_co_u32_e32 v0, vcc, v6, v0
	v_addc_co_u32_e32 v1, vcc, v7, v1, vcc
	v_mov_b32_e32 v6, s3
	v_add_co_u32_e32 v0, vcc, s2, v0
	v_addc_co_u32_e32 v1, vcc, v6, v1, vcc
	s_mov_b64 s[14:15], 0
.LBB27_9:                               ; =>This Inner Loop Header: Depth=1
	global_load_ushort v6, v[0:1], off
	v_add_co_u32_e32 v0, vcc, 32, v0
	v_add_u32_e32 v8, 16, v8
	v_addc_co_u32_e32 v1, vcc, 0, v1, vcc
	v_max_f32_e32 v7, v13, v13
	v_cmp_ge_i32_e32 vcc, v8, v14
	s_or_b64 s[14:15], vcc, s[14:15]
	s_waitcnt vmcnt(0)
	v_lshlrev_b32_e32 v9, 16, v6
	ds_write_b16 v15, v6
	v_max_f32_e64 v6, |v9|, |v9|
	v_add_u32_e32 v15, 32, v15
	v_max_f32_e32 v13, v7, v6
	s_andn2_b64 exec, exec, s[14:15]
	s_cbranch_execnz .LBB27_9
; %bb.10:
	s_or_b64 exec, exec, s[14:15]
.LBB27_11:
	s_or_b64 exec, exec, s[12:13]
                                        ; implicit-def: $vgpr0_vgpr1
.LBB27_12:
	s_andn2_saveexec_b64 s[6:7], s[6:7]
	s_cbranch_execz .LBB27_18
; %bb.13:
	s_ashr_i32 s8, s20, 3
	v_cmp_gt_i32_e32 vcc, s8, v10
	v_mov_b32_e32 v13, s9
	s_and_saveexec_b64 s[12:13], vcc
	s_cbranch_execz .LBB27_17
; %bb.14:
	v_lshlrev_b32_e32 v7, 4, v10
	v_add_co_u32_e32 v0, vcc, v0, v7
	v_lshlrev_b32_e32 v6, 1, v11
	v_addc_co_u32_e32 v1, vcc, 0, v1, vcc
	v_add3_u32 v6, v6, v7, 0
	v_mov_b32_e32 v7, s3
	v_add_co_u32_e32 v0, vcc, s2, v0
	v_addc_co_u32_e32 v1, vcc, v1, v7, vcc
	v_add_co_u32_e32 v0, vcc, 8, v0
	v_addc_co_u32_e32 v1, vcc, 0, v1, vcc
	s_mov_b64 s[2:3], 0
	v_mov_b32_e32 v13, s9
	v_mov_b32_e32 v7, v10
.LBB27_15:                              ; =>This Inner Loop Header: Depth=1
	global_load_dwordx4 v[14:17], v[0:1], off offset:-8
	v_add_co_u32_e32 v0, vcc, 0x100, v0
	v_add_u32_e32 v7, 16, v7
	v_addc_co_u32_e32 v1, vcc, 0, v1, vcc
	v_cmp_le_i32_e32 vcc, s8, v7
	s_or_b64 s[2:3], vcc, s[2:3]
	s_waitcnt vmcnt(0)
	v_lshlrev_b32_e32 v8, 16, v14
	v_and_b32_e32 v9, 0xffff0000, v14
	v_lshlrev_b32_e32 v18, 16, v15
	v_and_b32_e32 v19, 0xffff0000, v15
	v_max3_f32 v8, v13, |v8|, |v9|
	v_lshlrev_b32_e32 v20, 16, v16
	v_and_b32_e32 v21, 0xffff0000, v16
	v_max3_f32 v8, v8, |v18|, |v19|
	v_lshlrev_b32_e32 v22, 16, v17
	v_and_b32_e32 v23, 0xffff0000, v17
	v_max3_f32 v8, v8, |v20|, |v21|
	ds_write_b128 v6, v[14:17]
	v_add_u32_e32 v6, 0x100, v6
	v_max3_f32 v13, v8, |v22|, |v23|
	s_andn2_b64 exec, exec, s[2:3]
	s_cbranch_execnz .LBB27_15
; %bb.16:
	s_or_b64 exec, exec, s[2:3]
.LBB27_17:
	s_or_b64 exec, exec, s[12:13]
.LBB27_18:
	s_or_b64 exec, exec, s[6:7]
	v_mbcnt_lo_u32_b32 v0, -1, 0
	v_mbcnt_hi_u32_b32 v0, -1, v0
	v_and_b32_e32 v6, 0x70, v0
	v_xor_b32_e32 v1, 8, v0
	v_add_u32_e32 v6, 16, v6
	v_cmp_lt_i32_e32 vcc, v1, v6
	v_cndmask_b32_e32 v1, v0, v1, vcc
	v_lshlrev_b32_e32 v1, 2, v1
	ds_bpermute_b32 v1, v1, v13
	v_xor_b32_e32 v8, 4, v0
	v_max_f32_e32 v7, v13, v13
	v_cmp_lt_i32_e32 vcc, v8, v6
	s_load_dwordx2 s[8:9], s[4:5], 0x8
	s_waitcnt lgkmcnt(0)
	v_max_f32_e32 v1, v1, v1
	v_max_f32_e32 v1, v7, v1
	v_cndmask_b32_e32 v7, v0, v8, vcc
	v_lshlrev_b32_e32 v7, 2, v7
	ds_bpermute_b32 v7, v7, v1
	v_xor_b32_e32 v8, 2, v0
	v_cmp_lt_i32_e32 vcc, v8, v6
	s_waitcnt lgkmcnt(0)
	v_max_f32_e32 v7, v7, v7
	v_max_f32_e32 v1, v1, v7
	v_cndmask_b32_e32 v7, v0, v8, vcc
	v_lshlrev_b32_e32 v7, 2, v7
	ds_bpermute_b32 v7, v7, v1
	v_xor_b32_e32 v8, 1, v0
	v_cmp_lt_i32_e32 vcc, v8, v6
	v_cndmask_b32_e32 v0, v0, v8, vcc
	v_lshlrev_b32_e32 v0, 2, v0
	s_waitcnt lgkmcnt(0)
	v_max_f32_e32 v7, v7, v7
	v_max_f32_e32 v1, v1, v7
	ds_bpermute_b32 v0, v0, v1
	s_waitcnt lgkmcnt(0)
	v_max_f32_e32 v0, v0, v0
	v_max_f32_e32 v0, v1, v0
	v_div_scale_f32 v1, s[2:3], s11, s11, v0
	v_rcp_f32_e32 v6, v1
	v_div_scale_f32 v7, vcc, v0, s11, v0
	v_fma_f32 v8, -v1, v6, 1.0
	v_fmac_f32_e32 v6, v8, v6
	v_mul_f32_e32 v8, v7, v6
	v_fma_f32 v9, -v1, v8, v7
	v_fmac_f32_e32 v8, v9, v6
	v_fma_f32 v1, -v1, v8, v7
	v_div_fmas_f32 v1, v1, v6, v8
	v_div_fixup_f32 v0, v1, s11, v0
	v_cmp_eq_u32_e32 vcc, 0, v10
	s_and_saveexec_b64 s[2:3], vcc
	s_cbranch_execz .LBB27_20
; %bb.19:
	s_load_dwordx2 s[4:5], s[4:5], 0x10
	v_lshlrev_b64 v[4:5], 2, v[4:5]
	s_waitcnt lgkmcnt(0)
	v_mov_b32_e32 v1, s5
	v_add_co_u32_e32 v4, vcc, s4, v4
	v_addc_co_u32_e32 v5, vcc, v1, v5, vcc
	global_store_dword v[4:5], v0, off
.LBB27_20:
	s_or_b64 exec, exec, s[2:3]
	v_and_b32_e32 v4, 15, v12
	v_mov_b32_e32 v5, 0
	v_cmp_ne_u64_e32 vcc, 0, v[4:5]
	s_xor_b64 s[0:1], s[0:1], -1
	s_or_b64 s[0:1], s[0:1], vcc
	s_barrier
	s_and_saveexec_b64 s[2:3], s[0:1]
	s_xor_b64 s[12:13], exec, s[2:3]
	s_cbranch_execz .LBB27_37
; %bb.21:
	v_sub_u32_e32 v5, 0, v12
	v_mov_b32_e32 v4, s9
	v_add_co_u32_e32 v1, vcc, s8, v2
	v_bfe_u32 v5, v5, 1, 3
	v_addc_co_u32_e32 v4, vcc, v4, v3, vcc
	v_min_i32_e32 v8, s20, v5
	v_cmp_gt_i32_e32 vcc, v8, v10
	s_and_saveexec_b64 s[0:1], vcc
	s_cbranch_execz .LBB27_23
; %bb.22:
	v_lshl_add_u32 v5, v10, 1, v12
	ds_read_u16 v5, v5
	v_max_f32_e64 v6, s10, s10
	v_max_f32_e64 v12, s11, s11
	s_waitcnt lgkmcnt(0)
	v_lshlrev_b32_e32 v5, 16, v5
	v_div_scale_f32 v7, s[2:3], v0, v0, v5
	v_rcp_f32_e32 v9, v7
	v_div_scale_f32 v13, vcc, v5, v0, v5
	v_fma_f32 v14, -v7, v9, 1.0
	v_fmac_f32_e32 v9, v14, v9
	v_mul_f32_e32 v14, v13, v9
	v_fma_f32 v15, -v7, v14, v13
	v_fmac_f32_e32 v14, v15, v9
	v_fma_f32 v7, -v7, v14, v13
	v_div_fmas_f32 v7, v7, v9, v14
	v_div_fixup_f32 v5, v7, v0, v5
	v_max_f32_e32 v5, v5, v6
	v_min_f32_e32 v5, v5, v12
	v_cvt_i32_f32_e32 v5, v5
	v_add_co_u32_e32 v6, vcc, v1, v10
	v_addc_co_u32_e32 v7, vcc, 0, v4, vcc
	global_store_byte v[6:7], v5, off
.LBB27_23:
	s_or_b64 exec, exec, s[0:1]
	v_sub_u32_e32 v18, s20, v8
	v_ashrrev_i32_e32 v6, 31, v18
	v_lshrrev_b32_e32 v6, 29, v6
	v_add_u32_e32 v6, v18, v6
	v_ashrrev_i32_e32 v9, 3, v6
	v_ashrrev_i32_e32 v5, 31, v8
	v_cmp_gt_i32_e32 vcc, v9, v10
	v_lshlrev_b32_e32 v19, 1, v8
	s_and_saveexec_b64 s[0:1], vcc
	s_cbranch_execz .LBB27_26
; %bb.24:
	v_lshlrev_b32_e32 v6, 4, v10
	v_lshl_add_u32 v6, v11, 1, v6
	v_lshlrev_b32_e32 v7, 1, v8
	v_add_co_u32_e32 v2, vcc, v8, v2
	v_add3_u32 v6, v6, v7, 0
	v_addc_co_u32_e32 v3, vcc, v5, v3, vcc
	v_lshlrev_b32_e32 v7, 3, v10
	v_add_co_u32_e32 v2, vcc, v2, v7
	v_addc_co_u32_e32 v3, vcc, 0, v3, vcc
	v_mov_b32_e32 v7, s9
	v_add_co_u32_e32 v2, vcc, s8, v2
	v_addc_co_u32_e32 v3, vcc, v7, v3, vcc
	s_mov_b64 s[2:3], 0
	v_max_f32_e64 v7, s10, s10
	v_max_f32_e64 v12, s11, s11
	v_mov_b32_e32 v13, 8
	v_mov_b32_e32 v14, v10
.LBB27_25:                              ; =>This Inner Loop Header: Depth=1
	ds_read_b128 v[20:23], v6
	v_add_u32_e32 v14, 16, v14
	v_add_u32_e32 v6, 0x100, v6
	s_waitcnt lgkmcnt(0)
	v_lshlrev_b32_e32 v15, 16, v20
	v_div_scale_f32 v16, s[4:5], v0, v0, v15
	v_rcp_f32_e32 v17, v16
	v_fma_f32 v24, -v16, v17, 1.0
	v_fmac_f32_e32 v17, v24, v17
	v_div_scale_f32 v24, vcc, v15, v0, v15
	v_mul_f32_e32 v25, v24, v17
	v_fma_f32 v26, -v16, v25, v24
	v_fmac_f32_e32 v25, v26, v17
	v_fma_f32 v16, -v16, v25, v24
	v_div_fmas_f32 v16, v16, v17, v25
	v_div_fixup_f32 v15, v16, v0, v15
	v_and_b32_e32 v16, 0xffff0000, v20
	v_div_scale_f32 v17, s[4:5], v0, v0, v16
	v_rcp_f32_e32 v20, v17
	v_max_f32_e32 v15, v15, v7
	v_min_f32_e32 v15, v15, v12
	v_cvt_i32_f32_e32 v15, v15
	v_fma_f32 v24, -v17, v20, 1.0
	v_fmac_f32_e32 v20, v24, v20
	v_div_scale_f32 v24, vcc, v16, v0, v16
	v_mul_f32_e32 v25, v24, v20
	v_fma_f32 v26, -v17, v25, v24
	v_fmac_f32_e32 v25, v26, v20
	v_fma_f32 v17, -v17, v25, v24
	v_div_fmas_f32 v17, v17, v20, v25
	v_div_fixup_f32 v16, v17, v0, v16
	v_lshlrev_b32_e32 v17, 16, v21
	v_div_scale_f32 v20, s[4:5], v0, v0, v17
	v_rcp_f32_e32 v24, v20
	v_max_f32_e32 v16, v16, v7
	v_min_f32_e32 v16, v16, v12
	v_cvt_i32_f32_e32 v16, v16
	v_fma_f32 v25, -v20, v24, 1.0
	v_fmac_f32_e32 v24, v25, v24
	v_div_scale_f32 v25, vcc, v17, v0, v17
	v_mul_f32_e32 v26, v25, v24
	v_fma_f32 v27, -v20, v26, v25
	v_fmac_f32_e32 v26, v27, v24
	v_fma_f32 v20, -v20, v26, v25
	v_div_fmas_f32 v20, v20, v24, v26
	v_div_fixup_f32 v17, v20, v0, v17
	v_max_f32_e32 v17, v17, v7
	v_min_f32_e32 v17, v17, v12
	v_cvt_i32_f32_e32 v20, v17
	v_and_b32_e32 v17, 0xffff0000, v21
	v_div_scale_f32 v21, s[4:5], v0, v0, v17
	v_rcp_f32_e32 v24, v21
	v_and_b32_e32 v20, 0xff, v20
	v_lshlrev_b32_e32 v20, 16, v20
	v_lshlrev_b32_sdwa v16, v13, v16 dst_sel:DWORD dst_unused:UNUSED_PAD src0_sel:DWORD src1_sel:BYTE_0
	v_fma_f32 v25, -v21, v24, 1.0
	v_fmac_f32_e32 v24, v25, v24
	v_div_scale_f32 v25, vcc, v17, v0, v17
	v_mul_f32_e32 v26, v25, v24
	v_fma_f32 v27, -v21, v26, v25
	v_fmac_f32_e32 v26, v27, v24
	v_fma_f32 v21, -v21, v26, v25
	v_div_fmas_f32 v21, v21, v24, v26
	v_div_fixup_f32 v17, v21, v0, v17
	v_max_f32_e32 v17, v17, v7
	v_min_f32_e32 v17, v17, v12
	v_cvt_i32_f32_sdwa v21, v17 dst_sel:BYTE_3 dst_unused:UNUSED_PAD src0_sel:DWORD
	v_lshlrev_b32_e32 v17, 16, v22
	v_div_scale_f32 v24, s[4:5], v0, v0, v17
	v_rcp_f32_e32 v25, v24
	v_and_b32_e32 v22, 0xffff0000, v22
	v_or3_b32 v16, v21, v20, v16
	v_or_b32_sdwa v16, v16, v15 dst_sel:DWORD dst_unused:UNUSED_PAD src0_sel:DWORD src1_sel:BYTE_0
	v_fma_f32 v26, -v24, v25, 1.0
	v_fmac_f32_e32 v25, v26, v25
	v_div_scale_f32 v26, vcc, v17, v0, v17
	v_mul_f32_e32 v27, v26, v25
	v_fma_f32 v28, -v24, v27, v26
	v_fmac_f32_e32 v27, v28, v25
	v_fma_f32 v24, -v24, v27, v26
	v_div_fmas_f32 v24, v24, v25, v27
	v_div_fixup_f32 v17, v24, v0, v17
	v_div_scale_f32 v24, s[4:5], v0, v0, v22
	v_rcp_f32_e32 v25, v24
	v_max_f32_e32 v17, v17, v7
	v_min_f32_e32 v17, v17, v12
	v_cvt_i32_f32_e32 v17, v17
	v_fma_f32 v26, -v24, v25, 1.0
	v_fmac_f32_e32 v25, v26, v25
	v_div_scale_f32 v26, vcc, v22, v0, v22
	v_mul_f32_e32 v27, v26, v25
	v_fma_f32 v28, -v24, v27, v26
	v_fmac_f32_e32 v27, v28, v25
	v_fma_f32 v24, -v24, v27, v26
	v_div_fmas_f32 v24, v24, v25, v27
	v_div_fixup_f32 v22, v24, v0, v22
	v_lshlrev_b32_e32 v24, 16, v23
	v_div_scale_f32 v25, s[4:5], v0, v0, v24
	v_rcp_f32_e32 v26, v25
	v_and_b32_e32 v23, 0xffff0000, v23
	v_max_f32_e32 v22, v22, v7
	v_min_f32_e32 v22, v22, v12
	v_fma_f32 v27, -v25, v26, 1.0
	v_fmac_f32_e32 v26, v27, v26
	v_div_scale_f32 v27, vcc, v24, v0, v24
	v_mul_f32_e32 v28, v27, v26
	v_fma_f32 v29, -v25, v28, v27
	v_fmac_f32_e32 v28, v29, v26
	v_fma_f32 v25, -v25, v28, v27
	v_div_fmas_f32 v25, v25, v26, v28
	v_div_fixup_f32 v24, v25, v0, v24
	v_div_scale_f32 v25, s[4:5], v0, v0, v23
	v_rcp_f32_e32 v26, v25
	v_max_f32_e32 v24, v24, v7
	v_min_f32_e32 v24, v24, v12
	v_cvt_i32_f32_e32 v24, v24
	v_fma_f32 v27, -v25, v26, 1.0
	v_fmac_f32_e32 v26, v27, v26
	v_div_scale_f32 v27, vcc, v23, v0, v23
	v_mul_f32_e32 v28, v27, v26
	v_fma_f32 v29, -v25, v28, v27
	v_fmac_f32_e32 v28, v29, v26
	v_fma_f32 v25, -v25, v28, v27
	v_div_fmas_f32 v25, v25, v26, v28
	v_div_fixup_f32 v23, v25, v0, v23
	v_max_f32_e32 v23, v23, v7
	v_min_f32_e32 v23, v23, v12
	v_cvt_i32_f32_e32 v22, v22
	v_cvt_i32_f32_sdwa v23, v23 dst_sel:BYTE_3 dst_unused:UNUSED_PAD src0_sel:DWORD
	v_and_b32_e32 v24, 0xff, v24
	v_lshlrev_b32_e32 v24, 16, v24
	v_lshlrev_b32_sdwa v22, v13, v22 dst_sel:DWORD dst_unused:UNUSED_PAD src0_sel:DWORD src1_sel:BYTE_0
	v_or_b32_e32 v23, v23, v24
	v_and_b32_e32 v17, 0xff, v17
	v_or3_b32 v17, v23, v22, v17
	global_store_dwordx2 v[2:3], v[16:17], off
	v_add_co_u32_e32 v2, vcc, 0x80, v2
	v_addc_co_u32_e32 v3, vcc, 0, v3, vcc
	v_cmp_ge_i32_e32 vcc, v14, v9
	s_or_b64 s[2:3], vcc, s[2:3]
	s_andn2_b64 exec, exec, s[2:3]
	s_cbranch_execnz .LBB27_25
.LBB27_26:
	s_or_b64 exec, exec, s[0:1]
	v_lshlrev_b32_e32 v6, 3, v9
	v_add_u32_e32 v2, v6, v10
	v_cmp_lt_i32_e32 vcc, v2, v18
	s_and_saveexec_b64 s[14:15], vcc
	s_cbranch_execz .LBB27_36
; %bb.27:
	v_add_u32_e32 v3, 16, v2
	v_add_co_u32_e32 v20, vcc, v1, v8
	v_max_i32_e32 v1, v3, v18
	v_xad_u32 v1, v10, -1, v1
	v_addc_co_u32_e32 v21, vcc, v4, v5, vcc
	v_sub_u32_e32 v1, v1, v6
	v_cmp_lt_u32_e32 vcc, 47, v1
	s_mov_b64 s[0:1], 0
                                        ; implicit-def: $vgpr22
	s_and_saveexec_b64 s[2:3], vcc
	s_xor_b64 s[16:17], exec, s[2:3]
	s_cbranch_execnz .LBB27_30
; %bb.28:
	s_andn2_saveexec_b64 s[2:3], s[16:17]
	s_cbranch_execnz .LBB27_33
.LBB27_29:
	s_or_b64 exec, exec, s[2:3]
	s_and_b64 exec, exec, s[0:1]
	s_cbranch_execnz .LBB27_34
	s_branch .LBB27_36
.LBB27_30:
	v_lshrrev_b32_e32 v1, 4, v1
	v_lshlrev_b32_e32 v22, 1, v11
	v_lshlrev_b32_e32 v9, 4, v9
	;; [unrolled: 1-line block ×3, first 2 shown]
	v_add_u32_e32 v23, 1, v1
	v_add_u32_e32 v5, 48, v2
	v_add_u32_e32 v4, 32, v2
	v_add3_u32 v8, v22, v9, v19
	v_lshlrev_b32_e32 v9, 1, v10
	v_and_b32_e32 v24, 0x1ffffffc, v23
	s_mov_b32 s0, s10
	s_mov_b32 s1, s10
	;; [unrolled: 1-line block ×8, first 2 shown]
	v_add3_u32 v25, v8, v9, 0
	v_pk_mov_b32 v[10:11], v[4:5], v[4:5] op_sel:[0,1]
	v_mov_b32_e32 v1, v0
	v_mov_b32_e32 v6, v0
	v_mov_b32_e32 v7, v0
	s_mov_b64 s[18:19], 0
	v_max_f32_e64 v26, s3, s3
	v_max_f32_e64 v27, s2, s2
	;; [unrolled: 1-line block ×8, first 2 shown]
	v_mov_b32_e32 v34, v24
	v_pk_mov_b32 v[8:9], v[2:3], v[2:3] op_sel:[0,1]
.LBB27_31:                              ; =>This Inner Loop Header: Depth=1
	ds_read_u16 v35, v25
	ds_read_u16 v36, v25 offset:32
	ds_read_u16 v37, v25 offset:64
	;; [unrolled: 1-line block ×3, first 2 shown]
	v_ashrrev_i32_e32 v3, 31, v11
	v_ashrrev_i32_e32 v13, 31, v10
	;; [unrolled: 1-line block ×4, first 2 shown]
	v_add_co_u32_e32 v4, vcc, v20, v9
	v_add_co_u32_e64 v12, s[0:1], v20, v10
	v_add_co_u32_e64 v14, s[2:3], v20, v11
	;; [unrolled: 1-line block ×3, first 2 shown]
	s_waitcnt lgkmcnt(3)
	v_lshlrev_b32_e32 v35, 16, v35
	v_addc_co_u32_e64 v17, s[4:5], v21, v15, s[4:5]
	v_addc_co_u32_e32 v5, vcc, v21, v5, vcc
	v_addc_co_u32_e64 v13, vcc, v21, v13, s[0:1]
	v_addc_co_u32_e64 v15, vcc, v21, v3, s[2:3]
	s_waitcnt lgkmcnt(0)
	v_lshlrev_b32_e32 v3, 16, v38
	v_lshlrev_b32_e32 v36, 16, v36
	v_div_scale_f32 v38, s[0:1], v0, v0, v35
	v_lshlrev_b32_e32 v37, 16, v37
	v_div_scale_f32 v40, s[0:1], v1, v1, v36
	v_rcp_f32_e32 v46, v38
	v_div_scale_f32 v42, s[2:3], v6, v6, v37
	v_div_scale_f32 v44, s[4:5], v7, v7, v3
	v_rcp_f32_e32 v47, v40
	v_rcp_f32_e32 v48, v42
	;; [unrolled: 1-line block ×3, first 2 shown]
	v_fma_f32 v50, -v38, v46, 1.0
	v_div_scale_f32 v39, vcc, v35, v0, v35
	v_fma_f32 v51, -v40, v47, 1.0
	v_fmac_f32_e32 v46, v50, v46
	v_div_scale_f32 v41, s[0:1], v36, v1, v36
	v_fma_f32 v52, -v42, v48, 1.0
	v_fma_f32 v53, -v44, v49, 1.0
	v_fmac_f32_e32 v47, v51, v47
	v_mul_f32_e32 v50, v39, v46
	v_div_scale_f32 v43, s[2:3], v37, v6, v37
	v_fmac_f32_e32 v48, v52, v48
	v_fmac_f32_e32 v49, v53, v49
	v_mul_f32_e32 v51, v41, v47
	v_fma_f32 v53, -v38, v50, v39
	v_mul_f32_e32 v52, v43, v48
	v_fmac_f32_e32 v50, v53, v46
	v_fma_f32 v53, -v40, v51, v41
	v_div_scale_f32 v45, s[4:5], v3, v7, v3
	v_fmac_f32_e32 v51, v53, v47
	v_fma_f32 v53, -v42, v52, v43
	v_fmac_f32_e32 v52, v53, v48
	v_mul_f32_e32 v53, v45, v49
	v_fma_f32 v38, -v38, v50, v39
	v_fma_f32 v54, -v44, v53, v45
	;; [unrolled: 1-line block ×3, first 2 shown]
	v_div_fmas_f32 v38, v38, v46, v50
	s_mov_b64 vcc, s[0:1]
	v_fmac_f32_e32 v53, v54, v49
	v_fma_f32 v40, -v42, v52, v43
	v_div_fixup_f32 v35, v38, v0, v35
	v_div_fmas_f32 v38, v39, v47, v51
	s_mov_b64 vcc, s[2:3]
	v_fma_f32 v41, -v44, v53, v45
	v_div_fixup_f32 v36, v38, v1, v36
	v_div_fmas_f32 v38, v40, v48, v52
	s_mov_b64 vcc, s[4:5]
	v_div_fixup_f32 v37, v38, v6, v37
	v_div_fmas_f32 v38, v41, v49, v53
	v_div_fixup_f32 v3, v38, v7, v3
	v_max_f32_e32 v35, v35, v29
	v_max_f32_e32 v36, v36, v28
	;; [unrolled: 1-line block ×4, first 2 shown]
	v_min_f32_e32 v35, v35, v30
	v_min_f32_e32 v36, v36, v31
	;; [unrolled: 1-line block ×4, first 2 shown]
	v_cvt_i32_f32_e32 v35, v35
	v_cvt_i32_f32_sdwa v36, v36 dst_sel:BYTE_1 dst_unused:UNUSED_PAD src0_sel:DWORD
	v_cvt_i32_f32_e32 v37, v37
	v_cvt_i32_f32_sdwa v3, v3 dst_sel:BYTE_1 dst_unused:UNUSED_PAD src0_sel:DWORD
	v_add_u32_e32 v34, -4, v34
	v_cmp_eq_u32_e64 s[6:7], 0, v34
	global_store_byte v[16:17], v35, off
	v_lshrrev_b32_e32 v16, 8, v36
	v_or_b32_sdwa v3, v37, v3 dst_sel:DWORD dst_unused:UNUSED_PAD src0_sel:BYTE_0 src1_sel:DWORD
	v_add_u32_e32 v11, 64, v11
	v_add_u32_e32 v10, 64, v10
	;; [unrolled: 1-line block ×5, first 2 shown]
	s_or_b64 s[18:19], s[6:7], s[18:19]
	global_store_byte v[4:5], v16, off
	global_store_byte v[12:13], v3, off
	v_lshrrev_b32_e32 v3, 8, v3
	global_store_byte v[14:15], v3, off
	s_andn2_b64 exec, exec, s[18:19]
	s_cbranch_execnz .LBB27_31
; %bb.32:
	s_or_b64 exec, exec, s[18:19]
	v_cmp_ne_u32_e32 vcc, v23, v24
	v_lshl_add_u32 v2, v24, 4, v2
	s_and_b64 s[0:1], vcc, exec
                                        ; implicit-def: $vgpr11
	s_andn2_saveexec_b64 s[2:3], s[16:17]
	s_cbranch_execz .LBB27_29
.LBB27_33:
	v_lshlrev_b32_e32 v22, 1, v11
	s_or_b64 s[0:1], s[0:1], exec
	s_or_b64 exec, exec, s[2:3]
	s_and_b64 exec, exec, s[0:1]
	s_cbranch_execz .LBB27_36
.LBB27_34:
	v_lshl_add_u32 v1, v2, 1, v22
	v_add3_u32 v3, v1, v19, 0
	v_ashrrev_i32_e32 v1, 31, v2
	s_mov_b64 s[2:3], 0
	v_max_f32_e64 v4, s10, s10
	v_max_f32_e64 v5, s11, s11
.LBB27_35:                              ; =>This Inner Loop Header: Depth=1
	ds_read_u16 v8, v3
	v_add_co_u32_e32 v6, vcc, v20, v2
	v_addc_co_u32_e32 v7, vcc, v21, v1, vcc
	s_waitcnt lgkmcnt(0)
	v_lshlrev_b32_e32 v8, 16, v8
	v_div_scale_f32 v9, s[4:5], v0, v0, v8
	v_rcp_f32_e32 v10, v9
	v_div_scale_f32 v11, vcc, v8, v0, v8
	v_add_co_u32_e64 v2, s[0:1], 16, v2
	v_fma_f32 v12, -v9, v10, 1.0
	v_fmac_f32_e32 v10, v12, v10
	v_mul_f32_e32 v12, v11, v10
	v_fma_f32 v13, -v9, v12, v11
	v_fmac_f32_e32 v12, v13, v10
	v_fma_f32 v9, -v9, v12, v11
	v_div_fmas_f32 v9, v9, v10, v12
	v_div_fixup_f32 v8, v9, v0, v8
	v_max_f32_e32 v8, v8, v4
	v_min_f32_e32 v8, v8, v5
	v_cvt_i32_f32_e32 v8, v8
	v_addc_co_u32_e64 v1, vcc, 0, v1, s[0:1]
	v_cmp_ge_i32_e32 vcc, v2, v18
	v_add_u32_e32 v3, 32, v3
	s_or_b64 s[2:3], vcc, s[2:3]
	global_store_byte v[6:7], v8, off
	s_andn2_b64 exec, exec, s[2:3]
	s_cbranch_execnz .LBB27_35
.LBB27_36:
	s_or_b64 exec, exec, s[14:15]
                                        ; implicit-def: $vgpr10
                                        ; implicit-def: $vgpr0
                                        ; implicit-def: $vgpr11
                                        ; implicit-def: $vgpr2_vgpr3
.LBB27_37:
	s_andn2_saveexec_b64 s[0:1], s[12:13]
	s_cbranch_execz .LBB27_41
; %bb.38:
	s_ashr_i32 s16, s20, 3
	v_cmp_gt_i32_e32 vcc, s16, v10
	s_and_saveexec_b64 s[0:1], vcc
	s_cbranch_execz .LBB27_41
; %bb.39:
	v_lshlrev_b32_e32 v1, 1, v11
	v_lshlrev_b32_e32 v4, 4, v10
	v_add3_u32 v1, v1, v4, 0
	v_lshlrev_b32_e32 v4, 3, v10
	v_add_co_u32_e32 v2, vcc, v2, v4
	v_addc_co_u32_e32 v3, vcc, 0, v3, vcc
	v_mov_b32_e32 v4, s9
	v_add_co_u32_e32 v6, vcc, s8, v2
	v_addc_co_u32_e32 v7, vcc, v4, v3, vcc
	s_mov_b64 s[14:15], 0
	v_max_f32_e64 v8, s10, s10
	v_max_f32_e64 v9, s11, s11
	v_mov_b32_e32 v11, 8
.LBB27_40:                              ; =>This Inner Loop Header: Depth=1
	ds_read_b128 v[2:5], v1
	v_add_u32_e32 v10, 16, v10
	v_cmp_le_i32_e32 vcc, s16, v10
	s_or_b64 s[14:15], vcc, s[14:15]
	v_add_u32_e32 v1, 0x100, v1
	s_waitcnt lgkmcnt(0)
	v_lshlrev_b32_e32 v12, 16, v2
	v_and_b32_e32 v2, 0xffff0000, v2
	v_div_scale_f32 v16, s[0:1], v0, v0, v12
	v_lshlrev_b32_e32 v13, 16, v3
	v_div_scale_f32 v18, s[0:1], v0, v0, v2
	v_rcp_f32_e32 v32, v16
	v_and_b32_e32 v3, 0xffff0000, v3
	v_div_scale_f32 v20, s[2:3], v0, v0, v13
	v_rcp_f32_e32 v33, v18
	v_lshlrev_b32_e32 v14, 16, v4
	v_div_scale_f32 v22, s[4:5], v0, v0, v3
	v_rcp_f32_e32 v34, v20
	v_and_b32_e32 v4, 0xffff0000, v4
	v_div_scale_f32 v24, s[6:7], v0, v0, v14
	v_rcp_f32_e32 v35, v22
	v_lshlrev_b32_e32 v15, 16, v5
	v_div_scale_f32 v26, s[8:9], v0, v0, v4
	v_rcp_f32_e32 v36, v24
	v_fma_f32 v40, -v16, v32, 1.0
	v_div_scale_f32 v17, vcc, v12, v0, v12
	v_div_scale_f32 v28, s[10:11], v0, v0, v15
	v_rcp_f32_e32 v37, v26
	v_fma_f32 v41, -v18, v33, 1.0
	v_fmac_f32_e32 v32, v40, v32
	v_and_b32_e32 v5, 0xffff0000, v5
	v_div_scale_f32 v19, s[0:1], v2, v0, v2
	v_rcp_f32_e32 v38, v28
	v_fma_f32 v42, -v20, v34, 1.0
	v_fmac_f32_e32 v33, v41, v33
	v_mul_f32_e32 v40, v17, v32
	v_div_scale_f32 v21, s[2:3], v13, v0, v13
	v_div_scale_f32 v30, s[12:13], v0, v0, v5
	v_fma_f32 v43, -v22, v35, 1.0
	v_fmac_f32_e32 v34, v42, v34
	v_mul_f32_e32 v41, v19, v33
	v_fma_f32 v48, -v16, v40, v17
	v_div_scale_f32 v23, s[4:5], v3, v0, v3
	v_rcp_f32_e32 v39, v30
	v_fma_f32 v44, -v24, v36, 1.0
	v_fmac_f32_e32 v35, v43, v35
	v_mul_f32_e32 v42, v21, v34
	v_fma_f32 v49, -v18, v41, v19
	v_fmac_f32_e32 v40, v48, v32
	v_div_scale_f32 v25, s[6:7], v14, v0, v14
	v_fma_f32 v45, -v26, v37, 1.0
	v_fmac_f32_e32 v36, v44, v36
	v_mul_f32_e32 v43, v23, v35
	v_fma_f32 v50, -v20, v42, v21
	v_fmac_f32_e32 v41, v49, v33
	v_fma_f32 v16, -v16, v40, v17
	v_div_scale_f32 v27, s[8:9], v4, v0, v4
	v_fma_f32 v46, -v28, v38, 1.0
	v_fmac_f32_e32 v37, v45, v37
	v_mul_f32_e32 v44, v25, v36
	v_fma_f32 v51, -v22, v43, v23
	v_fmac_f32_e32 v42, v50, v34
	v_fma_f32 v17, -v18, v41, v19
	v_div_fmas_f32 v16, v16, v32, v40
	s_mov_b64 vcc, s[0:1]
	v_div_scale_f32 v29, s[10:11], v15, v0, v15
	v_fmac_f32_e32 v38, v46, v38
	v_mul_f32_e32 v45, v27, v37
	v_fma_f32 v52, -v24, v44, v25
	v_fmac_f32_e32 v43, v51, v35
	v_fma_f32 v18, -v20, v42, v21
	v_div_fixup_f32 v12, v16, v0, v12
	v_div_fmas_f32 v16, v17, v33, v41
	s_mov_b64 vcc, s[2:3]
	v_fma_f32 v47, -v30, v39, 1.0
	v_mul_f32_e32 v46, v29, v38
	v_fma_f32 v53, -v26, v45, v27
	v_fmac_f32_e32 v44, v52, v36
	v_fma_f32 v19, -v22, v43, v23
	v_div_fixup_f32 v2, v16, v0, v2
	v_div_fmas_f32 v16, v18, v34, v42
	s_mov_b64 vcc, s[4:5]
	v_div_scale_f32 v31, s[12:13], v5, v0, v5
	v_fmac_f32_e32 v39, v47, v39
	v_fma_f32 v54, -v28, v46, v29
	v_fmac_f32_e32 v45, v53, v37
	v_fma_f32 v20, -v24, v44, v25
	v_div_fixup_f32 v13, v16, v0, v13
	v_div_fmas_f32 v16, v19, v35, v43
	s_mov_b64 vcc, s[6:7]
	v_mul_f32_e32 v47, v31, v39
	v_fmac_f32_e32 v46, v54, v38
	v_fma_f32 v21, -v26, v45, v27
	v_div_fixup_f32 v3, v16, v0, v3
	v_div_fmas_f32 v16, v20, v36, v44
	s_mov_b64 vcc, s[8:9]
	v_fma_f32 v55, -v30, v47, v31
	v_fma_f32 v22, -v28, v46, v29
	v_div_fixup_f32 v14, v16, v0, v14
	v_div_fmas_f32 v16, v21, v37, v45
	s_mov_b64 vcc, s[10:11]
	v_fmac_f32_e32 v47, v55, v39
	v_max_f32_e32 v13, v13, v8
	v_div_fixup_f32 v4, v16, v0, v4
	v_div_fmas_f32 v16, v22, v38, v46
	v_fma_f32 v23, -v30, v47, v31
	v_max_f32_e32 v2, v2, v8
	v_min_f32_e32 v13, v13, v9
	v_div_fixup_f32 v15, v16, v0, v15
	s_mov_b64 vcc, s[12:13]
	v_min_f32_e32 v2, v2, v9
	v_max_f32_e32 v3, v3, v8
	v_cvt_i32_f32_e32 v13, v13
	v_max_f32_e32 v4, v4, v8
	v_div_fmas_f32 v16, v23, v39, v47
	v_max_f32_e32 v15, v15, v8
	v_cvt_i32_f32_e32 v2, v2
	v_min_f32_e32 v3, v3, v9
	v_min_f32_e32 v4, v4, v9
	v_div_fixup_f32 v5, v16, v0, v5
	v_min_f32_e32 v15, v15, v9
	v_max_f32_e32 v14, v14, v8
	v_cvt_i32_f32_sdwa v3, v3 dst_sel:BYTE_3 dst_unused:UNUSED_PAD src0_sel:DWORD
	v_cvt_i32_f32_e32 v4, v4
	v_max_f32_e32 v5, v5, v8
	v_cvt_i32_f32_e32 v15, v15
	v_max_f32_e32 v12, v12, v8
	v_min_f32_e32 v14, v14, v9
	v_min_f32_e32 v5, v5, v9
	;; [unrolled: 1-line block ×3, first 2 shown]
	v_cvt_i32_f32_e32 v14, v14
	v_and_b32_e32 v13, 0xff, v13
	v_cvt_i32_f32_sdwa v5, v5 dst_sel:BYTE_3 dst_unused:UNUSED_PAD src0_sel:DWORD
	v_cvt_i32_f32_e32 v12, v12
	v_lshlrev_b32_sdwa v2, v11, v2 dst_sel:DWORD dst_unused:UNUSED_PAD src0_sel:DWORD src1_sel:BYTE_0
	v_lshlrev_b32_e32 v13, 16, v13
	v_or3_b32 v2, v3, v13, v2
	v_lshlrev_b32_sdwa v3, v11, v4 dst_sel:DWORD dst_unused:UNUSED_PAD src0_sel:DWORD src1_sel:BYTE_0
	v_and_b32_e32 v4, 0xff, v15
	v_lshlrev_b32_e32 v4, 16, v4
	v_and_b32_e32 v14, 0xff, v14
	v_or_b32_e32 v4, v5, v4
	v_or_b32_sdwa v2, v2, v12 dst_sel:DWORD dst_unused:UNUSED_PAD src0_sel:DWORD src1_sel:BYTE_0
	v_or3_b32 v3, v4, v3, v14
	global_store_dwordx2 v[6:7], v[2:3], off
	v_add_co_u32_e32 v6, vcc, 0x80, v6
	v_addc_co_u32_e32 v7, vcc, 0, v7, vcc
	s_andn2_b64 exec, exec, s[14:15]
	s_cbranch_execnz .LBB27_40
.LBB27_41:
	s_endpgm
	.section	.rodata,"a",@progbits
	.p2align	6, 0x0
	.amdhsa_kernel _Z33per_token_group_quant_8bit_kernelIN3c108BFloat16EaLb0ELb0EfEvPKT_PvPT3_iiifffii
		.amdhsa_group_segment_fixed_size 0
		.amdhsa_private_segment_fixed_size 0
		.amdhsa_kernarg_size 56
		.amdhsa_user_sgpr_count 6
		.amdhsa_user_sgpr_private_segment_buffer 1
		.amdhsa_user_sgpr_dispatch_ptr 0
		.amdhsa_user_sgpr_queue_ptr 0
		.amdhsa_user_sgpr_kernarg_segment_ptr 1
		.amdhsa_user_sgpr_dispatch_id 0
		.amdhsa_user_sgpr_flat_scratch_init 0
		.amdhsa_user_sgpr_kernarg_preload_length 0
		.amdhsa_user_sgpr_kernarg_preload_offset 0
		.amdhsa_user_sgpr_private_segment_size 0
		.amdhsa_uses_dynamic_stack 0
		.amdhsa_system_sgpr_private_segment_wavefront_offset 0
		.amdhsa_system_sgpr_workgroup_id_x 1
		.amdhsa_system_sgpr_workgroup_id_y 0
		.amdhsa_system_sgpr_workgroup_id_z 0
		.amdhsa_system_sgpr_workgroup_info 0
		.amdhsa_system_vgpr_workitem_id 0
		.amdhsa_next_free_vgpr 56
		.amdhsa_next_free_sgpr 21
		.amdhsa_accum_offset 56
		.amdhsa_reserve_vcc 1
		.amdhsa_reserve_flat_scratch 0
		.amdhsa_float_round_mode_32 0
		.amdhsa_float_round_mode_16_64 0
		.amdhsa_float_denorm_mode_32 3
		.amdhsa_float_denorm_mode_16_64 3
		.amdhsa_dx10_clamp 1
		.amdhsa_ieee_mode 1
		.amdhsa_fp16_overflow 0
		.amdhsa_tg_split 0
		.amdhsa_exception_fp_ieee_invalid_op 0
		.amdhsa_exception_fp_denorm_src 0
		.amdhsa_exception_fp_ieee_div_zero 0
		.amdhsa_exception_fp_ieee_overflow 0
		.amdhsa_exception_fp_ieee_underflow 0
		.amdhsa_exception_fp_ieee_inexact 0
		.amdhsa_exception_int_div_zero 0
	.end_amdhsa_kernel
	.section	.text._Z33per_token_group_quant_8bit_kernelIN3c108BFloat16EaLb0ELb0EfEvPKT_PvPT3_iiifffii,"axG",@progbits,_Z33per_token_group_quant_8bit_kernelIN3c108BFloat16EaLb0ELb0EfEvPKT_PvPT3_iiifffii,comdat
.Lfunc_end27:
	.size	_Z33per_token_group_quant_8bit_kernelIN3c108BFloat16EaLb0ELb0EfEvPKT_PvPT3_iiifffii, .Lfunc_end27-_Z33per_token_group_quant_8bit_kernelIN3c108BFloat16EaLb0ELb0EfEvPKT_PvPT3_iiifffii
                                        ; -- End function
	.section	.AMDGPU.csdata,"",@progbits
; Kernel info:
; codeLenInByte = 4548
; NumSgprs: 25
; NumVgprs: 56
; NumAgprs: 0
; TotalNumVgprs: 56
; ScratchSize: 0
; MemoryBound: 0
; FloatMode: 240
; IeeeMode: 1
; LDSByteSize: 0 bytes/workgroup (compile time only)
; SGPRBlocks: 3
; VGPRBlocks: 6
; NumSGPRsForWavesPerEU: 25
; NumVGPRsForWavesPerEU: 56
; AccumOffset: 56
; Occupancy: 8
; WaveLimiterHint : 0
; COMPUTE_PGM_RSRC2:SCRATCH_EN: 0
; COMPUTE_PGM_RSRC2:USER_SGPR: 6
; COMPUTE_PGM_RSRC2:TRAP_HANDLER: 0
; COMPUTE_PGM_RSRC2:TGID_X_EN: 1
; COMPUTE_PGM_RSRC2:TGID_Y_EN: 0
; COMPUTE_PGM_RSRC2:TGID_Z_EN: 0
; COMPUTE_PGM_RSRC2:TIDIG_COMP_CNT: 0
; COMPUTE_PGM_RSRC3_GFX90A:ACCUM_OFFSET: 13
; COMPUTE_PGM_RSRC3_GFX90A:TG_SPLIT: 0
	.section	.text._Z33per_token_group_quant_8bit_kernelIN3c108BFloat16ENS0_13Float8_e4m3fnELb1ELb1EfEvPKT_PvPT3_iiifffii,"axG",@progbits,_Z33per_token_group_quant_8bit_kernelIN3c108BFloat16ENS0_13Float8_e4m3fnELb1ELb1EfEvPKT_PvPT3_iiifffii,comdat
	.protected	_Z33per_token_group_quant_8bit_kernelIN3c108BFloat16ENS0_13Float8_e4m3fnELb1ELb1EfEvPKT_PvPT3_iiifffii ; -- Begin function _Z33per_token_group_quant_8bit_kernelIN3c108BFloat16ENS0_13Float8_e4m3fnELb1ELb1EfEvPKT_PvPT3_iiifffii
	.globl	_Z33per_token_group_quant_8bit_kernelIN3c108BFloat16ENS0_13Float8_e4m3fnELb1ELb1EfEvPKT_PvPT3_iiifffii
	.p2align	8
	.type	_Z33per_token_group_quant_8bit_kernelIN3c108BFloat16ENS0_13Float8_e4m3fnELb1ELb1EfEvPKT_PvPT3_iiifffii,@function
_Z33per_token_group_quant_8bit_kernelIN3c108BFloat16ENS0_13Float8_e4m3fnELb1ELb1EfEvPKT_PvPT3_iiifffii: ; @_Z33per_token_group_quant_8bit_kernelIN3c108BFloat16ENS0_13Float8_e4m3fnELb1ELb1EfEvPKT_PvPT3_iiifffii
; %bb.0:
	s_load_dword s21, s[4:5], 0x18
	s_load_dwordx2 s[0:1], s[4:5], 0x0
	s_load_dwordx4 s[8:11], s[4:5], 0x20
	s_load_dwordx2 s[2:3], s[4:5], 0x30
	v_lshrrev_b32_e32 v2, 4, v0
	s_waitcnt lgkmcnt(0)
	s_ashr_i32 s12, s21, 31
	v_and_b32_e32 v8, 15, v0
	s_mul_i32 s6, s6, s8
	v_add_co_u32_e32 v7, vcc, s6, v2
	v_addc_co_u32_e64 v10, s[6:7], 0, 0, vcc
	v_mul_lo_u32 v0, v10, s21
	v_mul_lo_u32 v1, v7, s12
	v_mad_u64_u32 v[12:13], s[6:7], v7, s21, 0
	v_add3_u32 v13, v13, v1, v0
	v_lshlrev_b64 v[0:1], 1, v[12:13]
	s_and_b32 s8, s21, 7
	v_mov_b32_e32 v4, s1
	v_add_co_u32_e32 v3, vcc, s0, v0
	s_cmp_eq_u32 s8, 0
	v_addc_co_u32_e32 v4, vcc, v4, v1, vcc
	v_mov_b32_e32 v15, 0
	v_and_b32_e32 v14, 15, v3
	s_cselect_b64 s[6:7], -1, 0
	s_cmp_lg_u32 s8, 0
	v_mul_lo_u32 v9, v2, s21
	v_cmp_ne_u64_e32 vcc, 0, v[14:15]
	s_cselect_b64 s[12:13], -1, 0
	v_lshl_add_u32 v6, v9, 1, 0
	s_or_b64 s[12:13], s[12:13], vcc
                                        ; implicit-def: $vgpr11
	s_and_saveexec_b64 s[14:15], s[12:13]
	s_xor_b64 s[12:13], exec, s[14:15]
	s_cbranch_execz .LBB28_12
; %bb.1:
	v_sub_u32_e32 v2, 0, v3
	v_bfe_u32 v2, v2, 1, 3
	v_min_i32_e32 v2, s21, v2
	v_cmp_gt_i32_e32 vcc, v2, v8
	v_mov_b32_e32 v11, s9
	s_and_saveexec_b64 s[14:15], vcc
	s_cbranch_execz .LBB28_3
; %bb.2:
	v_lshlrev_b32_e32 v5, 1, v8
	v_add_co_u32_e32 v14, vcc, v3, v5
	v_addc_co_u32_e32 v15, vcc, 0, v4, vcc
	global_load_ushort v3, v[14:15], off
	v_max_f32_e64 v4, s9, s9
	v_add_u32_e32 v5, v6, v5
	s_waitcnt vmcnt(0)
	v_lshlrev_b32_e32 v11, 16, v3
	v_max_f32_e64 v11, |v11|, |v11|
	v_max_f32_e32 v11, v4, v11
	ds_write_b16 v5, v3
.LBB28_3:
	s_or_b64 exec, exec, s[14:15]
	v_sub_u32_e32 v14, s21, v2
	v_ashrrev_i32_e32 v4, 31, v14
	v_lshrrev_b32_e32 v4, 29, v4
	v_add_u32_e32 v4, v14, v4
	v_ashrrev_i32_e32 v3, 31, v2
	v_ashrrev_i32_e32 v15, 3, v4
	v_cmp_gt_i32_e32 vcc, v15, v8
	v_lshlrev_b32_e32 v16, 1, v2
	v_lshlrev_b64 v[2:3], 1, v[2:3]
	s_and_saveexec_b64 s[14:15], vcc
	s_cbranch_execz .LBB28_7
; %bb.4:
	v_lshlrev_b32_e32 v4, 4, v8
	v_lshl_add_u32 v5, v9, 1, v4
	v_add_co_u32_e32 v4, vcc, v0, v4
	v_add3_u32 v17, v5, v16, 0
	v_addc_co_u32_e32 v5, vcc, 0, v1, vcc
	v_add_co_u32_e32 v4, vcc, v4, v2
	v_addc_co_u32_e32 v5, vcc, v5, v3, vcc
	v_mov_b32_e32 v18, s1
	v_add_co_u32_e32 v4, vcc, s0, v4
	v_addc_co_u32_e32 v5, vcc, v5, v18, vcc
	v_add_co_u32_e32 v4, vcc, 8, v4
	v_addc_co_u32_e32 v5, vcc, 0, v5, vcc
	s_mov_b64 s[16:17], 0
	v_mov_b32_e32 v18, v8
.LBB28_5:                               ; =>This Inner Loop Header: Depth=1
	global_load_dwordx4 v[20:23], v[4:5], off offset:-8
	v_add_co_u32_e32 v4, vcc, 0x100, v4
	v_add_u32_e32 v18, 16, v18
	v_addc_co_u32_e32 v5, vcc, 0, v5, vcc
	v_cmp_ge_i32_e32 vcc, v18, v15
	s_or_b64 s[16:17], vcc, s[16:17]
	s_waitcnt vmcnt(0)
	v_lshlrev_b32_e32 v19, 16, v20
	v_and_b32_e32 v24, 0xffff0000, v20
	v_lshlrev_b32_e32 v25, 16, v21
	v_and_b32_e32 v26, 0xffff0000, v21
	v_max3_f32 v11, v11, |v19|, |v24|
	v_lshlrev_b32_e32 v27, 16, v22
	v_and_b32_e32 v28, 0xffff0000, v22
	v_max3_f32 v11, v11, |v25|, |v26|
	v_lshlrev_b32_e32 v29, 16, v23
	v_and_b32_e32 v30, 0xffff0000, v23
	v_max3_f32 v11, v11, |v27|, |v28|
	ds_write_b128 v17, v[20:23]
	v_add_u32_e32 v17, 0x100, v17
	v_max3_f32 v11, v11, |v29|, |v30|
	s_andn2_b64 exec, exec, s[16:17]
	s_cbranch_execnz .LBB28_5
; %bb.6:
	s_or_b64 exec, exec, s[16:17]
.LBB28_7:
	s_or_b64 exec, exec, s[14:15]
	v_lshl_add_u32 v4, v15, 3, v8
	v_cmp_lt_i32_e32 vcc, v4, v14
	s_and_saveexec_b64 s[14:15], vcc
	s_cbranch_execz .LBB28_11
; %bb.8:
	v_lshlrev_b32_e32 v5, 1, v9
	v_lshlrev_b32_e32 v15, 4, v15
	v_add3_u32 v5, v5, v15, v16
	v_lshlrev_b32_e32 v15, 1, v8
	v_add3_u32 v15, v5, v15, 0
	v_add_co_u32_e32 v2, vcc, v0, v2
	v_ashrrev_i32_e32 v5, 31, v4
	v_addc_co_u32_e32 v3, vcc, v1, v3, vcc
	v_lshlrev_b64 v[0:1], 1, v[4:5]
	v_add_co_u32_e32 v0, vcc, v2, v0
	v_addc_co_u32_e32 v1, vcc, v3, v1, vcc
	v_mov_b32_e32 v2, s1
	v_add_co_u32_e32 v0, vcc, s0, v0
	v_addc_co_u32_e32 v1, vcc, v2, v1, vcc
	s_mov_b64 s[16:17], 0
.LBB28_9:                               ; =>This Inner Loop Header: Depth=1
	global_load_ushort v2, v[0:1], off
	v_add_co_u32_e32 v0, vcc, 32, v0
	v_add_u32_e32 v4, 16, v4
	v_addc_co_u32_e32 v1, vcc, 0, v1, vcc
	v_max_f32_e32 v3, v11, v11
	v_cmp_ge_i32_e32 vcc, v4, v14
	s_or_b64 s[16:17], vcc, s[16:17]
	s_waitcnt vmcnt(0)
	v_lshlrev_b32_e32 v5, 16, v2
	ds_write_b16 v15, v2
	v_max_f32_e64 v2, |v5|, |v5|
	v_add_u32_e32 v15, 32, v15
	v_max_f32_e32 v11, v3, v2
	s_andn2_b64 exec, exec, s[16:17]
	s_cbranch_execnz .LBB28_9
; %bb.10:
	s_or_b64 exec, exec, s[16:17]
.LBB28_11:
	s_or_b64 exec, exec, s[14:15]
                                        ; implicit-def: $vgpr0_vgpr1
.LBB28_12:
	s_andn2_saveexec_b64 s[12:13], s[12:13]
	s_cbranch_execz .LBB28_18
; %bb.13:
	s_ashr_i32 s8, s21, 3
	v_cmp_gt_i32_e32 vcc, s8, v8
	v_mov_b32_e32 v11, s9
	s_and_saveexec_b64 s[14:15], vcc
	s_cbranch_execz .LBB28_17
; %bb.14:
	v_lshlrev_b32_e32 v3, 4, v8
	v_add_co_u32_e32 v0, vcc, v0, v3
	v_lshlrev_b32_e32 v2, 1, v9
	v_addc_co_u32_e32 v1, vcc, 0, v1, vcc
	v_add3_u32 v2, v2, v3, 0
	v_mov_b32_e32 v3, s1
	v_add_co_u32_e32 v0, vcc, s0, v0
	v_addc_co_u32_e32 v1, vcc, v1, v3, vcc
	v_add_co_u32_e32 v0, vcc, 8, v0
	v_addc_co_u32_e32 v1, vcc, 0, v1, vcc
	s_mov_b64 s[0:1], 0
	v_mov_b32_e32 v11, s9
	v_mov_b32_e32 v3, v8
.LBB28_15:                              ; =>This Inner Loop Header: Depth=1
	global_load_dwordx4 v[14:17], v[0:1], off offset:-8
	v_add_co_u32_e32 v0, vcc, 0x100, v0
	v_add_u32_e32 v3, 16, v3
	v_addc_co_u32_e32 v1, vcc, 0, v1, vcc
	v_cmp_le_i32_e32 vcc, s8, v3
	s_or_b64 s[0:1], vcc, s[0:1]
	s_waitcnt vmcnt(0)
	v_lshlrev_b32_e32 v4, 16, v14
	v_and_b32_e32 v5, 0xffff0000, v14
	v_lshlrev_b32_e32 v18, 16, v15
	v_and_b32_e32 v19, 0xffff0000, v15
	v_max3_f32 v4, v11, |v4|, |v5|
	v_lshlrev_b32_e32 v20, 16, v16
	v_and_b32_e32 v21, 0xffff0000, v16
	v_max3_f32 v4, v4, |v18|, |v19|
	;; [unrolled: 3-line block ×3, first 2 shown]
	ds_write_b128 v2, v[14:17]
	v_add_u32_e32 v2, 0x100, v2
	v_max3_f32 v11, v4, |v22|, |v23|
	s_andn2_b64 exec, exec, s[0:1]
	s_cbranch_execnz .LBB28_15
; %bb.16:
	s_or_b64 exec, exec, s[0:1]
.LBB28_17:
	s_or_b64 exec, exec, s[14:15]
.LBB28_18:
	s_or_b64 exec, exec, s[12:13]
	v_mbcnt_lo_u32_b32 v0, -1, 0
	v_mbcnt_hi_u32_b32 v0, -1, v0
	v_and_b32_e32 v2, 0x70, v0
	v_xor_b32_e32 v1, 8, v0
	v_add_u32_e32 v2, 16, v2
	v_cmp_lt_i32_e32 vcc, v1, v2
	v_cndmask_b32_e32 v1, v0, v1, vcc
	v_lshlrev_b32_e32 v1, 2, v1
	ds_bpermute_b32 v1, v1, v11
	v_xor_b32_e32 v4, 4, v0
	v_max_f32_e32 v3, v11, v11
	v_cmp_lt_i32_e32 vcc, v4, v2
	s_load_dwordx2 s[8:9], s[4:5], 0x8
	s_waitcnt lgkmcnt(0)
	v_max_f32_e32 v1, v1, v1
	v_max_f32_e32 v1, v3, v1
	v_cndmask_b32_e32 v3, v0, v4, vcc
	v_lshlrev_b32_e32 v3, 2, v3
	ds_bpermute_b32 v3, v3, v1
	v_xor_b32_e32 v4, 2, v0
	v_cmp_lt_i32_e32 vcc, v4, v2
	s_waitcnt lgkmcnt(0)
	v_max_f32_e32 v3, v3, v3
	v_max_f32_e32 v1, v1, v3
	v_cndmask_b32_e32 v3, v0, v4, vcc
	v_lshlrev_b32_e32 v3, 2, v3
	ds_bpermute_b32 v3, v3, v1
	v_xor_b32_e32 v4, 1, v0
	v_cmp_lt_i32_e32 vcc, v4, v2
	v_cndmask_b32_e32 v0, v0, v4, vcc
	v_lshlrev_b32_e32 v0, 2, v0
	s_waitcnt lgkmcnt(0)
	v_max_f32_e32 v3, v3, v3
	v_max_f32_e32 v1, v1, v3
	ds_bpermute_b32 v0, v0, v1
	s_waitcnt lgkmcnt(0)
	v_max_f32_e32 v0, v0, v0
	v_max_f32_e32 v0, v1, v0
	v_div_scale_f32 v1, s[0:1], s11, s11, v0
	v_rcp_f32_e32 v2, v1
	v_div_scale_f32 v3, vcc, v0, s11, v0
	s_mov_b32 s0, 0x2edbe6ff
	v_fma_f32 v4, -v1, v2, 1.0
	v_fmac_f32_e32 v2, v4, v2
	v_mul_f32_e32 v4, v3, v2
	v_fma_f32 v5, -v1, v4, v3
	v_fmac_f32_e32 v4, v5, v2
	v_fma_f32 v1, -v1, v4, v3
	v_div_fmas_f32 v1, v1, v2, v4
	v_div_fixup_f32 v0, v1, s11, v0
	v_max_f32_e64 v0, |v0|, s0
	s_mov_b32 s0, 0x800000
	v_mov_b32_e32 v1, 0x4f800000
	v_cmp_gt_f32_e32 vcc, s0, v0
	v_cndmask_b32_e32 v1, 1.0, v1, vcc
	v_mul_f32_e32 v0, v0, v1
	v_log_f32_e32 v0, v0
	v_mov_b32_e32 v1, 0x42000000
	v_cndmask_b32_e32 v1, 0, v1, vcc
	s_mov_b32 s0, 0xc2fc0000
	v_sub_f32_e32 v0, v0, v1
	v_ceil_f32_e32 v0, v0
	v_mov_b32_e32 v1, 0x42800000
	v_cmp_gt_f32_e32 vcc, s0, v0
	v_cndmask_b32_e32 v1, 0, v1, vcc
	v_add_f32_e32 v0, v0, v1
	v_exp_f32_e32 v0, v0
	v_mov_b32_e32 v1, 0x1f800000
	v_cndmask_b32_e32 v1, 1.0, v1, vcc
	v_cmp_eq_u32_e32 vcc, 0, v8
	v_mul_f32_e32 v0, v0, v1
	s_and_saveexec_b64 s[12:13], vcc
	s_cbranch_execz .LBB28_24
; %bb.19:
	s_load_dwordx2 s[4:5], s[4:5], 0x10
	s_ashr_i32 s0, s2, 31
	v_or_b32_e32 v3, s0, v10
	v_mov_b32_e32 v2, 0
	v_cmp_ne_u64_e32 vcc, 0, v[2:3]
                                        ; implicit-def: $vgpr2_vgpr3
	s_and_saveexec_b64 s[14:15], vcc
	s_xor_b64 s[14:15], exec, s[14:15]
	s_cbranch_execz .LBB28_21
; %bb.20:
	s_add_u32 s18, s2, s0
	s_mov_b32 s16, s0
	s_mov_b32 s17, s0
	s_addc_u32 s19, s0, s0
	s_xor_b64 s[18:19], s[18:19], s[16:17]
	v_cvt_f32_u32_e32 v1, s18
	v_cvt_f32_u32_e32 v2, s19
	s_sub_u32 s0, 0, s18
	s_subb_u32 s1, 0, s19
	v_madmk_f32 v1, v2, 0x4f800000, v1
	v_rcp_f32_e32 v1, v1
	v_mul_f32_e32 v1, 0x5f7ffffc, v1
	v_mul_f32_e32 v2, 0x2f800000, v1
	v_trunc_f32_e32 v2, v2
	v_madmk_f32 v1, v2, 0xcf800000, v1
	v_cvt_u32_f32_e32 v2, v2
	v_cvt_u32_f32_e32 v1, v1
	v_mul_lo_u32 v3, s0, v2
	v_mul_hi_u32 v5, s0, v1
	v_mul_lo_u32 v4, s1, v1
	v_add_u32_e32 v3, v5, v3
	v_mul_lo_u32 v11, s0, v1
	v_add_u32_e32 v3, v3, v4
	v_mul_lo_u32 v5, v1, v3
	v_mul_hi_u32 v14, v1, v11
	v_mul_hi_u32 v4, v1, v3
	v_add_co_u32_e32 v5, vcc, v14, v5
	v_addc_co_u32_e32 v4, vcc, 0, v4, vcc
	v_mul_hi_u32 v15, v2, v11
	v_mul_lo_u32 v11, v2, v11
	v_add_co_u32_e32 v5, vcc, v5, v11
	v_mul_hi_u32 v14, v2, v3
	v_addc_co_u32_e32 v4, vcc, v4, v15, vcc
	v_addc_co_u32_e32 v5, vcc, 0, v14, vcc
	v_mul_lo_u32 v3, v2, v3
	v_add_co_u32_e32 v3, vcc, v4, v3
	v_addc_co_u32_e32 v4, vcc, 0, v5, vcc
	v_add_co_u32_e32 v1, vcc, v1, v3
	v_addc_co_u32_e32 v2, vcc, v2, v4, vcc
	v_mul_lo_u32 v3, s0, v2
	v_mul_hi_u32 v4, s0, v1
	v_add_u32_e32 v3, v4, v3
	v_mul_lo_u32 v4, s1, v1
	v_add_u32_e32 v3, v3, v4
	v_mul_lo_u32 v5, s0, v1
	v_mul_hi_u32 v11, v2, v5
	v_mul_lo_u32 v14, v2, v5
	v_mul_lo_u32 v16, v1, v3
	v_mul_hi_u32 v5, v1, v5
	v_mul_hi_u32 v15, v1, v3
	v_add_co_u32_e32 v5, vcc, v5, v16
	v_addc_co_u32_e32 v15, vcc, 0, v15, vcc
	v_add_co_u32_e32 v5, vcc, v5, v14
	v_mul_hi_u32 v4, v2, v3
	v_addc_co_u32_e32 v5, vcc, v15, v11, vcc
	v_addc_co_u32_e32 v4, vcc, 0, v4, vcc
	v_mul_lo_u32 v3, v2, v3
	v_add_co_u32_e32 v3, vcc, v5, v3
	v_addc_co_u32_e32 v4, vcc, 0, v4, vcc
	v_add_co_u32_e32 v1, vcc, v1, v3
	v_addc_co_u32_e32 v4, vcc, v2, v4, vcc
	v_mad_u64_u32 v[2:3], s[0:1], v7, v4, 0
	v_mul_hi_u32 v5, v7, v1
	v_add_co_u32_e32 v11, vcc, v5, v2
	v_addc_co_u32_e32 v14, vcc, 0, v3, vcc
	v_mad_u64_u32 v[2:3], s[0:1], v10, v4, 0
	v_mad_u64_u32 v[4:5], s[0:1], v10, v1, 0
	v_add_co_u32_e32 v1, vcc, v11, v4
	v_addc_co_u32_e32 v1, vcc, v14, v5, vcc
	v_addc_co_u32_e32 v3, vcc, 0, v3, vcc
	v_add_co_u32_e32 v1, vcc, v1, v2
	v_addc_co_u32_e32 v2, vcc, 0, v3, vcc
	v_mul_lo_u32 v4, s19, v1
	v_mul_lo_u32 v5, s18, v2
	v_mad_u64_u32 v[2:3], s[0:1], s18, v1, 0
	v_add3_u32 v3, v3, v5, v4
	v_sub_u32_e32 v4, v10, v3
	v_mov_b32_e32 v5, s19
	v_sub_co_u32_e32 v2, vcc, v7, v2
	v_subb_co_u32_e64 v4, s[0:1], v4, v5, vcc
	v_subrev_co_u32_e64 v5, s[0:1], s18, v2
	v_subbrev_co_u32_e64 v4, s[0:1], 0, v4, s[0:1]
	v_cmp_le_u32_e64 s[0:1], s19, v4
	v_subb_co_u32_e32 v3, vcc, v10, v3, vcc
	v_cndmask_b32_e64 v11, 0, -1, s[0:1]
	v_cmp_le_u32_e64 s[0:1], s18, v5
	v_cmp_le_u32_e32 vcc, s19, v3
	v_cndmask_b32_e64 v5, 0, -1, s[0:1]
	v_cmp_eq_u32_e64 s[0:1], s19, v4
	v_cndmask_b32_e64 v10, 0, -1, vcc
	v_cmp_le_u32_e32 vcc, s18, v2
	v_cndmask_b32_e64 v4, v11, v5, s[0:1]
	v_cndmask_b32_e64 v2, 0, -1, vcc
	v_cmp_eq_u32_e32 vcc, s19, v3
	v_add_co_u32_e64 v5, s[0:1], 2, v1
	v_add_co_u32_e64 v11, s[0:1], 1, v1
	v_cndmask_b32_e32 v2, v10, v2, vcc
	v_cmp_ne_u32_e32 vcc, 0, v4
	v_cndmask_b32_e32 v3, v11, v5, vcc
	v_cmp_ne_u32_e32 vcc, 0, v2
	v_cndmask_b32_e32 v1, v1, v3, vcc
	v_xor_b32_e32 v1, s16, v1
	v_subrev_co_u32_e32 v2, vcc, s16, v1
.LBB28_21:
	s_andn2_saveexec_b64 s[0:1], s[14:15]
	s_cbranch_execz .LBB28_23
; %bb.22:
	v_cvt_f32_u32_e32 v1, s2
	s_sub_i32 s14, 0, s2
	v_rcp_iflag_f32_e32 v1, v1
	v_mul_f32_e32 v1, 0x4f7ffffe, v1
	v_cvt_u32_f32_e32 v1, v1
	v_mul_lo_u32 v2, s14, v1
	v_mul_hi_u32 v2, v1, v2
	v_add_u32_e32 v1, v1, v2
	v_mul_hi_u32 v1, v7, v1
	v_mul_lo_u32 v2, v1, s2
	v_sub_u32_e32 v2, v7, v2
	v_add_u32_e32 v3, 1, v1
	v_subrev_u32_e32 v4, s2, v2
	v_cmp_le_u32_e32 vcc, s2, v2
	v_cndmask_b32_e32 v2, v2, v4, vcc
	v_cndmask_b32_e32 v1, v1, v3, vcc
	v_add_u32_e32 v3, 1, v1
	v_cmp_le_u32_e32 vcc, s2, v2
	v_cndmask_b32_e32 v2, v1, v3, vcc
.LBB28_23:
	s_or_b64 exec, exec, s[0:1]
	v_mul_lo_u32 v1, v2, s2
	v_sub_u32_e32 v1, v7, v1
	v_mad_u64_u32 v[2:3], s[0:1], v1, s3, v[2:3]
	v_ashrrev_i32_e32 v3, 31, v2
	v_lshlrev_b64 v[2:3], 2, v[2:3]
	s_waitcnt lgkmcnt(0)
	v_mov_b32_e32 v1, s5
	v_add_co_u32_e32 v2, vcc, s4, v2
	v_addc_co_u32_e32 v3, vcc, v1, v3, vcc
	global_store_dword v[2:3], v0, off
.LBB28_24:
	s_or_b64 exec, exec, s[12:13]
	v_and_b32_e32 v2, 15, v6
	v_mov_b32_e32 v3, 0
	v_cmp_ne_u64_e32 vcc, 0, v[2:3]
	s_xor_b64 s[0:1], s[6:7], -1
	s_or_b64 s[0:1], s[0:1], vcc
	s_barrier
	s_and_saveexec_b64 s[2:3], s[0:1]
	s_xor_b64 s[12:13], exec, s[2:3]
	s_cbranch_execz .LBB28_101
; %bb.25:
	v_mov_b32_e32 v2, s9
	v_add_co_u32_e32 v1, vcc, s8, v12
	v_addc_co_u32_e32 v10, vcc, v2, v13, vcc
	v_sub_u32_e32 v2, 0, v6
	v_bfe_u32 v2, v2, 1, 3
	v_min_i32_e32 v21, s21, v2
	v_cmp_gt_i32_e32 vcc, v21, v8
	s_and_saveexec_b64 s[0:1], vcc
	s_cbranch_execz .LBB28_33
; %bb.26:
	v_lshl_add_u32 v2, v8, 1, v6
	ds_read_u16 v2, v2
	v_max_f32_e64 v3, s10, s10
	v_max_f32_e64 v4, s11, s11
	s_waitcnt lgkmcnt(0)
	v_lshlrev_b32_e32 v2, 16, v2
	v_div_scale_f32 v5, s[2:3], v0, v0, v2
	v_rcp_f32_e32 v6, v5
	v_div_scale_f32 v7, vcc, v2, v0, v2
	s_mov_b32 s2, 0x43f00000
	v_fma_f32 v11, -v5, v6, 1.0
	v_fmac_f32_e32 v6, v11, v6
	v_mul_f32_e32 v11, v7, v6
	v_fma_f32 v14, -v5, v11, v7
	v_fmac_f32_e32 v11, v14, v6
	v_fma_f32 v5, -v5, v11, v7
	v_div_fmas_f32 v5, v5, v6, v11
	v_div_fixup_f32 v2, v5, v0, v2
	v_max_f32_e32 v2, v2, v3
	v_min_f32_e32 v2, v2, v4
	v_and_b32_e32 v4, 0x7fffffff, v2
	v_cmp_gt_u32_e32 vcc, s2, v4
	v_mov_b32_e32 v3, 0x7f
	s_and_saveexec_b64 s[2:3], vcc
	s_cbranch_execz .LBB28_32
; %bb.27:
	s_mov_b32 s4, 0x3c7fffff
	v_cmp_lt_u32_e32 vcc, s4, v4
                                        ; implicit-def: $vgpr3
	s_and_saveexec_b64 s[4:5], vcc
	s_xor_b64 s[4:5], exec, s[4:5]
; %bb.28:
	v_bfe_u32 v3, v2, 20, 1
	s_mov_b32 s6, 0x407ffff
	v_add3_u32 v3, v2, v3, s6
	v_lshrrev_b32_e32 v3, 20, v3
; %bb.29:
	s_andn2_saveexec_b64 s[4:5], s[4:5]
; %bb.30:
	s_mov_b32 s6, 0x46800000
	v_add_f32_e64 v3, |v2|, s6
; %bb.31:
	s_or_b64 exec, exec, s[4:5]
.LBB28_32:
	s_or_b64 exec, exec, s[2:3]
	v_add_co_u32_e32 v4, vcc, v1, v8
	v_lshrrev_b32_e32 v2, 24, v2
	s_movk_i32 s2, 0x80
	v_addc_co_u32_e32 v5, vcc, 0, v10, vcc
	v_and_or_b32 v2, v2, s2, v3
	global_store_byte v[4:5], v2, off
.LBB28_33:
	s_or_b64 exec, exec, s[0:1]
	v_sub_u32_e32 v20, s21, v21
	v_ashrrev_i32_e32 v2, 31, v20
	v_lshrrev_b32_e32 v2, 29, v2
	v_add_u32_e32 v2, v20, v2
	v_ashrrev_i32_e32 v11, 3, v2
	v_ashrrev_i32_e32 v22, 31, v21
	v_cmp_gt_i32_e32 vcc, v11, v8
	v_lshlrev_b32_e32 v23, 1, v21
	s_and_saveexec_b64 s[2:3], vcc
	s_cbranch_execz .LBB28_84
; %bb.34:
	v_lshlrev_b32_e32 v2, 4, v8
	v_lshl_add_u32 v2, v9, 1, v2
	v_lshlrev_b32_e32 v3, 1, v21
	v_add3_u32 v14, v2, v3, 0
	v_add_co_u32_e32 v2, vcc, v21, v12
	v_addc_co_u32_e32 v3, vcc, v22, v13, vcc
	v_lshlrev_b32_e32 v4, 3, v8
	v_add_co_u32_e32 v2, vcc, v2, v4
	v_addc_co_u32_e32 v3, vcc, 0, v3, vcc
	v_mov_b32_e32 v4, s9
	v_add_co_u32_e32 v6, vcc, s8, v2
	v_addc_co_u32_e32 v7, vcc, v4, v3, vcc
	s_mov_b64 s[4:5], 0
	v_max_f32_e64 v15, s10, s10
	v_max_f32_e64 v16, s11, s11
	s_mov_b32 s14, 0x43f00000
	s_mov_b32 s15, 0x3c7fffff
	;; [unrolled: 1-line block ×4, first 2 shown]
	s_movk_i32 s18, 0x80
	s_movk_i32 s19, 0xff
	v_mov_b32_e32 v17, v8
	s_branch .LBB28_37
.LBB28_35:                              ;   in Loop: Header=BB28_37 Depth=1
	s_or_b64 exec, exec, s[6:7]
.LBB28_36:                              ;   in Loop: Header=BB28_37 Depth=1
	s_or_b64 exec, exec, s[0:1]
	v_and_b32_sdwa v31, v31, s18 dst_sel:DWORD dst_unused:UNUSED_PAD src0_sel:BYTE_3 src1_sel:DWORD
	v_lshrrev_b32_e32 v5, 24, v5
	v_and_b32_sdwa v4, v4, s18 dst_sel:DWORD dst_unused:UNUSED_PAD src0_sel:BYTE_3 src1_sel:DWORD
	v_and_or_b32 v5, v5, s18, v33
	v_and_or_b32 v31, v32, s19, v31
	v_and_b32_sdwa v30, v30, s18 dst_sel:DWORD dst_unused:UNUSED_PAD src0_sel:BYTE_3 src1_sel:DWORD
	v_and_b32_sdwa v27, v27, s18 dst_sel:DWORD dst_unused:UNUSED_PAD src0_sel:BYTE_3 src1_sel:DWORD
	v_lshlrev_b32_e32 v5, 24, v5
	v_lshlrev_b32_e32 v31, 16, v31
	v_and_or_b32 v4, v29, s19, v4
	v_and_b32_sdwa v2, v2, s18 dst_sel:DWORD dst_unused:UNUSED_PAD src0_sel:BYTE_3 src1_sel:DWORD
	v_or_b32_e32 v5, v5, v31
	v_lshlrev_b32_e32 v4, 8, v4
	v_and_or_b32 v28, v28, s19, v30
	v_and_or_b32 v25, v25, s19, v27
	v_and_b32_sdwa v24, v24, s18 dst_sel:DWORD dst_unused:UNUSED_PAD src0_sel:BYTE_3 src1_sel:DWORD
	v_or3_b32 v5, v5, v4, v28
	v_lshlrev_b32_e32 v4, 24, v26
	v_and_b32_e32 v3, 0x80000000, v3
	v_lshlrev_b32_e32 v25, 16, v25
	v_and_or_b32 v2, v18, s19, v2
	v_lshlrev_b32_e32 v2, 8, v2
	v_or3_b32 v3, v4, v3, v25
	v_and_or_b32 v4, v19, s19, v24
	v_or3_b32 v4, v3, v2, v4
	v_add_u32_e32 v17, 16, v17
	global_store_dwordx2 v[6:7], v[4:5], off
	v_add_co_u32_e32 v6, vcc, 0x80, v6
	v_cmp_ge_i32_e64 s[0:1], v17, v11
	v_add_u32_e32 v14, 0x100, v14
	s_or_b64 s[4:5], s[0:1], s[4:5]
	v_addc_co_u32_e32 v7, vcc, 0, v7, vcc
	s_andn2_b64 exec, exec, s[4:5]
	s_cbranch_execz .LBB28_84
.LBB28_37:                              ; =>This Inner Loop Header: Depth=1
	ds_read_b128 v[2:5], v14
	v_mov_b32_e32 v18, 0x7f
	s_waitcnt lgkmcnt(0)
	v_lshlrev_b32_e32 v19, 16, v2
	v_div_scale_f32 v24, s[0:1], v0, v0, v19
	v_rcp_f32_e32 v25, v24
	v_div_scale_f32 v26, vcc, v19, v0, v19
	v_fma_f32 v27, -v24, v25, 1.0
	v_fmac_f32_e32 v25, v27, v25
	v_mul_f32_e32 v27, v26, v25
	v_fma_f32 v28, -v24, v27, v26
	v_fmac_f32_e32 v27, v28, v25
	v_fma_f32 v24, -v24, v27, v26
	v_div_fmas_f32 v24, v24, v25, v27
	v_div_fixup_f32 v19, v24, v0, v19
	v_max_f32_e32 v19, v19, v15
	v_min_f32_e32 v24, v19, v16
	v_and_b32_e32 v25, 0x7fffffff, v24
	v_cmp_gt_u32_e32 vcc, s14, v25
	v_mov_b32_e32 v19, 0x7f
	s_and_saveexec_b64 s[0:1], vcc
	s_cbranch_execz .LBB28_43
; %bb.38:                               ;   in Loop: Header=BB28_37 Depth=1
	v_cmp_lt_u32_e32 vcc, s15, v25
                                        ; implicit-def: $vgpr19
	s_and_saveexec_b64 s[6:7], vcc
	s_xor_b64 s[6:7], exec, s[6:7]
; %bb.39:                               ;   in Loop: Header=BB28_37 Depth=1
	v_bfe_u32 v19, v24, 20, 1
	v_add3_u32 v19, v24, v19, s16
	v_lshrrev_b32_e32 v19, 20, v19
; %bb.40:                               ;   in Loop: Header=BB28_37 Depth=1
	s_andn2_saveexec_b64 s[6:7], s[6:7]
; %bb.41:                               ;   in Loop: Header=BB28_37 Depth=1
	v_add_f32_e64 v19, |v24|, s17
; %bb.42:                               ;   in Loop: Header=BB28_37 Depth=1
	s_or_b64 exec, exec, s[6:7]
.LBB28_43:                              ;   in Loop: Header=BB28_37 Depth=1
	s_or_b64 exec, exec, s[0:1]
	v_and_b32_e32 v2, 0xffff0000, v2
	v_div_scale_f32 v25, s[0:1], v0, v0, v2
	v_rcp_f32_e32 v26, v25
	v_div_scale_f32 v27, vcc, v2, v0, v2
	v_fma_f32 v28, -v25, v26, 1.0
	v_fmac_f32_e32 v26, v28, v26
	v_mul_f32_e32 v28, v27, v26
	v_fma_f32 v29, -v25, v28, v27
	v_fmac_f32_e32 v28, v29, v26
	v_fma_f32 v25, -v25, v28, v27
	v_div_fmas_f32 v25, v25, v26, v28
	v_div_fixup_f32 v2, v25, v0, v2
	v_max_f32_e32 v2, v2, v15
	v_min_f32_e32 v2, v2, v16
	v_and_b32_e32 v25, 0x7fffffff, v2
	v_cmp_gt_u32_e32 vcc, s14, v25
	s_and_saveexec_b64 s[0:1], vcc
	s_cbranch_execz .LBB28_49
; %bb.44:                               ;   in Loop: Header=BB28_37 Depth=1
	v_cmp_lt_u32_e32 vcc, s15, v25
                                        ; implicit-def: $vgpr18
	s_and_saveexec_b64 s[6:7], vcc
	s_xor_b64 s[6:7], exec, s[6:7]
; %bb.45:                               ;   in Loop: Header=BB28_37 Depth=1
	v_bfe_u32 v18, v2, 20, 1
	v_add3_u32 v18, v2, v18, s16
	v_lshrrev_b32_e32 v18, 20, v18
; %bb.46:                               ;   in Loop: Header=BB28_37 Depth=1
	s_andn2_saveexec_b64 s[6:7], s[6:7]
; %bb.47:                               ;   in Loop: Header=BB28_37 Depth=1
	v_add_f32_e64 v18, |v2|, s17
; %bb.48:                               ;   in Loop: Header=BB28_37 Depth=1
	s_or_b64 exec, exec, s[6:7]
.LBB28_49:                              ;   in Loop: Header=BB28_37 Depth=1
	s_or_b64 exec, exec, s[0:1]
	v_lshlrev_b32_e32 v25, 16, v3
	v_div_scale_f32 v26, s[0:1], v0, v0, v25
	v_rcp_f32_e32 v27, v26
	v_div_scale_f32 v28, vcc, v25, v0, v25
	v_fma_f32 v29, -v26, v27, 1.0
	v_fmac_f32_e32 v27, v29, v27
	v_mul_f32_e32 v29, v28, v27
	v_fma_f32 v30, -v26, v29, v28
	v_fmac_f32_e32 v29, v30, v27
	v_fma_f32 v26, -v26, v29, v28
	v_div_fmas_f32 v26, v26, v27, v29
	v_div_fixup_f32 v25, v26, v0, v25
	v_max_f32_e32 v25, v25, v15
	v_min_f32_e32 v27, v25, v16
	v_and_b32_e32 v28, 0x7fffffff, v27
	v_cmp_gt_u32_e32 vcc, s14, v28
	v_mov_b32_e32 v26, 0x7f
	v_mov_b32_e32 v25, 0x7f
	s_and_saveexec_b64 s[0:1], vcc
	s_cbranch_execz .LBB28_55
; %bb.50:                               ;   in Loop: Header=BB28_37 Depth=1
	v_cmp_lt_u32_e32 vcc, s15, v28
                                        ; implicit-def: $vgpr25
	s_and_saveexec_b64 s[6:7], vcc
	s_xor_b64 s[6:7], exec, s[6:7]
; %bb.51:                               ;   in Loop: Header=BB28_37 Depth=1
	v_bfe_u32 v25, v27, 20, 1
	v_add3_u32 v25, v27, v25, s16
	v_lshrrev_b32_e32 v25, 20, v25
; %bb.52:                               ;   in Loop: Header=BB28_37 Depth=1
	s_andn2_saveexec_b64 s[6:7], s[6:7]
; %bb.53:                               ;   in Loop: Header=BB28_37 Depth=1
	v_add_f32_e64 v25, |v27|, s17
; %bb.54:                               ;   in Loop: Header=BB28_37 Depth=1
	s_or_b64 exec, exec, s[6:7]
.LBB28_55:                              ;   in Loop: Header=BB28_37 Depth=1
	s_or_b64 exec, exec, s[0:1]
	v_and_b32_e32 v3, 0xffff0000, v3
	v_div_scale_f32 v28, s[0:1], v0, v0, v3
	v_rcp_f32_e32 v29, v28
	v_div_scale_f32 v30, vcc, v3, v0, v3
	v_fma_f32 v31, -v28, v29, 1.0
	v_fmac_f32_e32 v29, v31, v29
	v_mul_f32_e32 v31, v30, v29
	v_fma_f32 v32, -v28, v31, v30
	v_fmac_f32_e32 v31, v32, v29
	v_fma_f32 v28, -v28, v31, v30
	v_div_fmas_f32 v28, v28, v29, v31
	v_div_fixup_f32 v3, v28, v0, v3
	v_max_f32_e32 v3, v3, v15
	v_min_f32_e32 v3, v3, v16
	v_and_b32_e32 v28, 0x7fffffff, v3
	v_cmp_gt_u32_e32 vcc, s14, v28
	s_and_saveexec_b64 s[0:1], vcc
	s_cbranch_execz .LBB28_61
; %bb.56:                               ;   in Loop: Header=BB28_37 Depth=1
	v_cmp_lt_u32_e32 vcc, s15, v28
                                        ; implicit-def: $vgpr26
	s_and_saveexec_b64 s[6:7], vcc
	s_xor_b64 s[6:7], exec, s[6:7]
; %bb.57:                               ;   in Loop: Header=BB28_37 Depth=1
	v_bfe_u32 v26, v3, 20, 1
	v_add3_u32 v26, v3, v26, s16
	v_lshrrev_b32_e32 v26, 20, v26
; %bb.58:                               ;   in Loop: Header=BB28_37 Depth=1
	s_andn2_saveexec_b64 s[6:7], s[6:7]
; %bb.59:                               ;   in Loop: Header=BB28_37 Depth=1
	v_add_f32_e64 v26, |v3|, s17
; %bb.60:                               ;   in Loop: Header=BB28_37 Depth=1
	s_or_b64 exec, exec, s[6:7]
.LBB28_61:                              ;   in Loop: Header=BB28_37 Depth=1
	s_or_b64 exec, exec, s[0:1]
	v_lshlrev_b32_e32 v28, 16, v4
	v_div_scale_f32 v29, s[0:1], v0, v0, v28
	v_rcp_f32_e32 v30, v29
	v_div_scale_f32 v31, vcc, v28, v0, v28
	v_fma_f32 v32, -v29, v30, 1.0
	v_fmac_f32_e32 v30, v32, v30
	v_mul_f32_e32 v32, v31, v30
	v_fma_f32 v33, -v29, v32, v31
	v_fmac_f32_e32 v32, v33, v30
	v_fma_f32 v29, -v29, v32, v31
	v_div_fmas_f32 v29, v29, v30, v32
	v_div_fixup_f32 v28, v29, v0, v28
	v_max_f32_e32 v28, v28, v15
	v_min_f32_e32 v30, v28, v16
	v_and_b32_e32 v31, 0x7fffffff, v30
	v_cmp_gt_u32_e32 vcc, s14, v31
	v_mov_b32_e32 v29, 0x7f
	v_mov_b32_e32 v28, 0x7f
	s_and_saveexec_b64 s[0:1], vcc
	s_cbranch_execz .LBB28_67
; %bb.62:                               ;   in Loop: Header=BB28_37 Depth=1
	v_cmp_lt_u32_e32 vcc, s15, v31
                                        ; implicit-def: $vgpr28
	s_and_saveexec_b64 s[6:7], vcc
	s_xor_b64 s[6:7], exec, s[6:7]
; %bb.63:                               ;   in Loop: Header=BB28_37 Depth=1
	v_bfe_u32 v28, v30, 20, 1
	v_add3_u32 v28, v30, v28, s16
	v_lshrrev_b32_e32 v28, 20, v28
; %bb.64:                               ;   in Loop: Header=BB28_37 Depth=1
	s_andn2_saveexec_b64 s[6:7], s[6:7]
; %bb.65:                               ;   in Loop: Header=BB28_37 Depth=1
	v_add_f32_e64 v28, |v30|, s17
; %bb.66:                               ;   in Loop: Header=BB28_37 Depth=1
	s_or_b64 exec, exec, s[6:7]
.LBB28_67:                              ;   in Loop: Header=BB28_37 Depth=1
	s_or_b64 exec, exec, s[0:1]
	v_and_b32_e32 v4, 0xffff0000, v4
	v_div_scale_f32 v31, s[0:1], v0, v0, v4
	v_rcp_f32_e32 v32, v31
	v_div_scale_f32 v33, vcc, v4, v0, v4
	v_fma_f32 v34, -v31, v32, 1.0
	v_fmac_f32_e32 v32, v34, v32
	v_mul_f32_e32 v34, v33, v32
	v_fma_f32 v35, -v31, v34, v33
	v_fmac_f32_e32 v34, v35, v32
	v_fma_f32 v31, -v31, v34, v33
	v_div_fmas_f32 v31, v31, v32, v34
	v_div_fixup_f32 v4, v31, v0, v4
	v_max_f32_e32 v4, v4, v15
	v_min_f32_e32 v4, v4, v16
	v_and_b32_e32 v31, 0x7fffffff, v4
	v_cmp_gt_u32_e32 vcc, s14, v31
	s_and_saveexec_b64 s[0:1], vcc
	s_cbranch_execz .LBB28_73
; %bb.68:                               ;   in Loop: Header=BB28_37 Depth=1
	v_cmp_lt_u32_e32 vcc, s15, v31
                                        ; implicit-def: $vgpr29
	s_and_saveexec_b64 s[6:7], vcc
	s_xor_b64 s[6:7], exec, s[6:7]
; %bb.69:                               ;   in Loop: Header=BB28_37 Depth=1
	v_bfe_u32 v29, v4, 20, 1
	v_add3_u32 v29, v4, v29, s16
	v_lshrrev_b32_e32 v29, 20, v29
; %bb.70:                               ;   in Loop: Header=BB28_37 Depth=1
	s_andn2_saveexec_b64 s[6:7], s[6:7]
; %bb.71:                               ;   in Loop: Header=BB28_37 Depth=1
	v_add_f32_e64 v29, |v4|, s17
; %bb.72:                               ;   in Loop: Header=BB28_37 Depth=1
	s_or_b64 exec, exec, s[6:7]
.LBB28_73:                              ;   in Loop: Header=BB28_37 Depth=1
	s_or_b64 exec, exec, s[0:1]
	v_lshlrev_b32_e32 v31, 16, v5
	v_div_scale_f32 v32, s[0:1], v0, v0, v31
	v_rcp_f32_e32 v33, v32
	v_div_scale_f32 v34, vcc, v31, v0, v31
	v_fma_f32 v35, -v32, v33, 1.0
	v_fmac_f32_e32 v33, v35, v33
	v_mul_f32_e32 v35, v34, v33
	v_fma_f32 v36, -v32, v35, v34
	v_fmac_f32_e32 v35, v36, v33
	v_fma_f32 v32, -v32, v35, v34
	v_div_fmas_f32 v32, v32, v33, v35
	v_div_fixup_f32 v31, v32, v0, v31
	v_max_f32_e32 v31, v31, v15
	v_min_f32_e32 v31, v31, v16
	v_and_b32_e32 v34, 0x7fffffff, v31
	v_cmp_gt_u32_e32 vcc, s14, v34
	v_mov_b32_e32 v33, 0x7f
	v_mov_b32_e32 v32, 0x7f
	s_and_saveexec_b64 s[0:1], vcc
	s_cbranch_execz .LBB28_79
; %bb.74:                               ;   in Loop: Header=BB28_37 Depth=1
	v_cmp_lt_u32_e32 vcc, s15, v34
                                        ; implicit-def: $vgpr32
	s_and_saveexec_b64 s[6:7], vcc
	s_xor_b64 s[6:7], exec, s[6:7]
; %bb.75:                               ;   in Loop: Header=BB28_37 Depth=1
	v_bfe_u32 v32, v31, 20, 1
	v_add3_u32 v32, v31, v32, s16
	v_lshrrev_b32_e32 v32, 20, v32
; %bb.76:                               ;   in Loop: Header=BB28_37 Depth=1
	s_andn2_saveexec_b64 s[6:7], s[6:7]
; %bb.77:                               ;   in Loop: Header=BB28_37 Depth=1
	v_add_f32_e64 v32, |v31|, s17
; %bb.78:                               ;   in Loop: Header=BB28_37 Depth=1
	s_or_b64 exec, exec, s[6:7]
.LBB28_79:                              ;   in Loop: Header=BB28_37 Depth=1
	s_or_b64 exec, exec, s[0:1]
	v_and_b32_e32 v5, 0xffff0000, v5
	v_div_scale_f32 v34, s[0:1], v0, v0, v5
	v_rcp_f32_e32 v35, v34
	v_div_scale_f32 v36, vcc, v5, v0, v5
	v_fma_f32 v37, -v34, v35, 1.0
	v_fmac_f32_e32 v35, v37, v35
	v_mul_f32_e32 v37, v36, v35
	v_fma_f32 v38, -v34, v37, v36
	v_fmac_f32_e32 v37, v38, v35
	v_fma_f32 v34, -v34, v37, v36
	v_div_fmas_f32 v34, v34, v35, v37
	v_div_fixup_f32 v5, v34, v0, v5
	v_max_f32_e32 v5, v5, v15
	v_min_f32_e32 v5, v5, v16
	v_and_b32_e32 v34, 0x7fffffff, v5
	v_cmp_gt_u32_e32 vcc, s14, v34
	s_and_saveexec_b64 s[0:1], vcc
	s_cbranch_execz .LBB28_36
; %bb.80:                               ;   in Loop: Header=BB28_37 Depth=1
	v_cmp_lt_u32_e32 vcc, s15, v34
                                        ; implicit-def: $vgpr33
	s_and_saveexec_b64 s[6:7], vcc
	s_xor_b64 s[6:7], exec, s[6:7]
; %bb.81:                               ;   in Loop: Header=BB28_37 Depth=1
	v_bfe_u32 v33, v5, 20, 1
	v_add3_u32 v33, v5, v33, s16
	v_lshrrev_b32_e32 v33, 20, v33
; %bb.82:                               ;   in Loop: Header=BB28_37 Depth=1
	s_andn2_saveexec_b64 s[6:7], s[6:7]
	s_cbranch_execz .LBB28_35
; %bb.83:                               ;   in Loop: Header=BB28_37 Depth=1
	v_add_f32_e64 v33, |v5|, s17
	s_branch .LBB28_35
.LBB28_84:
	s_or_b64 exec, exec, s[2:3]
	v_lshlrev_b32_e32 v4, 3, v11
	v_add_u32_e32 v2, v4, v8
	v_cmp_lt_i32_e32 vcc, v2, v20
	s_and_saveexec_b64 s[14:15], vcc
	s_cbranch_execz .LBB28_100
; %bb.85:
	v_add_u32_e32 v3, 16, v2
	v_max_i32_e32 v5, v3, v20
	v_xad_u32 v5, v8, -1, v5
	v_sub_u32_e32 v4, v5, v4
	v_cmp_lt_u32_e32 vcc, 47, v4
	s_mov_b64 s[0:1], 0
                                        ; implicit-def: $vgpr24
	s_and_saveexec_b64 s[2:3], vcc
	s_xor_b64 s[16:17], exec, s[2:3]
	s_cbranch_execnz .LBB28_88
; %bb.86:
	s_andn2_saveexec_b64 s[2:3], s[16:17]
	s_cbranch_execnz .LBB28_91
.LBB28_87:
	s_or_b64 exec, exec, s[2:3]
	s_and_b64 exec, exec, s[0:1]
	s_cbranch_execnz .LBB28_92
	s_branch .LBB28_100
.LBB28_88:
	v_lshrrev_b32_e32 v4, 4, v4
	v_lshlrev_b32_e32 v24, 1, v9
	v_lshlrev_b32_e32 v9, 4, v11
	;; [unrolled: 1-line block ×3, first 2 shown]
	v_add_u32_e32 v25, 1, v4
	v_add_co_u32_e32 v27, vcc, v1, v21
	v_add_u32_e32 v5, 48, v2
	v_add_u32_e32 v4, 32, v2
	v_add3_u32 v9, v24, v9, v23
	v_lshlrev_b32_e32 v8, 1, v8
	v_addc_co_u32_e32 v28, vcc, v10, v22, vcc
	v_and_b32_e32 v26, 0x1ffffffc, v25
	s_mov_b32 s0, s10
	s_mov_b32 s1, s10
	;; [unrolled: 1-line block ×8, first 2 shown]
	v_add3_u32 v29, v9, v8, 0
	v_pk_mov_b32 v[10:11], v[4:5], v[4:5] op_sel:[0,1]
	v_mov_b32_e32 v1, v0
	v_mov_b32_e32 v6, v0
	;; [unrolled: 1-line block ×3, first 2 shown]
	s_mov_b64 s[18:19], 0
	v_max_f32_e64 v30, s3, s3
	v_max_f32_e64 v31, s2, s2
	;; [unrolled: 1-line block ×8, first 2 shown]
	s_mov_b32 s22, 0x43f00000
	s_mov_b32 s23, 0x7700000
	;; [unrolled: 1-line block ×4, first 2 shown]
	v_mov_b32_e32 v38, 0x7f
	s_movk_i32 s25, 0x80
	v_mov_b32_e32 v39, v26
	v_pk_mov_b32 v[8:9], v[2:3], v[2:3] op_sel:[0,1]
.LBB28_89:                              ; =>This Inner Loop Header: Depth=1
	ds_read_u16 v40, v29
	ds_read_u16 v41, v29 offset:32
	ds_read_u16 v42, v29 offset:64
	;; [unrolled: 1-line block ×3, first 2 shown]
	v_ashrrev_i32_e32 v3, 31, v11
	v_ashrrev_i32_e32 v15, 31, v10
	;; [unrolled: 1-line block ×4, first 2 shown]
	v_add_co_u32_e32 v4, vcc, v27, v9
	v_add_co_u32_e64 v14, s[0:1], v27, v10
	v_add_co_u32_e64 v16, s[2:3], v27, v11
	;; [unrolled: 1-line block ×3, first 2 shown]
	s_waitcnt lgkmcnt(3)
	v_lshlrev_b32_e32 v40, 16, v40
	v_addc_co_u32_e64 v19, s[4:5], v28, v17, s[4:5]
	v_addc_co_u32_e32 v5, vcc, v28, v5, vcc
	v_addc_co_u32_e64 v15, vcc, v28, v15, s[0:1]
	v_addc_co_u32_e64 v17, vcc, v28, v3, s[2:3]
	s_waitcnt lgkmcnt(0)
	v_lshlrev_b32_e32 v3, 16, v43
	v_lshlrev_b32_e32 v41, 16, v41
	v_div_scale_f32 v43, s[0:1], v0, v0, v40
	v_lshlrev_b32_e32 v42, 16, v42
	v_div_scale_f32 v45, s[0:1], v1, v1, v41
	v_rcp_f32_e32 v50, v43
	v_div_scale_f32 v47, s[2:3], v6, v6, v42
	v_div_scale_f32 v49, s[4:5], v7, v7, v3
	v_rcp_f32_e32 v51, v45
	v_rcp_f32_e32 v52, v47
	v_rcp_f32_e32 v53, v49
	v_fma_f32 v54, -v43, v50, 1.0
	v_div_scale_f32 v44, vcc, v40, v0, v40
	v_fma_f32 v55, -v45, v51, 1.0
	v_fmac_f32_e32 v50, v54, v50
	v_div_scale_f32 v46, s[0:1], v41, v1, v41
	v_fma_f32 v56, -v47, v52, 1.0
	v_fma_f32 v57, -v49, v53, 1.0
	v_fmac_f32_e32 v51, v55, v51
	v_mul_f32_e32 v54, v44, v50
	v_div_scale_f32 v48, s[2:3], v42, v6, v42
	v_fmac_f32_e32 v52, v56, v52
	v_fmac_f32_e32 v53, v57, v53
	v_mul_f32_e32 v55, v46, v51
	v_fma_f32 v57, -v43, v54, v44
	v_mul_f32_e32 v56, v48, v52
	v_fmac_f32_e32 v54, v57, v50
	v_fma_f32 v57, -v45, v55, v46
	v_fmac_f32_e32 v55, v57, v51
	v_fma_f32 v57, -v47, v56, v48
	v_fmac_f32_e32 v56, v57, v52
	v_div_scale_f32 v57, s[4:5], v3, v7, v3
	v_mul_f32_e32 v58, v57, v53
	v_fma_f32 v43, -v43, v54, v44
	v_fma_f32 v59, -v49, v58, v57
	;; [unrolled: 1-line block ×3, first 2 shown]
	v_div_fmas_f32 v43, v43, v50, v54
	s_mov_b64 vcc, s[0:1]
	v_fmac_f32_e32 v58, v59, v53
	v_fma_f32 v45, -v47, v56, v48
	v_div_fixup_f32 v40, v43, v0, v40
	v_div_fmas_f32 v43, v44, v51, v55
	s_mov_b64 vcc, s[2:3]
	v_fma_f32 v46, -v49, v58, v57
	v_div_fixup_f32 v41, v43, v1, v41
	v_div_fmas_f32 v43, v45, v52, v56
	v_max_f32_e32 v40, v40, v33
	s_mov_b64 vcc, s[4:5]
	v_div_fixup_f32 v42, v43, v6, v42
	v_div_fmas_f32 v43, v46, v53, v58
	v_max_f32_e32 v41, v41, v32
	v_min_f32_e32 v44, v40, v34
	v_div_fixup_f32 v3, v43, v7, v3
	v_max_f32_e32 v42, v42, v31
	v_min_f32_e32 v43, v41, v35
	v_and_b32_e32 v40, 0x7fffffff, v44
	v_bfe_u32 v45, v44, 20, 1
	v_lshrrev_b32_e32 v46, 24, v44
	v_max_f32_e32 v3, v3, v30
	v_min_f32_e32 v47, v42, v36
	v_and_b32_e32 v41, 0x7fffffff, v43
	v_add_u32_e32 v48, 0xc3800000, v40
	v_bfe_u32 v49, v43, 20, 1
	v_add3_u32 v44, v44, v45, s24
	v_min_f32_e32 v3, v3, v37
	v_and_b32_e32 v42, 0x7fffffff, v47
	v_add_u32_e32 v51, 0xc3800000, v41
	v_bfe_u32 v52, v47, 20, 1
	v_add3_u32 v49, v43, v49, s24
	v_lshrrev_b32_e32 v53, 20, v44
	v_pk_add_f32 v[44:45], v[40:41], s[20:21] op_sel_hi:[1,0]
	v_cmp_gt_u32_e32 vcc, s23, v48
	v_lshrrev_b32_e32 v50, 24, v43
	v_lshrrev_b32_e32 v54, 24, v47
	v_and_b32_e32 v43, 0x7fffffff, v3
	v_cndmask_b32_e32 v44, v44, v53, vcc
	v_cmp_gt_u32_e32 vcc, s22, v40
	v_add_u32_e32 v48, 0xc3800000, v42
	v_bfe_u32 v40, v3, 20, 1
	v_add3_u32 v47, v47, v52, s24
	v_lshrrev_b32_e32 v49, 20, v49
	v_cmp_gt_u32_e64 s[0:1], s23, v51
	v_lshrrev_b32_e32 v52, 24, v3
	v_cndmask_b32_e64 v45, v45, v49, s[0:1]
	v_cmp_gt_u32_e64 s[0:1], s22, v41
	v_add_u32_e32 v49, 0xc3800000, v43
	v_add3_u32 v3, v3, v40, s24
	v_lshrrev_b32_e32 v47, 20, v47
	v_pk_add_f32 v[40:41], v[42:43], s[20:21] op_sel_hi:[1,0]
	v_cndmask_b32_e32 v44, v38, v44, vcc
	v_cmp_gt_u32_e32 vcc, s23, v48
	v_cndmask_b32_e32 v40, v40, v47, vcc
	v_cmp_gt_u32_e32 vcc, s22, v42
	v_lshrrev_b32_e32 v3, 20, v3
	v_cndmask_b32_e64 v42, v38, v45, s[0:1]
	v_cmp_gt_u32_e64 s[0:1], s23, v49
	v_cndmask_b32_e64 v3, v41, v3, s[0:1]
	v_cndmask_b32_e32 v40, v38, v40, vcc
	v_cmp_gt_u32_e32 vcc, s22, v43
	v_cndmask_b32_e32 v3, v38, v3, vcc
	v_and_or_b32 v44, v46, s25, v44
	v_and_or_b32 v41, v50, s25, v42
	v_and_or_b32 v3, v52, s25, v3
	v_add_u32_e32 v39, -4, v39
	global_store_byte v[18:19], v44, off
	v_and_or_b32 v18, v54, s25, v40
	v_lshlrev_b16_e32 v19, 8, v41
	v_lshlrev_b16_e32 v3, 8, v3
	v_cmp_eq_u32_e64 s[6:7], 0, v39
	v_lshrrev_b32_e32 v19, 8, v19
	v_or_b32_sdwa v3, v18, v3 dst_sel:DWORD dst_unused:UNUSED_PAD src0_sel:BYTE_0 src1_sel:DWORD
	v_add_u32_e32 v11, 64, v11
	v_add_u32_e32 v10, 64, v10
	;; [unrolled: 1-line block ×5, first 2 shown]
	s_or_b64 s[18:19], s[6:7], s[18:19]
	global_store_byte v[4:5], v19, off
	global_store_byte v[14:15], v3, off
	v_lshrrev_b32_e32 v3, 8, v3
	global_store_byte v[16:17], v3, off
	s_andn2_b64 exec, exec, s[18:19]
	s_cbranch_execnz .LBB28_89
; %bb.90:
	s_or_b64 exec, exec, s[18:19]
	v_cmp_ne_u32_e32 vcc, v25, v26
	v_lshl_add_u32 v2, v26, 4, v2
	s_and_b64 s[0:1], vcc, exec
                                        ; implicit-def: $vgpr9
	s_andn2_saveexec_b64 s[2:3], s[16:17]
	s_cbranch_execz .LBB28_87
.LBB28_91:
	v_lshlrev_b32_e32 v24, 1, v9
	s_or_b64 s[0:1], s[0:1], exec
	s_or_b64 exec, exec, s[2:3]
	s_and_b64 exec, exec, s[0:1]
	s_cbranch_execz .LBB28_100
.LBB28_92:
	v_add_co_u32_e32 v3, vcc, v21, v12
	v_addc_co_u32_e32 v4, vcc, v22, v13, vcc
	v_ashrrev_i32_e32 v5, 31, v2
	v_add_co_u32_e32 v3, vcc, v3, v2
	v_addc_co_u32_e32 v5, vcc, v4, v5, vcc
	v_lshl_add_u32 v1, v2, 1, v24
	v_mov_b32_e32 v6, s9
	v_add_co_u32_e32 v4, vcc, s8, v3
	v_add3_u32 v1, v1, v23, 0
	v_addc_co_u32_e32 v5, vcc, v6, v5, vcc
	s_mov_b64 s[0:1], 0
	v_max_f32_e64 v3, s10, s10
	v_max_f32_e64 v6, s11, s11
	s_mov_b32 s6, 0x43f00000
	s_mov_b32 s7, 0x3c7fffff
	;; [unrolled: 1-line block ×4, first 2 shown]
	s_movk_i32 s18, 0x80
	s_branch .LBB28_95
.LBB28_93:                              ;   in Loop: Header=BB28_95 Depth=1
	s_or_b64 exec, exec, s[4:5]
.LBB28_94:                              ;   in Loop: Header=BB28_95 Depth=1
	s_or_b64 exec, exec, s[2:3]
	v_lshrrev_b32_e32 v7, 24, v7
	v_add_u32_e32 v2, 16, v2
	v_and_or_b32 v7, v7, s18, v8
	v_cmp_ge_i32_e32 vcc, v2, v20
	global_store_byte v[4:5], v7, off
	s_or_b64 s[0:1], vcc, s[0:1]
	v_add_co_u32_e32 v4, vcc, 16, v4
	v_add_u32_e32 v1, 32, v1
	v_addc_co_u32_e32 v5, vcc, 0, v5, vcc
	s_andn2_b64 exec, exec, s[0:1]
	s_cbranch_execz .LBB28_100
.LBB28_95:                              ; =>This Inner Loop Header: Depth=1
	ds_read_u16 v7, v1
	s_waitcnt lgkmcnt(0)
	v_lshlrev_b32_e32 v7, 16, v7
	v_div_scale_f32 v8, s[2:3], v0, v0, v7
	v_rcp_f32_e32 v9, v8
	v_div_scale_f32 v10, vcc, v7, v0, v7
	v_fma_f32 v11, -v8, v9, 1.0
	v_fmac_f32_e32 v9, v11, v9
	v_mul_f32_e32 v11, v10, v9
	v_fma_f32 v12, -v8, v11, v10
	v_fmac_f32_e32 v11, v12, v9
	v_fma_f32 v8, -v8, v11, v10
	v_div_fmas_f32 v8, v8, v9, v11
	v_div_fixup_f32 v7, v8, v0, v7
	v_max_f32_e32 v7, v7, v3
	v_min_f32_e32 v7, v7, v6
	v_and_b32_e32 v9, 0x7fffffff, v7
	v_cmp_gt_u32_e32 vcc, s6, v9
	v_mov_b32_e32 v8, 0x7f
	s_and_saveexec_b64 s[2:3], vcc
	s_cbranch_execz .LBB28_94
; %bb.96:                               ;   in Loop: Header=BB28_95 Depth=1
	v_cmp_lt_u32_e32 vcc, s7, v9
                                        ; implicit-def: $vgpr8
	s_and_saveexec_b64 s[4:5], vcc
	s_xor_b64 s[4:5], exec, s[4:5]
; %bb.97:                               ;   in Loop: Header=BB28_95 Depth=1
	v_bfe_u32 v8, v7, 20, 1
	v_add3_u32 v8, v7, v8, s16
	v_lshrrev_b32_e32 v8, 20, v8
; %bb.98:                               ;   in Loop: Header=BB28_95 Depth=1
	s_andn2_saveexec_b64 s[4:5], s[4:5]
	s_cbranch_execz .LBB28_93
; %bb.99:                               ;   in Loop: Header=BB28_95 Depth=1
	v_add_f32_e64 v8, |v7|, s17
	s_branch .LBB28_93
.LBB28_100:
	s_or_b64 exec, exec, s[14:15]
                                        ; implicit-def: $vgpr8
                                        ; implicit-def: $vgpr0
                                        ; implicit-def: $vgpr9
                                        ; implicit-def: $vgpr12_vgpr13
.LBB28_101:
	s_andn2_saveexec_b64 s[0:1], s[12:13]
	s_cbranch_execz .LBB28_153
; %bb.102:
	s_ashr_i32 s6, s21, 3
	v_cmp_gt_i32_e32 vcc, s6, v8
	s_and_saveexec_b64 s[0:1], vcc
	s_cbranch_execz .LBB28_153
; %bb.103:
	v_lshlrev_b32_e32 v1, 1, v9
	v_lshlrev_b32_e32 v2, 4, v8
	v_add3_u32 v1, v1, v2, 0
	v_lshlrev_b32_e32 v2, 3, v8
	v_add_co_u32_e32 v2, vcc, v12, v2
	v_addc_co_u32_e32 v3, vcc, 0, v13, vcc
	v_mov_b32_e32 v4, s9
	v_add_co_u32_e32 v6, vcc, s8, v2
	v_addc_co_u32_e32 v7, vcc, v4, v3, vcc
	s_mov_b64 s[2:3], 0
	v_max_f32_e64 v9, s10, s10
	v_max_f32_e64 v10, s11, s11
	s_mov_b32 s7, 0x43f00000
	s_mov_b32 s8, 0x3c7fffff
	s_mov_b32 s9, 0x407ffff
	s_mov_b32 s10, 0x46800000
	s_movk_i32 s11, 0x80
	s_movk_i32 s12, 0xff
	s_branch .LBB28_106
.LBB28_104:                             ;   in Loop: Header=BB28_106 Depth=1
	s_or_b64 exec, exec, s[4:5]
.LBB28_105:                             ;   in Loop: Header=BB28_106 Depth=1
	s_or_b64 exec, exec, s[0:1]
	v_and_b32_sdwa v20, v20, s11 dst_sel:DWORD dst_unused:UNUSED_PAD src0_sel:BYTE_3 src1_sel:DWORD
	v_lshrrev_b32_e32 v5, 24, v5
	v_and_b32_sdwa v4, v4, s11 dst_sel:DWORD dst_unused:UNUSED_PAD src0_sel:BYTE_3 src1_sel:DWORD
	v_and_or_b32 v5, v5, s11, v22
	v_and_or_b32 v20, v21, s12, v20
	v_and_b32_sdwa v19, v19, s11 dst_sel:DWORD dst_unused:UNUSED_PAD src0_sel:BYTE_3 src1_sel:DWORD
	v_and_b32_sdwa v16, v16, s11 dst_sel:DWORD dst_unused:UNUSED_PAD src0_sel:BYTE_3 src1_sel:DWORD
	v_lshlrev_b32_e32 v5, 24, v5
	v_lshlrev_b32_e32 v20, 16, v20
	v_and_or_b32 v4, v18, s12, v4
	v_and_b32_sdwa v2, v2, s11 dst_sel:DWORD dst_unused:UNUSED_PAD src0_sel:BYTE_3 src1_sel:DWORD
	v_or_b32_e32 v5, v5, v20
	v_lshlrev_b32_e32 v4, 8, v4
	v_and_or_b32 v17, v17, s12, v19
	v_and_or_b32 v14, v14, s12, v16
	v_and_b32_sdwa v13, v13, s11 dst_sel:DWORD dst_unused:UNUSED_PAD src0_sel:BYTE_3 src1_sel:DWORD
	v_or3_b32 v5, v5, v4, v17
	v_lshlrev_b32_e32 v4, 24, v15
	v_and_b32_e32 v3, 0x80000000, v3
	v_lshlrev_b32_e32 v14, 16, v14
	v_and_or_b32 v2, v11, s12, v2
	v_lshlrev_b32_e32 v2, 8, v2
	v_or3_b32 v3, v4, v3, v14
	v_and_or_b32 v4, v12, s12, v13
	v_or3_b32 v4, v3, v2, v4
	v_add_u32_e32 v8, 16, v8
	global_store_dwordx2 v[6:7], v[4:5], off
	v_add_co_u32_e32 v6, vcc, 0x80, v6
	v_cmp_le_i32_e64 s[0:1], s6, v8
	v_add_u32_e32 v1, 0x100, v1
	s_or_b64 s[2:3], s[0:1], s[2:3]
	v_addc_co_u32_e32 v7, vcc, 0, v7, vcc
	s_andn2_b64 exec, exec, s[2:3]
	s_cbranch_execz .LBB28_153
.LBB28_106:                             ; =>This Inner Loop Header: Depth=1
	ds_read_b128 v[2:5], v1
	v_mov_b32_e32 v11, 0x7f
	s_waitcnt lgkmcnt(0)
	v_lshlrev_b32_e32 v12, 16, v2
	v_div_scale_f32 v13, s[0:1], v0, v0, v12
	v_rcp_f32_e32 v14, v13
	v_div_scale_f32 v15, vcc, v12, v0, v12
	v_fma_f32 v16, -v13, v14, 1.0
	v_fmac_f32_e32 v14, v16, v14
	v_mul_f32_e32 v16, v15, v14
	v_fma_f32 v17, -v13, v16, v15
	v_fmac_f32_e32 v16, v17, v14
	v_fma_f32 v13, -v13, v16, v15
	v_div_fmas_f32 v13, v13, v14, v16
	v_div_fixup_f32 v12, v13, v0, v12
	v_max_f32_e32 v12, v12, v9
	v_min_f32_e32 v13, v12, v10
	v_and_b32_e32 v14, 0x7fffffff, v13
	v_cmp_gt_u32_e32 vcc, s7, v14
	v_mov_b32_e32 v12, 0x7f
	s_and_saveexec_b64 s[0:1], vcc
	s_cbranch_execz .LBB28_112
; %bb.107:                              ;   in Loop: Header=BB28_106 Depth=1
	v_cmp_lt_u32_e32 vcc, s8, v14
                                        ; implicit-def: $vgpr12
	s_and_saveexec_b64 s[4:5], vcc
	s_xor_b64 s[4:5], exec, s[4:5]
; %bb.108:                              ;   in Loop: Header=BB28_106 Depth=1
	v_bfe_u32 v12, v13, 20, 1
	v_add3_u32 v12, v13, v12, s9
	v_lshrrev_b32_e32 v12, 20, v12
; %bb.109:                              ;   in Loop: Header=BB28_106 Depth=1
	s_andn2_saveexec_b64 s[4:5], s[4:5]
; %bb.110:                              ;   in Loop: Header=BB28_106 Depth=1
	v_add_f32_e64 v12, |v13|, s10
; %bb.111:                              ;   in Loop: Header=BB28_106 Depth=1
	s_or_b64 exec, exec, s[4:5]
.LBB28_112:                             ;   in Loop: Header=BB28_106 Depth=1
	s_or_b64 exec, exec, s[0:1]
	v_and_b32_e32 v2, 0xffff0000, v2
	v_div_scale_f32 v14, s[0:1], v0, v0, v2
	v_rcp_f32_e32 v15, v14
	v_div_scale_f32 v16, vcc, v2, v0, v2
	v_fma_f32 v17, -v14, v15, 1.0
	v_fmac_f32_e32 v15, v17, v15
	v_mul_f32_e32 v17, v16, v15
	v_fma_f32 v18, -v14, v17, v16
	v_fmac_f32_e32 v17, v18, v15
	v_fma_f32 v14, -v14, v17, v16
	v_div_fmas_f32 v14, v14, v15, v17
	v_div_fixup_f32 v2, v14, v0, v2
	v_max_f32_e32 v2, v2, v9
	v_min_f32_e32 v2, v2, v10
	v_and_b32_e32 v14, 0x7fffffff, v2
	v_cmp_gt_u32_e32 vcc, s7, v14
	s_and_saveexec_b64 s[0:1], vcc
	s_cbranch_execz .LBB28_118
; %bb.113:                              ;   in Loop: Header=BB28_106 Depth=1
	v_cmp_lt_u32_e32 vcc, s8, v14
                                        ; implicit-def: $vgpr11
	s_and_saveexec_b64 s[4:5], vcc
	s_xor_b64 s[4:5], exec, s[4:5]
; %bb.114:                              ;   in Loop: Header=BB28_106 Depth=1
	v_bfe_u32 v11, v2, 20, 1
	v_add3_u32 v11, v2, v11, s9
	v_lshrrev_b32_e32 v11, 20, v11
; %bb.115:                              ;   in Loop: Header=BB28_106 Depth=1
	s_andn2_saveexec_b64 s[4:5], s[4:5]
; %bb.116:                              ;   in Loop: Header=BB28_106 Depth=1
	v_add_f32_e64 v11, |v2|, s10
; %bb.117:                              ;   in Loop: Header=BB28_106 Depth=1
	s_or_b64 exec, exec, s[4:5]
.LBB28_118:                             ;   in Loop: Header=BB28_106 Depth=1
	s_or_b64 exec, exec, s[0:1]
	v_lshlrev_b32_e32 v14, 16, v3
	v_div_scale_f32 v15, s[0:1], v0, v0, v14
	v_rcp_f32_e32 v16, v15
	v_div_scale_f32 v17, vcc, v14, v0, v14
	v_fma_f32 v18, -v15, v16, 1.0
	v_fmac_f32_e32 v16, v18, v16
	v_mul_f32_e32 v18, v17, v16
	v_fma_f32 v19, -v15, v18, v17
	v_fmac_f32_e32 v18, v19, v16
	v_fma_f32 v15, -v15, v18, v17
	v_div_fmas_f32 v15, v15, v16, v18
	v_div_fixup_f32 v14, v15, v0, v14
	v_max_f32_e32 v14, v14, v9
	v_min_f32_e32 v16, v14, v10
	v_and_b32_e32 v17, 0x7fffffff, v16
	v_cmp_gt_u32_e32 vcc, s7, v17
	v_mov_b32_e32 v15, 0x7f
	v_mov_b32_e32 v14, 0x7f
	s_and_saveexec_b64 s[0:1], vcc
	s_cbranch_execz .LBB28_124
; %bb.119:                              ;   in Loop: Header=BB28_106 Depth=1
	v_cmp_lt_u32_e32 vcc, s8, v17
                                        ; implicit-def: $vgpr14
	s_and_saveexec_b64 s[4:5], vcc
	s_xor_b64 s[4:5], exec, s[4:5]
; %bb.120:                              ;   in Loop: Header=BB28_106 Depth=1
	v_bfe_u32 v14, v16, 20, 1
	v_add3_u32 v14, v16, v14, s9
	v_lshrrev_b32_e32 v14, 20, v14
; %bb.121:                              ;   in Loop: Header=BB28_106 Depth=1
	s_andn2_saveexec_b64 s[4:5], s[4:5]
; %bb.122:                              ;   in Loop: Header=BB28_106 Depth=1
	v_add_f32_e64 v14, |v16|, s10
; %bb.123:                              ;   in Loop: Header=BB28_106 Depth=1
	s_or_b64 exec, exec, s[4:5]
.LBB28_124:                             ;   in Loop: Header=BB28_106 Depth=1
	s_or_b64 exec, exec, s[0:1]
	v_and_b32_e32 v3, 0xffff0000, v3
	v_div_scale_f32 v17, s[0:1], v0, v0, v3
	v_rcp_f32_e32 v18, v17
	v_div_scale_f32 v19, vcc, v3, v0, v3
	v_fma_f32 v20, -v17, v18, 1.0
	v_fmac_f32_e32 v18, v20, v18
	v_mul_f32_e32 v20, v19, v18
	v_fma_f32 v21, -v17, v20, v19
	v_fmac_f32_e32 v20, v21, v18
	v_fma_f32 v17, -v17, v20, v19
	v_div_fmas_f32 v17, v17, v18, v20
	v_div_fixup_f32 v3, v17, v0, v3
	v_max_f32_e32 v3, v3, v9
	v_min_f32_e32 v3, v3, v10
	v_and_b32_e32 v17, 0x7fffffff, v3
	v_cmp_gt_u32_e32 vcc, s7, v17
	s_and_saveexec_b64 s[0:1], vcc
	s_cbranch_execz .LBB28_130
; %bb.125:                              ;   in Loop: Header=BB28_106 Depth=1
	v_cmp_lt_u32_e32 vcc, s8, v17
                                        ; implicit-def: $vgpr15
	s_and_saveexec_b64 s[4:5], vcc
	s_xor_b64 s[4:5], exec, s[4:5]
; %bb.126:                              ;   in Loop: Header=BB28_106 Depth=1
	v_bfe_u32 v15, v3, 20, 1
	v_add3_u32 v15, v3, v15, s9
	v_lshrrev_b32_e32 v15, 20, v15
; %bb.127:                              ;   in Loop: Header=BB28_106 Depth=1
	s_andn2_saveexec_b64 s[4:5], s[4:5]
; %bb.128:                              ;   in Loop: Header=BB28_106 Depth=1
	v_add_f32_e64 v15, |v3|, s10
; %bb.129:                              ;   in Loop: Header=BB28_106 Depth=1
	s_or_b64 exec, exec, s[4:5]
.LBB28_130:                             ;   in Loop: Header=BB28_106 Depth=1
	s_or_b64 exec, exec, s[0:1]
	v_lshlrev_b32_e32 v17, 16, v4
	v_div_scale_f32 v18, s[0:1], v0, v0, v17
	v_rcp_f32_e32 v19, v18
	v_div_scale_f32 v20, vcc, v17, v0, v17
	v_fma_f32 v21, -v18, v19, 1.0
	v_fmac_f32_e32 v19, v21, v19
	v_mul_f32_e32 v21, v20, v19
	v_fma_f32 v22, -v18, v21, v20
	v_fmac_f32_e32 v21, v22, v19
	v_fma_f32 v18, -v18, v21, v20
	v_div_fmas_f32 v18, v18, v19, v21
	v_div_fixup_f32 v17, v18, v0, v17
	v_max_f32_e32 v17, v17, v9
	v_min_f32_e32 v19, v17, v10
	v_and_b32_e32 v20, 0x7fffffff, v19
	v_cmp_gt_u32_e32 vcc, s7, v20
	v_mov_b32_e32 v18, 0x7f
	v_mov_b32_e32 v17, 0x7f
	s_and_saveexec_b64 s[0:1], vcc
	s_cbranch_execz .LBB28_136
; %bb.131:                              ;   in Loop: Header=BB28_106 Depth=1
	v_cmp_lt_u32_e32 vcc, s8, v20
                                        ; implicit-def: $vgpr17
	s_and_saveexec_b64 s[4:5], vcc
	s_xor_b64 s[4:5], exec, s[4:5]
; %bb.132:                              ;   in Loop: Header=BB28_106 Depth=1
	v_bfe_u32 v17, v19, 20, 1
	v_add3_u32 v17, v19, v17, s9
	v_lshrrev_b32_e32 v17, 20, v17
; %bb.133:                              ;   in Loop: Header=BB28_106 Depth=1
	s_andn2_saveexec_b64 s[4:5], s[4:5]
; %bb.134:                              ;   in Loop: Header=BB28_106 Depth=1
	v_add_f32_e64 v17, |v19|, s10
; %bb.135:                              ;   in Loop: Header=BB28_106 Depth=1
	s_or_b64 exec, exec, s[4:5]
.LBB28_136:                             ;   in Loop: Header=BB28_106 Depth=1
	s_or_b64 exec, exec, s[0:1]
	v_and_b32_e32 v4, 0xffff0000, v4
	v_div_scale_f32 v20, s[0:1], v0, v0, v4
	v_rcp_f32_e32 v21, v20
	v_div_scale_f32 v22, vcc, v4, v0, v4
	v_fma_f32 v23, -v20, v21, 1.0
	v_fmac_f32_e32 v21, v23, v21
	v_mul_f32_e32 v23, v22, v21
	v_fma_f32 v24, -v20, v23, v22
	v_fmac_f32_e32 v23, v24, v21
	v_fma_f32 v20, -v20, v23, v22
	v_div_fmas_f32 v20, v20, v21, v23
	v_div_fixup_f32 v4, v20, v0, v4
	v_max_f32_e32 v4, v4, v9
	v_min_f32_e32 v4, v4, v10
	v_and_b32_e32 v20, 0x7fffffff, v4
	v_cmp_gt_u32_e32 vcc, s7, v20
	s_and_saveexec_b64 s[0:1], vcc
	s_cbranch_execz .LBB28_142
; %bb.137:                              ;   in Loop: Header=BB28_106 Depth=1
	v_cmp_lt_u32_e32 vcc, s8, v20
                                        ; implicit-def: $vgpr18
	s_and_saveexec_b64 s[4:5], vcc
	s_xor_b64 s[4:5], exec, s[4:5]
; %bb.138:                              ;   in Loop: Header=BB28_106 Depth=1
	v_bfe_u32 v18, v4, 20, 1
	v_add3_u32 v18, v4, v18, s9
	v_lshrrev_b32_e32 v18, 20, v18
; %bb.139:                              ;   in Loop: Header=BB28_106 Depth=1
	s_andn2_saveexec_b64 s[4:5], s[4:5]
; %bb.140:                              ;   in Loop: Header=BB28_106 Depth=1
	v_add_f32_e64 v18, |v4|, s10
; %bb.141:                              ;   in Loop: Header=BB28_106 Depth=1
	s_or_b64 exec, exec, s[4:5]
.LBB28_142:                             ;   in Loop: Header=BB28_106 Depth=1
	s_or_b64 exec, exec, s[0:1]
	v_lshlrev_b32_e32 v20, 16, v5
	v_div_scale_f32 v21, s[0:1], v0, v0, v20
	v_rcp_f32_e32 v22, v21
	v_div_scale_f32 v23, vcc, v20, v0, v20
	v_fma_f32 v24, -v21, v22, 1.0
	v_fmac_f32_e32 v22, v24, v22
	v_mul_f32_e32 v24, v23, v22
	v_fma_f32 v25, -v21, v24, v23
	v_fmac_f32_e32 v24, v25, v22
	v_fma_f32 v21, -v21, v24, v23
	v_div_fmas_f32 v21, v21, v22, v24
	v_div_fixup_f32 v20, v21, v0, v20
	v_max_f32_e32 v20, v20, v9
	v_min_f32_e32 v20, v20, v10
	v_and_b32_e32 v23, 0x7fffffff, v20
	v_cmp_gt_u32_e32 vcc, s7, v23
	v_mov_b32_e32 v22, 0x7f
	v_mov_b32_e32 v21, 0x7f
	s_and_saveexec_b64 s[0:1], vcc
	s_cbranch_execz .LBB28_148
; %bb.143:                              ;   in Loop: Header=BB28_106 Depth=1
	v_cmp_lt_u32_e32 vcc, s8, v23
                                        ; implicit-def: $vgpr21
	s_and_saveexec_b64 s[4:5], vcc
	s_xor_b64 s[4:5], exec, s[4:5]
; %bb.144:                              ;   in Loop: Header=BB28_106 Depth=1
	v_bfe_u32 v21, v20, 20, 1
	v_add3_u32 v21, v20, v21, s9
	v_lshrrev_b32_e32 v21, 20, v21
; %bb.145:                              ;   in Loop: Header=BB28_106 Depth=1
	s_andn2_saveexec_b64 s[4:5], s[4:5]
; %bb.146:                              ;   in Loop: Header=BB28_106 Depth=1
	v_add_f32_e64 v21, |v20|, s10
; %bb.147:                              ;   in Loop: Header=BB28_106 Depth=1
	s_or_b64 exec, exec, s[4:5]
.LBB28_148:                             ;   in Loop: Header=BB28_106 Depth=1
	s_or_b64 exec, exec, s[0:1]
	v_and_b32_e32 v5, 0xffff0000, v5
	v_div_scale_f32 v23, s[0:1], v0, v0, v5
	v_rcp_f32_e32 v24, v23
	v_div_scale_f32 v25, vcc, v5, v0, v5
	v_fma_f32 v26, -v23, v24, 1.0
	v_fmac_f32_e32 v24, v26, v24
	v_mul_f32_e32 v26, v25, v24
	v_fma_f32 v27, -v23, v26, v25
	v_fmac_f32_e32 v26, v27, v24
	v_fma_f32 v23, -v23, v26, v25
	v_div_fmas_f32 v23, v23, v24, v26
	v_div_fixup_f32 v5, v23, v0, v5
	v_max_f32_e32 v5, v5, v9
	v_min_f32_e32 v5, v5, v10
	v_and_b32_e32 v23, 0x7fffffff, v5
	v_cmp_gt_u32_e32 vcc, s7, v23
	s_and_saveexec_b64 s[0:1], vcc
	s_cbranch_execz .LBB28_105
; %bb.149:                              ;   in Loop: Header=BB28_106 Depth=1
	v_cmp_lt_u32_e32 vcc, s8, v23
                                        ; implicit-def: $vgpr22
	s_and_saveexec_b64 s[4:5], vcc
	s_xor_b64 s[4:5], exec, s[4:5]
; %bb.150:                              ;   in Loop: Header=BB28_106 Depth=1
	v_bfe_u32 v22, v5, 20, 1
	v_add3_u32 v22, v5, v22, s9
	v_lshrrev_b32_e32 v22, 20, v22
; %bb.151:                              ;   in Loop: Header=BB28_106 Depth=1
	s_andn2_saveexec_b64 s[4:5], s[4:5]
	s_cbranch_execz .LBB28_104
; %bb.152:                              ;   in Loop: Header=BB28_106 Depth=1
	v_add_f32_e64 v22, |v5|, s10
	s_branch .LBB28_104
.LBB28_153:
	s_endpgm
	.section	.rodata,"a",@progbits
	.p2align	6, 0x0
	.amdhsa_kernel _Z33per_token_group_quant_8bit_kernelIN3c108BFloat16ENS0_13Float8_e4m3fnELb1ELb1EfEvPKT_PvPT3_iiifffii
		.amdhsa_group_segment_fixed_size 0
		.amdhsa_private_segment_fixed_size 0
		.amdhsa_kernarg_size 56
		.amdhsa_user_sgpr_count 6
		.amdhsa_user_sgpr_private_segment_buffer 1
		.amdhsa_user_sgpr_dispatch_ptr 0
		.amdhsa_user_sgpr_queue_ptr 0
		.amdhsa_user_sgpr_kernarg_segment_ptr 1
		.amdhsa_user_sgpr_dispatch_id 0
		.amdhsa_user_sgpr_flat_scratch_init 0
		.amdhsa_user_sgpr_kernarg_preload_length 0
		.amdhsa_user_sgpr_kernarg_preload_offset 0
		.amdhsa_user_sgpr_private_segment_size 0
		.amdhsa_uses_dynamic_stack 0
		.amdhsa_system_sgpr_private_segment_wavefront_offset 0
		.amdhsa_system_sgpr_workgroup_id_x 1
		.amdhsa_system_sgpr_workgroup_id_y 0
		.amdhsa_system_sgpr_workgroup_id_z 0
		.amdhsa_system_sgpr_workgroup_info 0
		.amdhsa_system_vgpr_workitem_id 0
		.amdhsa_next_free_vgpr 60
		.amdhsa_next_free_sgpr 26
		.amdhsa_accum_offset 60
		.amdhsa_reserve_vcc 1
		.amdhsa_reserve_flat_scratch 0
		.amdhsa_float_round_mode_32 0
		.amdhsa_float_round_mode_16_64 0
		.amdhsa_float_denorm_mode_32 3
		.amdhsa_float_denorm_mode_16_64 3
		.amdhsa_dx10_clamp 1
		.amdhsa_ieee_mode 1
		.amdhsa_fp16_overflow 0
		.amdhsa_tg_split 0
		.amdhsa_exception_fp_ieee_invalid_op 0
		.amdhsa_exception_fp_denorm_src 0
		.amdhsa_exception_fp_ieee_div_zero 0
		.amdhsa_exception_fp_ieee_overflow 0
		.amdhsa_exception_fp_ieee_underflow 0
		.amdhsa_exception_fp_ieee_inexact 0
		.amdhsa_exception_int_div_zero 0
	.end_amdhsa_kernel
	.section	.text._Z33per_token_group_quant_8bit_kernelIN3c108BFloat16ENS0_13Float8_e4m3fnELb1ELb1EfEvPKT_PvPT3_iiifffii,"axG",@progbits,_Z33per_token_group_quant_8bit_kernelIN3c108BFloat16ENS0_13Float8_e4m3fnELb1ELb1EfEvPKT_PvPT3_iiifffii,comdat
.Lfunc_end28:
	.size	_Z33per_token_group_quant_8bit_kernelIN3c108BFloat16ENS0_13Float8_e4m3fnELb1ELb1EfEvPKT_PvPT3_iiifffii, .Lfunc_end28-_Z33per_token_group_quant_8bit_kernelIN3c108BFloat16ENS0_13Float8_e4m3fnELb1ELb1EfEvPKT_PvPT3_iiifffii
                                        ; -- End function
	.section	.AMDGPU.csdata,"",@progbits
; Kernel info:
; codeLenInByte = 7500
; NumSgprs: 30
; NumVgprs: 60
; NumAgprs: 0
; TotalNumVgprs: 60
; ScratchSize: 0
; MemoryBound: 0
; FloatMode: 240
; IeeeMode: 1
; LDSByteSize: 0 bytes/workgroup (compile time only)
; SGPRBlocks: 3
; VGPRBlocks: 7
; NumSGPRsForWavesPerEU: 30
; NumVGPRsForWavesPerEU: 60
; AccumOffset: 60
; Occupancy: 8
; WaveLimiterHint : 0
; COMPUTE_PGM_RSRC2:SCRATCH_EN: 0
; COMPUTE_PGM_RSRC2:USER_SGPR: 6
; COMPUTE_PGM_RSRC2:TRAP_HANDLER: 0
; COMPUTE_PGM_RSRC2:TGID_X_EN: 1
; COMPUTE_PGM_RSRC2:TGID_Y_EN: 0
; COMPUTE_PGM_RSRC2:TGID_Z_EN: 0
; COMPUTE_PGM_RSRC2:TIDIG_COMP_CNT: 0
; COMPUTE_PGM_RSRC3_GFX90A:ACCUM_OFFSET: 14
; COMPUTE_PGM_RSRC3_GFX90A:TG_SPLIT: 0
	.section	.text._Z33per_token_group_quant_8bit_kernelIN3c108BFloat16ENS0_13Float8_e4m3fnELb1ELb0EfEvPKT_PvPT3_iiifffii,"axG",@progbits,_Z33per_token_group_quant_8bit_kernelIN3c108BFloat16ENS0_13Float8_e4m3fnELb1ELb0EfEvPKT_PvPT3_iiifffii,comdat
	.protected	_Z33per_token_group_quant_8bit_kernelIN3c108BFloat16ENS0_13Float8_e4m3fnELb1ELb0EfEvPKT_PvPT3_iiifffii ; -- Begin function _Z33per_token_group_quant_8bit_kernelIN3c108BFloat16ENS0_13Float8_e4m3fnELb1ELb0EfEvPKT_PvPT3_iiifffii
	.globl	_Z33per_token_group_quant_8bit_kernelIN3c108BFloat16ENS0_13Float8_e4m3fnELb1ELb0EfEvPKT_PvPT3_iiifffii
	.p2align	8
	.type	_Z33per_token_group_quant_8bit_kernelIN3c108BFloat16ENS0_13Float8_e4m3fnELb1ELb0EfEvPKT_PvPT3_iiifffii,@function
_Z33per_token_group_quant_8bit_kernelIN3c108BFloat16ENS0_13Float8_e4m3fnELb1ELb0EfEvPKT_PvPT3_iiifffii: ; @_Z33per_token_group_quant_8bit_kernelIN3c108BFloat16ENS0_13Float8_e4m3fnELb1ELb0EfEvPKT_PvPT3_iiifffii
; %bb.0:
	s_load_dword s21, s[4:5], 0x18
	s_load_dwordx2 s[0:1], s[4:5], 0x0
	s_load_dwordx4 s[8:11], s[4:5], 0x20
	s_load_dwordx2 s[2:3], s[4:5], 0x30
	v_lshrrev_b32_e32 v2, 4, v0
	s_waitcnt lgkmcnt(0)
	s_ashr_i32 s12, s21, 31
	v_and_b32_e32 v8, 15, v0
	s_mul_i32 s6, s6, s8
	v_add_co_u32_e32 v7, vcc, s6, v2
	v_addc_co_u32_e64 v10, s[6:7], 0, 0, vcc
	v_mul_lo_u32 v0, v10, s21
	v_mul_lo_u32 v1, v7, s12
	v_mad_u64_u32 v[12:13], s[6:7], v7, s21, 0
	v_add3_u32 v13, v13, v1, v0
	v_lshlrev_b64 v[0:1], 1, v[12:13]
	s_and_b32 s8, s21, 7
	v_mov_b32_e32 v4, s1
	v_add_co_u32_e32 v3, vcc, s0, v0
	s_cmp_eq_u32 s8, 0
	v_addc_co_u32_e32 v4, vcc, v4, v1, vcc
	v_mov_b32_e32 v15, 0
	v_and_b32_e32 v14, 15, v3
	s_cselect_b64 s[6:7], -1, 0
	s_cmp_lg_u32 s8, 0
	v_mul_lo_u32 v9, v2, s21
	v_cmp_ne_u64_e32 vcc, 0, v[14:15]
	s_cselect_b64 s[12:13], -1, 0
	v_lshl_add_u32 v6, v9, 1, 0
	s_or_b64 s[12:13], s[12:13], vcc
                                        ; implicit-def: $vgpr11
	s_and_saveexec_b64 s[14:15], s[12:13]
	s_xor_b64 s[12:13], exec, s[14:15]
	s_cbranch_execz .LBB29_12
; %bb.1:
	v_sub_u32_e32 v2, 0, v3
	v_bfe_u32 v2, v2, 1, 3
	v_min_i32_e32 v2, s21, v2
	v_cmp_gt_i32_e32 vcc, v2, v8
	v_mov_b32_e32 v11, s9
	s_and_saveexec_b64 s[14:15], vcc
	s_cbranch_execz .LBB29_3
; %bb.2:
	v_lshlrev_b32_e32 v5, 1, v8
	v_add_co_u32_e32 v14, vcc, v3, v5
	v_addc_co_u32_e32 v15, vcc, 0, v4, vcc
	global_load_ushort v3, v[14:15], off
	v_max_f32_e64 v4, s9, s9
	v_add_u32_e32 v5, v6, v5
	s_waitcnt vmcnt(0)
	v_lshlrev_b32_e32 v11, 16, v3
	v_max_f32_e64 v11, |v11|, |v11|
	v_max_f32_e32 v11, v4, v11
	ds_write_b16 v5, v3
.LBB29_3:
	s_or_b64 exec, exec, s[14:15]
	v_sub_u32_e32 v14, s21, v2
	v_ashrrev_i32_e32 v4, 31, v14
	v_lshrrev_b32_e32 v4, 29, v4
	v_add_u32_e32 v4, v14, v4
	v_ashrrev_i32_e32 v3, 31, v2
	v_ashrrev_i32_e32 v15, 3, v4
	v_cmp_gt_i32_e32 vcc, v15, v8
	v_lshlrev_b32_e32 v16, 1, v2
	v_lshlrev_b64 v[2:3], 1, v[2:3]
	s_and_saveexec_b64 s[14:15], vcc
	s_cbranch_execz .LBB29_7
; %bb.4:
	v_lshlrev_b32_e32 v4, 4, v8
	v_lshl_add_u32 v5, v9, 1, v4
	v_add_co_u32_e32 v4, vcc, v0, v4
	v_add3_u32 v17, v5, v16, 0
	v_addc_co_u32_e32 v5, vcc, 0, v1, vcc
	v_add_co_u32_e32 v4, vcc, v4, v2
	v_addc_co_u32_e32 v5, vcc, v5, v3, vcc
	v_mov_b32_e32 v18, s1
	v_add_co_u32_e32 v4, vcc, s0, v4
	v_addc_co_u32_e32 v5, vcc, v5, v18, vcc
	v_add_co_u32_e32 v4, vcc, 8, v4
	v_addc_co_u32_e32 v5, vcc, 0, v5, vcc
	s_mov_b64 s[16:17], 0
	v_mov_b32_e32 v18, v8
.LBB29_5:                               ; =>This Inner Loop Header: Depth=1
	global_load_dwordx4 v[20:23], v[4:5], off offset:-8
	v_add_co_u32_e32 v4, vcc, 0x100, v4
	v_add_u32_e32 v18, 16, v18
	v_addc_co_u32_e32 v5, vcc, 0, v5, vcc
	v_cmp_ge_i32_e32 vcc, v18, v15
	s_or_b64 s[16:17], vcc, s[16:17]
	s_waitcnt vmcnt(0)
	v_lshlrev_b32_e32 v19, 16, v20
	v_and_b32_e32 v24, 0xffff0000, v20
	v_lshlrev_b32_e32 v25, 16, v21
	v_and_b32_e32 v26, 0xffff0000, v21
	v_max3_f32 v11, v11, |v19|, |v24|
	v_lshlrev_b32_e32 v27, 16, v22
	v_and_b32_e32 v28, 0xffff0000, v22
	v_max3_f32 v11, v11, |v25|, |v26|
	;; [unrolled: 3-line block ×3, first 2 shown]
	ds_write_b128 v17, v[20:23]
	v_add_u32_e32 v17, 0x100, v17
	v_max3_f32 v11, v11, |v29|, |v30|
	s_andn2_b64 exec, exec, s[16:17]
	s_cbranch_execnz .LBB29_5
; %bb.6:
	s_or_b64 exec, exec, s[16:17]
.LBB29_7:
	s_or_b64 exec, exec, s[14:15]
	v_lshl_add_u32 v4, v15, 3, v8
	v_cmp_lt_i32_e32 vcc, v4, v14
	s_and_saveexec_b64 s[14:15], vcc
	s_cbranch_execz .LBB29_11
; %bb.8:
	v_lshlrev_b32_e32 v5, 1, v9
	v_lshlrev_b32_e32 v15, 4, v15
	v_add3_u32 v5, v5, v15, v16
	v_lshlrev_b32_e32 v15, 1, v8
	v_add3_u32 v15, v5, v15, 0
	v_add_co_u32_e32 v2, vcc, v0, v2
	v_ashrrev_i32_e32 v5, 31, v4
	v_addc_co_u32_e32 v3, vcc, v1, v3, vcc
	v_lshlrev_b64 v[0:1], 1, v[4:5]
	v_add_co_u32_e32 v0, vcc, v2, v0
	v_addc_co_u32_e32 v1, vcc, v3, v1, vcc
	v_mov_b32_e32 v2, s1
	v_add_co_u32_e32 v0, vcc, s0, v0
	v_addc_co_u32_e32 v1, vcc, v2, v1, vcc
	s_mov_b64 s[16:17], 0
.LBB29_9:                               ; =>This Inner Loop Header: Depth=1
	global_load_ushort v2, v[0:1], off
	v_add_co_u32_e32 v0, vcc, 32, v0
	v_add_u32_e32 v4, 16, v4
	v_addc_co_u32_e32 v1, vcc, 0, v1, vcc
	v_max_f32_e32 v3, v11, v11
	v_cmp_ge_i32_e32 vcc, v4, v14
	s_or_b64 s[16:17], vcc, s[16:17]
	s_waitcnt vmcnt(0)
	v_lshlrev_b32_e32 v5, 16, v2
	ds_write_b16 v15, v2
	v_max_f32_e64 v2, |v5|, |v5|
	v_add_u32_e32 v15, 32, v15
	v_max_f32_e32 v11, v3, v2
	s_andn2_b64 exec, exec, s[16:17]
	s_cbranch_execnz .LBB29_9
; %bb.10:
	s_or_b64 exec, exec, s[16:17]
.LBB29_11:
	s_or_b64 exec, exec, s[14:15]
                                        ; implicit-def: $vgpr0_vgpr1
.LBB29_12:
	s_andn2_saveexec_b64 s[12:13], s[12:13]
	s_cbranch_execz .LBB29_18
; %bb.13:
	s_ashr_i32 s8, s21, 3
	v_cmp_gt_i32_e32 vcc, s8, v8
	v_mov_b32_e32 v11, s9
	s_and_saveexec_b64 s[14:15], vcc
	s_cbranch_execz .LBB29_17
; %bb.14:
	v_lshlrev_b32_e32 v3, 4, v8
	v_add_co_u32_e32 v0, vcc, v0, v3
	v_lshlrev_b32_e32 v2, 1, v9
	v_addc_co_u32_e32 v1, vcc, 0, v1, vcc
	v_add3_u32 v2, v2, v3, 0
	v_mov_b32_e32 v3, s1
	v_add_co_u32_e32 v0, vcc, s0, v0
	v_addc_co_u32_e32 v1, vcc, v1, v3, vcc
	v_add_co_u32_e32 v0, vcc, 8, v0
	v_addc_co_u32_e32 v1, vcc, 0, v1, vcc
	s_mov_b64 s[0:1], 0
	v_mov_b32_e32 v11, s9
	v_mov_b32_e32 v3, v8
.LBB29_15:                              ; =>This Inner Loop Header: Depth=1
	global_load_dwordx4 v[14:17], v[0:1], off offset:-8
	v_add_co_u32_e32 v0, vcc, 0x100, v0
	v_add_u32_e32 v3, 16, v3
	v_addc_co_u32_e32 v1, vcc, 0, v1, vcc
	v_cmp_le_i32_e32 vcc, s8, v3
	s_or_b64 s[0:1], vcc, s[0:1]
	s_waitcnt vmcnt(0)
	v_lshlrev_b32_e32 v4, 16, v14
	v_and_b32_e32 v5, 0xffff0000, v14
	v_lshlrev_b32_e32 v18, 16, v15
	v_and_b32_e32 v19, 0xffff0000, v15
	v_max3_f32 v4, v11, |v4|, |v5|
	v_lshlrev_b32_e32 v20, 16, v16
	v_and_b32_e32 v21, 0xffff0000, v16
	v_max3_f32 v4, v4, |v18|, |v19|
	v_lshlrev_b32_e32 v22, 16, v17
	v_and_b32_e32 v23, 0xffff0000, v17
	v_max3_f32 v4, v4, |v20|, |v21|
	ds_write_b128 v2, v[14:17]
	v_add_u32_e32 v2, 0x100, v2
	v_max3_f32 v11, v4, |v22|, |v23|
	s_andn2_b64 exec, exec, s[0:1]
	s_cbranch_execnz .LBB29_15
; %bb.16:
	s_or_b64 exec, exec, s[0:1]
.LBB29_17:
	s_or_b64 exec, exec, s[14:15]
.LBB29_18:
	s_or_b64 exec, exec, s[12:13]
	v_mbcnt_lo_u32_b32 v0, -1, 0
	v_mbcnt_hi_u32_b32 v0, -1, v0
	v_and_b32_e32 v2, 0x70, v0
	v_xor_b32_e32 v1, 8, v0
	v_add_u32_e32 v2, 16, v2
	v_cmp_lt_i32_e32 vcc, v1, v2
	v_cndmask_b32_e32 v1, v0, v1, vcc
	v_lshlrev_b32_e32 v1, 2, v1
	ds_bpermute_b32 v1, v1, v11
	v_xor_b32_e32 v4, 4, v0
	v_max_f32_e32 v3, v11, v11
	v_cmp_lt_i32_e32 vcc, v4, v2
	s_load_dwordx2 s[8:9], s[4:5], 0x8
	s_waitcnt lgkmcnt(0)
	v_max_f32_e32 v1, v1, v1
	v_max_f32_e32 v1, v3, v1
	v_cndmask_b32_e32 v3, v0, v4, vcc
	v_lshlrev_b32_e32 v3, 2, v3
	ds_bpermute_b32 v3, v3, v1
	v_xor_b32_e32 v4, 2, v0
	v_cmp_lt_i32_e32 vcc, v4, v2
	s_waitcnt lgkmcnt(0)
	v_max_f32_e32 v3, v3, v3
	v_max_f32_e32 v1, v1, v3
	v_cndmask_b32_e32 v3, v0, v4, vcc
	v_lshlrev_b32_e32 v3, 2, v3
	ds_bpermute_b32 v3, v3, v1
	v_xor_b32_e32 v4, 1, v0
	v_cmp_lt_i32_e32 vcc, v4, v2
	v_cndmask_b32_e32 v0, v0, v4, vcc
	v_lshlrev_b32_e32 v0, 2, v0
	s_waitcnt lgkmcnt(0)
	v_max_f32_e32 v3, v3, v3
	v_max_f32_e32 v1, v1, v3
	ds_bpermute_b32 v0, v0, v1
	s_waitcnt lgkmcnt(0)
	v_max_f32_e32 v0, v0, v0
	v_max_f32_e32 v0, v1, v0
	v_div_scale_f32 v1, s[0:1], s11, s11, v0
	v_rcp_f32_e32 v2, v1
	v_div_scale_f32 v3, vcc, v0, s11, v0
	v_fma_f32 v4, -v1, v2, 1.0
	v_fmac_f32_e32 v2, v4, v2
	v_mul_f32_e32 v4, v3, v2
	v_fma_f32 v5, -v1, v4, v3
	v_fmac_f32_e32 v4, v5, v2
	v_fma_f32 v1, -v1, v4, v3
	v_div_fmas_f32 v1, v1, v2, v4
	v_div_fixup_f32 v0, v1, s11, v0
	v_cmp_eq_u32_e32 vcc, 0, v8
	s_and_saveexec_b64 s[12:13], vcc
	s_cbranch_execz .LBB29_24
; %bb.19:
	s_load_dwordx2 s[4:5], s[4:5], 0x10
	s_ashr_i32 s0, s2, 31
	v_or_b32_e32 v3, s0, v10
	v_mov_b32_e32 v2, 0
	v_cmp_ne_u64_e32 vcc, 0, v[2:3]
                                        ; implicit-def: $vgpr2_vgpr3
	s_and_saveexec_b64 s[14:15], vcc
	s_xor_b64 s[14:15], exec, s[14:15]
	s_cbranch_execz .LBB29_21
; %bb.20:
	s_add_u32 s18, s2, s0
	s_mov_b32 s16, s0
	s_mov_b32 s17, s0
	s_addc_u32 s19, s0, s0
	s_xor_b64 s[18:19], s[18:19], s[16:17]
	v_cvt_f32_u32_e32 v1, s18
	v_cvt_f32_u32_e32 v2, s19
	s_sub_u32 s0, 0, s18
	s_subb_u32 s1, 0, s19
	v_madmk_f32 v1, v2, 0x4f800000, v1
	v_rcp_f32_e32 v1, v1
	v_mul_f32_e32 v1, 0x5f7ffffc, v1
	v_mul_f32_e32 v2, 0x2f800000, v1
	v_trunc_f32_e32 v2, v2
	v_madmk_f32 v1, v2, 0xcf800000, v1
	v_cvt_u32_f32_e32 v2, v2
	v_cvt_u32_f32_e32 v1, v1
	v_mul_lo_u32 v3, s0, v2
	v_mul_hi_u32 v5, s0, v1
	v_mul_lo_u32 v4, s1, v1
	v_add_u32_e32 v3, v5, v3
	v_mul_lo_u32 v11, s0, v1
	v_add_u32_e32 v3, v3, v4
	v_mul_lo_u32 v5, v1, v3
	v_mul_hi_u32 v14, v1, v11
	v_mul_hi_u32 v4, v1, v3
	v_add_co_u32_e32 v5, vcc, v14, v5
	v_addc_co_u32_e32 v4, vcc, 0, v4, vcc
	v_mul_hi_u32 v15, v2, v11
	v_mul_lo_u32 v11, v2, v11
	v_add_co_u32_e32 v5, vcc, v5, v11
	v_mul_hi_u32 v14, v2, v3
	v_addc_co_u32_e32 v4, vcc, v4, v15, vcc
	v_addc_co_u32_e32 v5, vcc, 0, v14, vcc
	v_mul_lo_u32 v3, v2, v3
	v_add_co_u32_e32 v3, vcc, v4, v3
	v_addc_co_u32_e32 v4, vcc, 0, v5, vcc
	v_add_co_u32_e32 v1, vcc, v1, v3
	v_addc_co_u32_e32 v2, vcc, v2, v4, vcc
	v_mul_lo_u32 v3, s0, v2
	v_mul_hi_u32 v4, s0, v1
	v_add_u32_e32 v3, v4, v3
	v_mul_lo_u32 v4, s1, v1
	v_add_u32_e32 v3, v3, v4
	v_mul_lo_u32 v5, s0, v1
	v_mul_hi_u32 v11, v2, v5
	v_mul_lo_u32 v14, v2, v5
	v_mul_lo_u32 v16, v1, v3
	v_mul_hi_u32 v5, v1, v5
	v_mul_hi_u32 v15, v1, v3
	v_add_co_u32_e32 v5, vcc, v5, v16
	v_addc_co_u32_e32 v15, vcc, 0, v15, vcc
	v_add_co_u32_e32 v5, vcc, v5, v14
	v_mul_hi_u32 v4, v2, v3
	v_addc_co_u32_e32 v5, vcc, v15, v11, vcc
	v_addc_co_u32_e32 v4, vcc, 0, v4, vcc
	v_mul_lo_u32 v3, v2, v3
	v_add_co_u32_e32 v3, vcc, v5, v3
	v_addc_co_u32_e32 v4, vcc, 0, v4, vcc
	v_add_co_u32_e32 v1, vcc, v1, v3
	v_addc_co_u32_e32 v4, vcc, v2, v4, vcc
	v_mad_u64_u32 v[2:3], s[0:1], v7, v4, 0
	v_mul_hi_u32 v5, v7, v1
	v_add_co_u32_e32 v11, vcc, v5, v2
	v_addc_co_u32_e32 v14, vcc, 0, v3, vcc
	v_mad_u64_u32 v[2:3], s[0:1], v10, v4, 0
	v_mad_u64_u32 v[4:5], s[0:1], v10, v1, 0
	v_add_co_u32_e32 v1, vcc, v11, v4
	v_addc_co_u32_e32 v1, vcc, v14, v5, vcc
	v_addc_co_u32_e32 v3, vcc, 0, v3, vcc
	v_add_co_u32_e32 v1, vcc, v1, v2
	v_addc_co_u32_e32 v2, vcc, 0, v3, vcc
	v_mul_lo_u32 v4, s19, v1
	v_mul_lo_u32 v5, s18, v2
	v_mad_u64_u32 v[2:3], s[0:1], s18, v1, 0
	v_add3_u32 v3, v3, v5, v4
	v_sub_u32_e32 v4, v10, v3
	v_mov_b32_e32 v5, s19
	v_sub_co_u32_e32 v2, vcc, v7, v2
	v_subb_co_u32_e64 v4, s[0:1], v4, v5, vcc
	v_subrev_co_u32_e64 v5, s[0:1], s18, v2
	v_subbrev_co_u32_e64 v4, s[0:1], 0, v4, s[0:1]
	v_cmp_le_u32_e64 s[0:1], s19, v4
	v_subb_co_u32_e32 v3, vcc, v10, v3, vcc
	v_cndmask_b32_e64 v11, 0, -1, s[0:1]
	v_cmp_le_u32_e64 s[0:1], s18, v5
	v_cmp_le_u32_e32 vcc, s19, v3
	v_cndmask_b32_e64 v5, 0, -1, s[0:1]
	v_cmp_eq_u32_e64 s[0:1], s19, v4
	v_cndmask_b32_e64 v10, 0, -1, vcc
	v_cmp_le_u32_e32 vcc, s18, v2
	v_cndmask_b32_e64 v4, v11, v5, s[0:1]
	v_cndmask_b32_e64 v2, 0, -1, vcc
	v_cmp_eq_u32_e32 vcc, s19, v3
	v_add_co_u32_e64 v5, s[0:1], 2, v1
	v_add_co_u32_e64 v11, s[0:1], 1, v1
	v_cndmask_b32_e32 v2, v10, v2, vcc
	v_cmp_ne_u32_e32 vcc, 0, v4
	v_cndmask_b32_e32 v3, v11, v5, vcc
	v_cmp_ne_u32_e32 vcc, 0, v2
	v_cndmask_b32_e32 v1, v1, v3, vcc
	v_xor_b32_e32 v1, s16, v1
	v_subrev_co_u32_e32 v2, vcc, s16, v1
.LBB29_21:
	s_andn2_saveexec_b64 s[0:1], s[14:15]
	s_cbranch_execz .LBB29_23
; %bb.22:
	v_cvt_f32_u32_e32 v1, s2
	s_sub_i32 s14, 0, s2
	v_rcp_iflag_f32_e32 v1, v1
	v_mul_f32_e32 v1, 0x4f7ffffe, v1
	v_cvt_u32_f32_e32 v1, v1
	v_mul_lo_u32 v2, s14, v1
	v_mul_hi_u32 v2, v1, v2
	v_add_u32_e32 v1, v1, v2
	v_mul_hi_u32 v1, v7, v1
	v_mul_lo_u32 v2, v1, s2
	v_sub_u32_e32 v2, v7, v2
	v_add_u32_e32 v3, 1, v1
	v_subrev_u32_e32 v4, s2, v2
	v_cmp_le_u32_e32 vcc, s2, v2
	v_cndmask_b32_e32 v2, v2, v4, vcc
	v_cndmask_b32_e32 v1, v1, v3, vcc
	v_add_u32_e32 v3, 1, v1
	v_cmp_le_u32_e32 vcc, s2, v2
	v_cndmask_b32_e32 v2, v1, v3, vcc
.LBB29_23:
	s_or_b64 exec, exec, s[0:1]
	v_mul_lo_u32 v1, v2, s2
	v_sub_u32_e32 v1, v7, v1
	v_mad_u64_u32 v[2:3], s[0:1], v1, s3, v[2:3]
	v_ashrrev_i32_e32 v3, 31, v2
	v_lshlrev_b64 v[2:3], 2, v[2:3]
	s_waitcnt lgkmcnt(0)
	v_mov_b32_e32 v1, s5
	v_add_co_u32_e32 v2, vcc, s4, v2
	v_addc_co_u32_e32 v3, vcc, v1, v3, vcc
	global_store_dword v[2:3], v0, off
.LBB29_24:
	s_or_b64 exec, exec, s[12:13]
	v_and_b32_e32 v2, 15, v6
	v_mov_b32_e32 v3, 0
	v_cmp_ne_u64_e32 vcc, 0, v[2:3]
	s_xor_b64 s[0:1], s[6:7], -1
	s_or_b64 s[0:1], s[0:1], vcc
	s_barrier
	s_and_saveexec_b64 s[2:3], s[0:1]
	s_xor_b64 s[12:13], exec, s[2:3]
	s_cbranch_execz .LBB29_101
; %bb.25:
	v_mov_b32_e32 v2, s9
	v_add_co_u32_e32 v1, vcc, s8, v12
	v_addc_co_u32_e32 v10, vcc, v2, v13, vcc
	v_sub_u32_e32 v2, 0, v6
	v_bfe_u32 v2, v2, 1, 3
	v_min_i32_e32 v21, s21, v2
	v_cmp_gt_i32_e32 vcc, v21, v8
	s_and_saveexec_b64 s[0:1], vcc
	s_cbranch_execz .LBB29_33
; %bb.26:
	v_lshl_add_u32 v2, v8, 1, v6
	ds_read_u16 v2, v2
	v_max_f32_e64 v3, s10, s10
	v_max_f32_e64 v4, s11, s11
	s_waitcnt lgkmcnt(0)
	v_lshlrev_b32_e32 v2, 16, v2
	v_div_scale_f32 v5, s[2:3], v0, v0, v2
	v_rcp_f32_e32 v6, v5
	v_div_scale_f32 v7, vcc, v2, v0, v2
	s_mov_b32 s2, 0x43f00000
	v_fma_f32 v11, -v5, v6, 1.0
	v_fmac_f32_e32 v6, v11, v6
	v_mul_f32_e32 v11, v7, v6
	v_fma_f32 v14, -v5, v11, v7
	v_fmac_f32_e32 v11, v14, v6
	v_fma_f32 v5, -v5, v11, v7
	v_div_fmas_f32 v5, v5, v6, v11
	v_div_fixup_f32 v2, v5, v0, v2
	v_max_f32_e32 v2, v2, v3
	v_min_f32_e32 v2, v2, v4
	v_and_b32_e32 v4, 0x7fffffff, v2
	v_cmp_gt_u32_e32 vcc, s2, v4
	v_mov_b32_e32 v3, 0x7f
	s_and_saveexec_b64 s[2:3], vcc
	s_cbranch_execz .LBB29_32
; %bb.27:
	s_mov_b32 s4, 0x3c7fffff
	v_cmp_lt_u32_e32 vcc, s4, v4
                                        ; implicit-def: $vgpr3
	s_and_saveexec_b64 s[4:5], vcc
	s_xor_b64 s[4:5], exec, s[4:5]
; %bb.28:
	v_bfe_u32 v3, v2, 20, 1
	s_mov_b32 s6, 0x407ffff
	v_add3_u32 v3, v2, v3, s6
	v_lshrrev_b32_e32 v3, 20, v3
; %bb.29:
	s_andn2_saveexec_b64 s[4:5], s[4:5]
; %bb.30:
	s_mov_b32 s6, 0x46800000
	v_add_f32_e64 v3, |v2|, s6
; %bb.31:
	s_or_b64 exec, exec, s[4:5]
.LBB29_32:
	s_or_b64 exec, exec, s[2:3]
	v_add_co_u32_e32 v4, vcc, v1, v8
	v_lshrrev_b32_e32 v2, 24, v2
	s_movk_i32 s2, 0x80
	v_addc_co_u32_e32 v5, vcc, 0, v10, vcc
	v_and_or_b32 v2, v2, s2, v3
	global_store_byte v[4:5], v2, off
.LBB29_33:
	s_or_b64 exec, exec, s[0:1]
	v_sub_u32_e32 v20, s21, v21
	v_ashrrev_i32_e32 v2, 31, v20
	v_lshrrev_b32_e32 v2, 29, v2
	v_add_u32_e32 v2, v20, v2
	v_ashrrev_i32_e32 v11, 3, v2
	v_ashrrev_i32_e32 v22, 31, v21
	v_cmp_gt_i32_e32 vcc, v11, v8
	v_lshlrev_b32_e32 v23, 1, v21
	s_and_saveexec_b64 s[2:3], vcc
	s_cbranch_execz .LBB29_84
; %bb.34:
	v_lshlrev_b32_e32 v2, 4, v8
	v_lshl_add_u32 v2, v9, 1, v2
	v_lshlrev_b32_e32 v3, 1, v21
	v_add3_u32 v14, v2, v3, 0
	v_add_co_u32_e32 v2, vcc, v21, v12
	v_addc_co_u32_e32 v3, vcc, v22, v13, vcc
	v_lshlrev_b32_e32 v4, 3, v8
	v_add_co_u32_e32 v2, vcc, v2, v4
	v_addc_co_u32_e32 v3, vcc, 0, v3, vcc
	v_mov_b32_e32 v4, s9
	v_add_co_u32_e32 v6, vcc, s8, v2
	v_addc_co_u32_e32 v7, vcc, v4, v3, vcc
	s_mov_b64 s[4:5], 0
	v_max_f32_e64 v15, s10, s10
	v_max_f32_e64 v16, s11, s11
	s_mov_b32 s14, 0x43f00000
	s_mov_b32 s15, 0x3c7fffff
	;; [unrolled: 1-line block ×4, first 2 shown]
	s_movk_i32 s18, 0x80
	s_movk_i32 s19, 0xff
	v_mov_b32_e32 v17, v8
	s_branch .LBB29_37
.LBB29_35:                              ;   in Loop: Header=BB29_37 Depth=1
	s_or_b64 exec, exec, s[6:7]
.LBB29_36:                              ;   in Loop: Header=BB29_37 Depth=1
	s_or_b64 exec, exec, s[0:1]
	v_and_b32_sdwa v31, v31, s18 dst_sel:DWORD dst_unused:UNUSED_PAD src0_sel:BYTE_3 src1_sel:DWORD
	v_lshrrev_b32_e32 v5, 24, v5
	v_and_b32_sdwa v4, v4, s18 dst_sel:DWORD dst_unused:UNUSED_PAD src0_sel:BYTE_3 src1_sel:DWORD
	v_and_or_b32 v5, v5, s18, v33
	v_and_or_b32 v31, v32, s19, v31
	v_and_b32_sdwa v30, v30, s18 dst_sel:DWORD dst_unused:UNUSED_PAD src0_sel:BYTE_3 src1_sel:DWORD
	v_and_b32_sdwa v27, v27, s18 dst_sel:DWORD dst_unused:UNUSED_PAD src0_sel:BYTE_3 src1_sel:DWORD
	v_lshlrev_b32_e32 v5, 24, v5
	v_lshlrev_b32_e32 v31, 16, v31
	v_and_or_b32 v4, v29, s19, v4
	v_and_b32_sdwa v2, v2, s18 dst_sel:DWORD dst_unused:UNUSED_PAD src0_sel:BYTE_3 src1_sel:DWORD
	v_or_b32_e32 v5, v5, v31
	v_lshlrev_b32_e32 v4, 8, v4
	v_and_or_b32 v28, v28, s19, v30
	v_and_or_b32 v25, v25, s19, v27
	v_and_b32_sdwa v24, v24, s18 dst_sel:DWORD dst_unused:UNUSED_PAD src0_sel:BYTE_3 src1_sel:DWORD
	v_or3_b32 v5, v5, v4, v28
	v_lshlrev_b32_e32 v4, 24, v26
	v_and_b32_e32 v3, 0x80000000, v3
	v_lshlrev_b32_e32 v25, 16, v25
	v_and_or_b32 v2, v18, s19, v2
	v_lshlrev_b32_e32 v2, 8, v2
	v_or3_b32 v3, v4, v3, v25
	v_and_or_b32 v4, v19, s19, v24
	v_or3_b32 v4, v3, v2, v4
	v_add_u32_e32 v17, 16, v17
	global_store_dwordx2 v[6:7], v[4:5], off
	v_add_co_u32_e32 v6, vcc, 0x80, v6
	v_cmp_ge_i32_e64 s[0:1], v17, v11
	v_add_u32_e32 v14, 0x100, v14
	s_or_b64 s[4:5], s[0:1], s[4:5]
	v_addc_co_u32_e32 v7, vcc, 0, v7, vcc
	s_andn2_b64 exec, exec, s[4:5]
	s_cbranch_execz .LBB29_84
.LBB29_37:                              ; =>This Inner Loop Header: Depth=1
	ds_read_b128 v[2:5], v14
	v_mov_b32_e32 v18, 0x7f
	s_waitcnt lgkmcnt(0)
	v_lshlrev_b32_e32 v19, 16, v2
	v_div_scale_f32 v24, s[0:1], v0, v0, v19
	v_rcp_f32_e32 v25, v24
	v_div_scale_f32 v26, vcc, v19, v0, v19
	v_fma_f32 v27, -v24, v25, 1.0
	v_fmac_f32_e32 v25, v27, v25
	v_mul_f32_e32 v27, v26, v25
	v_fma_f32 v28, -v24, v27, v26
	v_fmac_f32_e32 v27, v28, v25
	v_fma_f32 v24, -v24, v27, v26
	v_div_fmas_f32 v24, v24, v25, v27
	v_div_fixup_f32 v19, v24, v0, v19
	v_max_f32_e32 v19, v19, v15
	v_min_f32_e32 v24, v19, v16
	v_and_b32_e32 v25, 0x7fffffff, v24
	v_cmp_gt_u32_e32 vcc, s14, v25
	v_mov_b32_e32 v19, 0x7f
	s_and_saveexec_b64 s[0:1], vcc
	s_cbranch_execz .LBB29_43
; %bb.38:                               ;   in Loop: Header=BB29_37 Depth=1
	v_cmp_lt_u32_e32 vcc, s15, v25
                                        ; implicit-def: $vgpr19
	s_and_saveexec_b64 s[6:7], vcc
	s_xor_b64 s[6:7], exec, s[6:7]
; %bb.39:                               ;   in Loop: Header=BB29_37 Depth=1
	v_bfe_u32 v19, v24, 20, 1
	v_add3_u32 v19, v24, v19, s16
	v_lshrrev_b32_e32 v19, 20, v19
; %bb.40:                               ;   in Loop: Header=BB29_37 Depth=1
	s_andn2_saveexec_b64 s[6:7], s[6:7]
; %bb.41:                               ;   in Loop: Header=BB29_37 Depth=1
	v_add_f32_e64 v19, |v24|, s17
; %bb.42:                               ;   in Loop: Header=BB29_37 Depth=1
	s_or_b64 exec, exec, s[6:7]
.LBB29_43:                              ;   in Loop: Header=BB29_37 Depth=1
	s_or_b64 exec, exec, s[0:1]
	v_and_b32_e32 v2, 0xffff0000, v2
	v_div_scale_f32 v25, s[0:1], v0, v0, v2
	v_rcp_f32_e32 v26, v25
	v_div_scale_f32 v27, vcc, v2, v0, v2
	v_fma_f32 v28, -v25, v26, 1.0
	v_fmac_f32_e32 v26, v28, v26
	v_mul_f32_e32 v28, v27, v26
	v_fma_f32 v29, -v25, v28, v27
	v_fmac_f32_e32 v28, v29, v26
	v_fma_f32 v25, -v25, v28, v27
	v_div_fmas_f32 v25, v25, v26, v28
	v_div_fixup_f32 v2, v25, v0, v2
	v_max_f32_e32 v2, v2, v15
	v_min_f32_e32 v2, v2, v16
	v_and_b32_e32 v25, 0x7fffffff, v2
	v_cmp_gt_u32_e32 vcc, s14, v25
	s_and_saveexec_b64 s[0:1], vcc
	s_cbranch_execz .LBB29_49
; %bb.44:                               ;   in Loop: Header=BB29_37 Depth=1
	v_cmp_lt_u32_e32 vcc, s15, v25
                                        ; implicit-def: $vgpr18
	s_and_saveexec_b64 s[6:7], vcc
	s_xor_b64 s[6:7], exec, s[6:7]
; %bb.45:                               ;   in Loop: Header=BB29_37 Depth=1
	v_bfe_u32 v18, v2, 20, 1
	v_add3_u32 v18, v2, v18, s16
	v_lshrrev_b32_e32 v18, 20, v18
; %bb.46:                               ;   in Loop: Header=BB29_37 Depth=1
	s_andn2_saveexec_b64 s[6:7], s[6:7]
; %bb.47:                               ;   in Loop: Header=BB29_37 Depth=1
	v_add_f32_e64 v18, |v2|, s17
; %bb.48:                               ;   in Loop: Header=BB29_37 Depth=1
	s_or_b64 exec, exec, s[6:7]
.LBB29_49:                              ;   in Loop: Header=BB29_37 Depth=1
	s_or_b64 exec, exec, s[0:1]
	v_lshlrev_b32_e32 v25, 16, v3
	v_div_scale_f32 v26, s[0:1], v0, v0, v25
	v_rcp_f32_e32 v27, v26
	v_div_scale_f32 v28, vcc, v25, v0, v25
	v_fma_f32 v29, -v26, v27, 1.0
	v_fmac_f32_e32 v27, v29, v27
	v_mul_f32_e32 v29, v28, v27
	v_fma_f32 v30, -v26, v29, v28
	v_fmac_f32_e32 v29, v30, v27
	v_fma_f32 v26, -v26, v29, v28
	v_div_fmas_f32 v26, v26, v27, v29
	v_div_fixup_f32 v25, v26, v0, v25
	v_max_f32_e32 v25, v25, v15
	v_min_f32_e32 v27, v25, v16
	v_and_b32_e32 v28, 0x7fffffff, v27
	v_cmp_gt_u32_e32 vcc, s14, v28
	v_mov_b32_e32 v26, 0x7f
	v_mov_b32_e32 v25, 0x7f
	s_and_saveexec_b64 s[0:1], vcc
	s_cbranch_execz .LBB29_55
; %bb.50:                               ;   in Loop: Header=BB29_37 Depth=1
	v_cmp_lt_u32_e32 vcc, s15, v28
                                        ; implicit-def: $vgpr25
	s_and_saveexec_b64 s[6:7], vcc
	s_xor_b64 s[6:7], exec, s[6:7]
; %bb.51:                               ;   in Loop: Header=BB29_37 Depth=1
	v_bfe_u32 v25, v27, 20, 1
	v_add3_u32 v25, v27, v25, s16
	v_lshrrev_b32_e32 v25, 20, v25
; %bb.52:                               ;   in Loop: Header=BB29_37 Depth=1
	s_andn2_saveexec_b64 s[6:7], s[6:7]
; %bb.53:                               ;   in Loop: Header=BB29_37 Depth=1
	v_add_f32_e64 v25, |v27|, s17
; %bb.54:                               ;   in Loop: Header=BB29_37 Depth=1
	s_or_b64 exec, exec, s[6:7]
.LBB29_55:                              ;   in Loop: Header=BB29_37 Depth=1
	s_or_b64 exec, exec, s[0:1]
	v_and_b32_e32 v3, 0xffff0000, v3
	v_div_scale_f32 v28, s[0:1], v0, v0, v3
	v_rcp_f32_e32 v29, v28
	v_div_scale_f32 v30, vcc, v3, v0, v3
	v_fma_f32 v31, -v28, v29, 1.0
	v_fmac_f32_e32 v29, v31, v29
	v_mul_f32_e32 v31, v30, v29
	v_fma_f32 v32, -v28, v31, v30
	v_fmac_f32_e32 v31, v32, v29
	v_fma_f32 v28, -v28, v31, v30
	v_div_fmas_f32 v28, v28, v29, v31
	v_div_fixup_f32 v3, v28, v0, v3
	v_max_f32_e32 v3, v3, v15
	v_min_f32_e32 v3, v3, v16
	v_and_b32_e32 v28, 0x7fffffff, v3
	v_cmp_gt_u32_e32 vcc, s14, v28
	s_and_saveexec_b64 s[0:1], vcc
	s_cbranch_execz .LBB29_61
; %bb.56:                               ;   in Loop: Header=BB29_37 Depth=1
	v_cmp_lt_u32_e32 vcc, s15, v28
                                        ; implicit-def: $vgpr26
	s_and_saveexec_b64 s[6:7], vcc
	s_xor_b64 s[6:7], exec, s[6:7]
; %bb.57:                               ;   in Loop: Header=BB29_37 Depth=1
	v_bfe_u32 v26, v3, 20, 1
	v_add3_u32 v26, v3, v26, s16
	v_lshrrev_b32_e32 v26, 20, v26
; %bb.58:                               ;   in Loop: Header=BB29_37 Depth=1
	s_andn2_saveexec_b64 s[6:7], s[6:7]
; %bb.59:                               ;   in Loop: Header=BB29_37 Depth=1
	v_add_f32_e64 v26, |v3|, s17
; %bb.60:                               ;   in Loop: Header=BB29_37 Depth=1
	s_or_b64 exec, exec, s[6:7]
.LBB29_61:                              ;   in Loop: Header=BB29_37 Depth=1
	s_or_b64 exec, exec, s[0:1]
	v_lshlrev_b32_e32 v28, 16, v4
	v_div_scale_f32 v29, s[0:1], v0, v0, v28
	v_rcp_f32_e32 v30, v29
	v_div_scale_f32 v31, vcc, v28, v0, v28
	v_fma_f32 v32, -v29, v30, 1.0
	v_fmac_f32_e32 v30, v32, v30
	v_mul_f32_e32 v32, v31, v30
	v_fma_f32 v33, -v29, v32, v31
	v_fmac_f32_e32 v32, v33, v30
	v_fma_f32 v29, -v29, v32, v31
	v_div_fmas_f32 v29, v29, v30, v32
	v_div_fixup_f32 v28, v29, v0, v28
	v_max_f32_e32 v28, v28, v15
	v_min_f32_e32 v30, v28, v16
	v_and_b32_e32 v31, 0x7fffffff, v30
	v_cmp_gt_u32_e32 vcc, s14, v31
	v_mov_b32_e32 v29, 0x7f
	v_mov_b32_e32 v28, 0x7f
	s_and_saveexec_b64 s[0:1], vcc
	s_cbranch_execz .LBB29_67
; %bb.62:                               ;   in Loop: Header=BB29_37 Depth=1
	v_cmp_lt_u32_e32 vcc, s15, v31
                                        ; implicit-def: $vgpr28
	s_and_saveexec_b64 s[6:7], vcc
	s_xor_b64 s[6:7], exec, s[6:7]
; %bb.63:                               ;   in Loop: Header=BB29_37 Depth=1
	v_bfe_u32 v28, v30, 20, 1
	v_add3_u32 v28, v30, v28, s16
	v_lshrrev_b32_e32 v28, 20, v28
; %bb.64:                               ;   in Loop: Header=BB29_37 Depth=1
	s_andn2_saveexec_b64 s[6:7], s[6:7]
; %bb.65:                               ;   in Loop: Header=BB29_37 Depth=1
	v_add_f32_e64 v28, |v30|, s17
; %bb.66:                               ;   in Loop: Header=BB29_37 Depth=1
	s_or_b64 exec, exec, s[6:7]
.LBB29_67:                              ;   in Loop: Header=BB29_37 Depth=1
	s_or_b64 exec, exec, s[0:1]
	v_and_b32_e32 v4, 0xffff0000, v4
	v_div_scale_f32 v31, s[0:1], v0, v0, v4
	v_rcp_f32_e32 v32, v31
	v_div_scale_f32 v33, vcc, v4, v0, v4
	v_fma_f32 v34, -v31, v32, 1.0
	v_fmac_f32_e32 v32, v34, v32
	v_mul_f32_e32 v34, v33, v32
	v_fma_f32 v35, -v31, v34, v33
	v_fmac_f32_e32 v34, v35, v32
	v_fma_f32 v31, -v31, v34, v33
	v_div_fmas_f32 v31, v31, v32, v34
	v_div_fixup_f32 v4, v31, v0, v4
	v_max_f32_e32 v4, v4, v15
	v_min_f32_e32 v4, v4, v16
	v_and_b32_e32 v31, 0x7fffffff, v4
	v_cmp_gt_u32_e32 vcc, s14, v31
	s_and_saveexec_b64 s[0:1], vcc
	s_cbranch_execz .LBB29_73
; %bb.68:                               ;   in Loop: Header=BB29_37 Depth=1
	v_cmp_lt_u32_e32 vcc, s15, v31
                                        ; implicit-def: $vgpr29
	s_and_saveexec_b64 s[6:7], vcc
	s_xor_b64 s[6:7], exec, s[6:7]
; %bb.69:                               ;   in Loop: Header=BB29_37 Depth=1
	v_bfe_u32 v29, v4, 20, 1
	v_add3_u32 v29, v4, v29, s16
	v_lshrrev_b32_e32 v29, 20, v29
; %bb.70:                               ;   in Loop: Header=BB29_37 Depth=1
	s_andn2_saveexec_b64 s[6:7], s[6:7]
; %bb.71:                               ;   in Loop: Header=BB29_37 Depth=1
	v_add_f32_e64 v29, |v4|, s17
; %bb.72:                               ;   in Loop: Header=BB29_37 Depth=1
	s_or_b64 exec, exec, s[6:7]
.LBB29_73:                              ;   in Loop: Header=BB29_37 Depth=1
	s_or_b64 exec, exec, s[0:1]
	v_lshlrev_b32_e32 v31, 16, v5
	v_div_scale_f32 v32, s[0:1], v0, v0, v31
	v_rcp_f32_e32 v33, v32
	v_div_scale_f32 v34, vcc, v31, v0, v31
	v_fma_f32 v35, -v32, v33, 1.0
	v_fmac_f32_e32 v33, v35, v33
	v_mul_f32_e32 v35, v34, v33
	v_fma_f32 v36, -v32, v35, v34
	v_fmac_f32_e32 v35, v36, v33
	v_fma_f32 v32, -v32, v35, v34
	v_div_fmas_f32 v32, v32, v33, v35
	v_div_fixup_f32 v31, v32, v0, v31
	v_max_f32_e32 v31, v31, v15
	v_min_f32_e32 v31, v31, v16
	v_and_b32_e32 v34, 0x7fffffff, v31
	v_cmp_gt_u32_e32 vcc, s14, v34
	v_mov_b32_e32 v33, 0x7f
	v_mov_b32_e32 v32, 0x7f
	s_and_saveexec_b64 s[0:1], vcc
	s_cbranch_execz .LBB29_79
; %bb.74:                               ;   in Loop: Header=BB29_37 Depth=1
	v_cmp_lt_u32_e32 vcc, s15, v34
                                        ; implicit-def: $vgpr32
	s_and_saveexec_b64 s[6:7], vcc
	s_xor_b64 s[6:7], exec, s[6:7]
; %bb.75:                               ;   in Loop: Header=BB29_37 Depth=1
	v_bfe_u32 v32, v31, 20, 1
	v_add3_u32 v32, v31, v32, s16
	v_lshrrev_b32_e32 v32, 20, v32
; %bb.76:                               ;   in Loop: Header=BB29_37 Depth=1
	s_andn2_saveexec_b64 s[6:7], s[6:7]
; %bb.77:                               ;   in Loop: Header=BB29_37 Depth=1
	v_add_f32_e64 v32, |v31|, s17
; %bb.78:                               ;   in Loop: Header=BB29_37 Depth=1
	s_or_b64 exec, exec, s[6:7]
.LBB29_79:                              ;   in Loop: Header=BB29_37 Depth=1
	s_or_b64 exec, exec, s[0:1]
	v_and_b32_e32 v5, 0xffff0000, v5
	v_div_scale_f32 v34, s[0:1], v0, v0, v5
	v_rcp_f32_e32 v35, v34
	v_div_scale_f32 v36, vcc, v5, v0, v5
	v_fma_f32 v37, -v34, v35, 1.0
	v_fmac_f32_e32 v35, v37, v35
	v_mul_f32_e32 v37, v36, v35
	v_fma_f32 v38, -v34, v37, v36
	v_fmac_f32_e32 v37, v38, v35
	v_fma_f32 v34, -v34, v37, v36
	v_div_fmas_f32 v34, v34, v35, v37
	v_div_fixup_f32 v5, v34, v0, v5
	v_max_f32_e32 v5, v5, v15
	v_min_f32_e32 v5, v5, v16
	v_and_b32_e32 v34, 0x7fffffff, v5
	v_cmp_gt_u32_e32 vcc, s14, v34
	s_and_saveexec_b64 s[0:1], vcc
	s_cbranch_execz .LBB29_36
; %bb.80:                               ;   in Loop: Header=BB29_37 Depth=1
	v_cmp_lt_u32_e32 vcc, s15, v34
                                        ; implicit-def: $vgpr33
	s_and_saveexec_b64 s[6:7], vcc
	s_xor_b64 s[6:7], exec, s[6:7]
; %bb.81:                               ;   in Loop: Header=BB29_37 Depth=1
	v_bfe_u32 v33, v5, 20, 1
	v_add3_u32 v33, v5, v33, s16
	v_lshrrev_b32_e32 v33, 20, v33
; %bb.82:                               ;   in Loop: Header=BB29_37 Depth=1
	s_andn2_saveexec_b64 s[6:7], s[6:7]
	s_cbranch_execz .LBB29_35
; %bb.83:                               ;   in Loop: Header=BB29_37 Depth=1
	v_add_f32_e64 v33, |v5|, s17
	s_branch .LBB29_35
.LBB29_84:
	s_or_b64 exec, exec, s[2:3]
	v_lshlrev_b32_e32 v4, 3, v11
	v_add_u32_e32 v2, v4, v8
	v_cmp_lt_i32_e32 vcc, v2, v20
	s_and_saveexec_b64 s[14:15], vcc
	s_cbranch_execz .LBB29_100
; %bb.85:
	v_add_u32_e32 v3, 16, v2
	v_max_i32_e32 v5, v3, v20
	v_xad_u32 v5, v8, -1, v5
	v_sub_u32_e32 v4, v5, v4
	v_cmp_lt_u32_e32 vcc, 47, v4
	s_mov_b64 s[0:1], 0
                                        ; implicit-def: $vgpr24
	s_and_saveexec_b64 s[2:3], vcc
	s_xor_b64 s[16:17], exec, s[2:3]
	s_cbranch_execnz .LBB29_88
; %bb.86:
	s_andn2_saveexec_b64 s[2:3], s[16:17]
	s_cbranch_execnz .LBB29_91
.LBB29_87:
	s_or_b64 exec, exec, s[2:3]
	s_and_b64 exec, exec, s[0:1]
	s_cbranch_execnz .LBB29_92
	s_branch .LBB29_100
.LBB29_88:
	v_lshrrev_b32_e32 v4, 4, v4
	v_lshlrev_b32_e32 v24, 1, v9
	v_lshlrev_b32_e32 v9, 4, v11
	;; [unrolled: 1-line block ×3, first 2 shown]
	v_add_u32_e32 v25, 1, v4
	v_add_co_u32_e32 v27, vcc, v1, v21
	v_add_u32_e32 v5, 48, v2
	v_add_u32_e32 v4, 32, v2
	v_add3_u32 v9, v24, v9, v23
	v_lshlrev_b32_e32 v8, 1, v8
	v_addc_co_u32_e32 v28, vcc, v10, v22, vcc
	v_and_b32_e32 v26, 0x1ffffffc, v25
	s_mov_b32 s0, s10
	s_mov_b32 s1, s10
	;; [unrolled: 1-line block ×8, first 2 shown]
	v_add3_u32 v29, v9, v8, 0
	v_pk_mov_b32 v[10:11], v[4:5], v[4:5] op_sel:[0,1]
	v_mov_b32_e32 v1, v0
	v_mov_b32_e32 v6, v0
	;; [unrolled: 1-line block ×3, first 2 shown]
	s_mov_b64 s[18:19], 0
	v_max_f32_e64 v30, s3, s3
	v_max_f32_e64 v31, s2, s2
	;; [unrolled: 1-line block ×8, first 2 shown]
	s_mov_b32 s22, 0x43f00000
	s_mov_b32 s23, 0x7700000
	;; [unrolled: 1-line block ×4, first 2 shown]
	v_mov_b32_e32 v38, 0x7f
	s_movk_i32 s25, 0x80
	v_mov_b32_e32 v39, v26
	v_pk_mov_b32 v[8:9], v[2:3], v[2:3] op_sel:[0,1]
.LBB29_89:                              ; =>This Inner Loop Header: Depth=1
	ds_read_u16 v40, v29
	ds_read_u16 v41, v29 offset:32
	ds_read_u16 v42, v29 offset:64
	;; [unrolled: 1-line block ×3, first 2 shown]
	v_ashrrev_i32_e32 v3, 31, v11
	v_ashrrev_i32_e32 v15, 31, v10
	v_ashrrev_i32_e32 v5, 31, v9
	v_ashrrev_i32_e32 v17, 31, v8
	v_add_co_u32_e32 v4, vcc, v27, v9
	v_add_co_u32_e64 v14, s[0:1], v27, v10
	v_add_co_u32_e64 v16, s[2:3], v27, v11
	v_add_co_u32_e64 v18, s[4:5], v27, v8
	s_waitcnt lgkmcnt(3)
	v_lshlrev_b32_e32 v40, 16, v40
	v_addc_co_u32_e64 v19, s[4:5], v28, v17, s[4:5]
	v_addc_co_u32_e32 v5, vcc, v28, v5, vcc
	v_addc_co_u32_e64 v15, vcc, v28, v15, s[0:1]
	v_addc_co_u32_e64 v17, vcc, v28, v3, s[2:3]
	s_waitcnt lgkmcnt(0)
	v_lshlrev_b32_e32 v3, 16, v43
	v_lshlrev_b32_e32 v41, 16, v41
	v_div_scale_f32 v43, s[0:1], v0, v0, v40
	v_lshlrev_b32_e32 v42, 16, v42
	v_div_scale_f32 v45, s[0:1], v1, v1, v41
	v_rcp_f32_e32 v50, v43
	v_div_scale_f32 v47, s[2:3], v6, v6, v42
	v_div_scale_f32 v49, s[4:5], v7, v7, v3
	v_rcp_f32_e32 v51, v45
	v_rcp_f32_e32 v52, v47
	;; [unrolled: 1-line block ×3, first 2 shown]
	v_fma_f32 v54, -v43, v50, 1.0
	v_div_scale_f32 v44, vcc, v40, v0, v40
	v_fma_f32 v55, -v45, v51, 1.0
	v_fmac_f32_e32 v50, v54, v50
	v_div_scale_f32 v46, s[0:1], v41, v1, v41
	v_fma_f32 v56, -v47, v52, 1.0
	v_fma_f32 v57, -v49, v53, 1.0
	v_fmac_f32_e32 v51, v55, v51
	v_mul_f32_e32 v54, v44, v50
	v_div_scale_f32 v48, s[2:3], v42, v6, v42
	v_fmac_f32_e32 v52, v56, v52
	v_fmac_f32_e32 v53, v57, v53
	v_mul_f32_e32 v55, v46, v51
	v_fma_f32 v57, -v43, v54, v44
	v_mul_f32_e32 v56, v48, v52
	v_fmac_f32_e32 v54, v57, v50
	v_fma_f32 v57, -v45, v55, v46
	v_fmac_f32_e32 v55, v57, v51
	v_fma_f32 v57, -v47, v56, v48
	v_fmac_f32_e32 v56, v57, v52
	v_div_scale_f32 v57, s[4:5], v3, v7, v3
	v_mul_f32_e32 v58, v57, v53
	v_fma_f32 v43, -v43, v54, v44
	v_fma_f32 v59, -v49, v58, v57
	;; [unrolled: 1-line block ×3, first 2 shown]
	v_div_fmas_f32 v43, v43, v50, v54
	s_mov_b64 vcc, s[0:1]
	v_fmac_f32_e32 v58, v59, v53
	v_fma_f32 v45, -v47, v56, v48
	v_div_fixup_f32 v40, v43, v0, v40
	v_div_fmas_f32 v43, v44, v51, v55
	s_mov_b64 vcc, s[2:3]
	v_fma_f32 v46, -v49, v58, v57
	v_div_fixup_f32 v41, v43, v1, v41
	v_div_fmas_f32 v43, v45, v52, v56
	v_max_f32_e32 v40, v40, v33
	s_mov_b64 vcc, s[4:5]
	v_div_fixup_f32 v42, v43, v6, v42
	v_div_fmas_f32 v43, v46, v53, v58
	v_max_f32_e32 v41, v41, v32
	v_min_f32_e32 v44, v40, v34
	v_div_fixup_f32 v3, v43, v7, v3
	v_max_f32_e32 v42, v42, v31
	v_min_f32_e32 v43, v41, v35
	v_and_b32_e32 v40, 0x7fffffff, v44
	v_bfe_u32 v45, v44, 20, 1
	v_lshrrev_b32_e32 v46, 24, v44
	v_max_f32_e32 v3, v3, v30
	v_min_f32_e32 v47, v42, v36
	v_and_b32_e32 v41, 0x7fffffff, v43
	v_add_u32_e32 v48, 0xc3800000, v40
	v_bfe_u32 v49, v43, 20, 1
	v_add3_u32 v44, v44, v45, s24
	v_min_f32_e32 v3, v3, v37
	v_and_b32_e32 v42, 0x7fffffff, v47
	v_add_u32_e32 v51, 0xc3800000, v41
	v_bfe_u32 v52, v47, 20, 1
	v_add3_u32 v49, v43, v49, s24
	v_lshrrev_b32_e32 v53, 20, v44
	v_pk_add_f32 v[44:45], v[40:41], s[20:21] op_sel_hi:[1,0]
	v_cmp_gt_u32_e32 vcc, s23, v48
	v_lshrrev_b32_e32 v50, 24, v43
	v_lshrrev_b32_e32 v54, 24, v47
	v_and_b32_e32 v43, 0x7fffffff, v3
	v_cndmask_b32_e32 v44, v44, v53, vcc
	v_cmp_gt_u32_e32 vcc, s22, v40
	v_add_u32_e32 v48, 0xc3800000, v42
	v_bfe_u32 v40, v3, 20, 1
	v_add3_u32 v47, v47, v52, s24
	v_lshrrev_b32_e32 v49, 20, v49
	v_cmp_gt_u32_e64 s[0:1], s23, v51
	v_lshrrev_b32_e32 v52, 24, v3
	v_cndmask_b32_e64 v45, v45, v49, s[0:1]
	v_cmp_gt_u32_e64 s[0:1], s22, v41
	v_add_u32_e32 v49, 0xc3800000, v43
	v_add3_u32 v3, v3, v40, s24
	v_lshrrev_b32_e32 v47, 20, v47
	v_pk_add_f32 v[40:41], v[42:43], s[20:21] op_sel_hi:[1,0]
	v_cndmask_b32_e32 v44, v38, v44, vcc
	v_cmp_gt_u32_e32 vcc, s23, v48
	v_cndmask_b32_e32 v40, v40, v47, vcc
	v_cmp_gt_u32_e32 vcc, s22, v42
	v_lshrrev_b32_e32 v3, 20, v3
	v_cndmask_b32_e64 v42, v38, v45, s[0:1]
	v_cmp_gt_u32_e64 s[0:1], s23, v49
	v_cndmask_b32_e64 v3, v41, v3, s[0:1]
	v_cndmask_b32_e32 v40, v38, v40, vcc
	v_cmp_gt_u32_e32 vcc, s22, v43
	v_cndmask_b32_e32 v3, v38, v3, vcc
	v_and_or_b32 v44, v46, s25, v44
	v_and_or_b32 v41, v50, s25, v42
	;; [unrolled: 1-line block ×3, first 2 shown]
	v_add_u32_e32 v39, -4, v39
	global_store_byte v[18:19], v44, off
	v_and_or_b32 v18, v54, s25, v40
	v_lshlrev_b16_e32 v19, 8, v41
	v_lshlrev_b16_e32 v3, 8, v3
	v_cmp_eq_u32_e64 s[6:7], 0, v39
	v_lshrrev_b32_e32 v19, 8, v19
	v_or_b32_sdwa v3, v18, v3 dst_sel:DWORD dst_unused:UNUSED_PAD src0_sel:BYTE_0 src1_sel:DWORD
	v_add_u32_e32 v11, 64, v11
	v_add_u32_e32 v10, 64, v10
	;; [unrolled: 1-line block ×5, first 2 shown]
	s_or_b64 s[18:19], s[6:7], s[18:19]
	global_store_byte v[4:5], v19, off
	global_store_byte v[14:15], v3, off
	v_lshrrev_b32_e32 v3, 8, v3
	global_store_byte v[16:17], v3, off
	s_andn2_b64 exec, exec, s[18:19]
	s_cbranch_execnz .LBB29_89
; %bb.90:
	s_or_b64 exec, exec, s[18:19]
	v_cmp_ne_u32_e32 vcc, v25, v26
	v_lshl_add_u32 v2, v26, 4, v2
	s_and_b64 s[0:1], vcc, exec
                                        ; implicit-def: $vgpr9
	s_andn2_saveexec_b64 s[2:3], s[16:17]
	s_cbranch_execz .LBB29_87
.LBB29_91:
	v_lshlrev_b32_e32 v24, 1, v9
	s_or_b64 s[0:1], s[0:1], exec
	s_or_b64 exec, exec, s[2:3]
	s_and_b64 exec, exec, s[0:1]
	s_cbranch_execz .LBB29_100
.LBB29_92:
	v_add_co_u32_e32 v3, vcc, v21, v12
	v_addc_co_u32_e32 v4, vcc, v22, v13, vcc
	v_ashrrev_i32_e32 v5, 31, v2
	v_add_co_u32_e32 v3, vcc, v3, v2
	v_addc_co_u32_e32 v5, vcc, v4, v5, vcc
	v_lshl_add_u32 v1, v2, 1, v24
	v_mov_b32_e32 v6, s9
	v_add_co_u32_e32 v4, vcc, s8, v3
	v_add3_u32 v1, v1, v23, 0
	v_addc_co_u32_e32 v5, vcc, v6, v5, vcc
	s_mov_b64 s[0:1], 0
	v_max_f32_e64 v3, s10, s10
	v_max_f32_e64 v6, s11, s11
	s_mov_b32 s6, 0x43f00000
	s_mov_b32 s7, 0x3c7fffff
	;; [unrolled: 1-line block ×4, first 2 shown]
	s_movk_i32 s18, 0x80
	s_branch .LBB29_95
.LBB29_93:                              ;   in Loop: Header=BB29_95 Depth=1
	s_or_b64 exec, exec, s[4:5]
.LBB29_94:                              ;   in Loop: Header=BB29_95 Depth=1
	s_or_b64 exec, exec, s[2:3]
	v_lshrrev_b32_e32 v7, 24, v7
	v_add_u32_e32 v2, 16, v2
	v_and_or_b32 v7, v7, s18, v8
	v_cmp_ge_i32_e32 vcc, v2, v20
	global_store_byte v[4:5], v7, off
	s_or_b64 s[0:1], vcc, s[0:1]
	v_add_co_u32_e32 v4, vcc, 16, v4
	v_add_u32_e32 v1, 32, v1
	v_addc_co_u32_e32 v5, vcc, 0, v5, vcc
	s_andn2_b64 exec, exec, s[0:1]
	s_cbranch_execz .LBB29_100
.LBB29_95:                              ; =>This Inner Loop Header: Depth=1
	ds_read_u16 v7, v1
	s_waitcnt lgkmcnt(0)
	v_lshlrev_b32_e32 v7, 16, v7
	v_div_scale_f32 v8, s[2:3], v0, v0, v7
	v_rcp_f32_e32 v9, v8
	v_div_scale_f32 v10, vcc, v7, v0, v7
	v_fma_f32 v11, -v8, v9, 1.0
	v_fmac_f32_e32 v9, v11, v9
	v_mul_f32_e32 v11, v10, v9
	v_fma_f32 v12, -v8, v11, v10
	v_fmac_f32_e32 v11, v12, v9
	v_fma_f32 v8, -v8, v11, v10
	v_div_fmas_f32 v8, v8, v9, v11
	v_div_fixup_f32 v7, v8, v0, v7
	v_max_f32_e32 v7, v7, v3
	v_min_f32_e32 v7, v7, v6
	v_and_b32_e32 v9, 0x7fffffff, v7
	v_cmp_gt_u32_e32 vcc, s6, v9
	v_mov_b32_e32 v8, 0x7f
	s_and_saveexec_b64 s[2:3], vcc
	s_cbranch_execz .LBB29_94
; %bb.96:                               ;   in Loop: Header=BB29_95 Depth=1
	v_cmp_lt_u32_e32 vcc, s7, v9
                                        ; implicit-def: $vgpr8
	s_and_saveexec_b64 s[4:5], vcc
	s_xor_b64 s[4:5], exec, s[4:5]
; %bb.97:                               ;   in Loop: Header=BB29_95 Depth=1
	v_bfe_u32 v8, v7, 20, 1
	v_add3_u32 v8, v7, v8, s16
	v_lshrrev_b32_e32 v8, 20, v8
; %bb.98:                               ;   in Loop: Header=BB29_95 Depth=1
	s_andn2_saveexec_b64 s[4:5], s[4:5]
	s_cbranch_execz .LBB29_93
; %bb.99:                               ;   in Loop: Header=BB29_95 Depth=1
	v_add_f32_e64 v8, |v7|, s17
	s_branch .LBB29_93
.LBB29_100:
	s_or_b64 exec, exec, s[14:15]
                                        ; implicit-def: $vgpr8
                                        ; implicit-def: $vgpr0
                                        ; implicit-def: $vgpr9
                                        ; implicit-def: $vgpr12_vgpr13
.LBB29_101:
	s_andn2_saveexec_b64 s[0:1], s[12:13]
	s_cbranch_execz .LBB29_153
; %bb.102:
	s_ashr_i32 s6, s21, 3
	v_cmp_gt_i32_e32 vcc, s6, v8
	s_and_saveexec_b64 s[0:1], vcc
	s_cbranch_execz .LBB29_153
; %bb.103:
	v_lshlrev_b32_e32 v1, 1, v9
	v_lshlrev_b32_e32 v2, 4, v8
	v_add3_u32 v1, v1, v2, 0
	v_lshlrev_b32_e32 v2, 3, v8
	v_add_co_u32_e32 v2, vcc, v12, v2
	v_addc_co_u32_e32 v3, vcc, 0, v13, vcc
	v_mov_b32_e32 v4, s9
	v_add_co_u32_e32 v6, vcc, s8, v2
	v_addc_co_u32_e32 v7, vcc, v4, v3, vcc
	s_mov_b64 s[2:3], 0
	v_max_f32_e64 v9, s10, s10
	v_max_f32_e64 v10, s11, s11
	s_mov_b32 s7, 0x43f00000
	s_mov_b32 s8, 0x3c7fffff
	;; [unrolled: 1-line block ×4, first 2 shown]
	s_movk_i32 s11, 0x80
	s_movk_i32 s12, 0xff
	s_branch .LBB29_106
.LBB29_104:                             ;   in Loop: Header=BB29_106 Depth=1
	s_or_b64 exec, exec, s[4:5]
.LBB29_105:                             ;   in Loop: Header=BB29_106 Depth=1
	s_or_b64 exec, exec, s[0:1]
	v_and_b32_sdwa v20, v20, s11 dst_sel:DWORD dst_unused:UNUSED_PAD src0_sel:BYTE_3 src1_sel:DWORD
	v_lshrrev_b32_e32 v5, 24, v5
	v_and_b32_sdwa v4, v4, s11 dst_sel:DWORD dst_unused:UNUSED_PAD src0_sel:BYTE_3 src1_sel:DWORD
	v_and_or_b32 v5, v5, s11, v22
	v_and_or_b32 v20, v21, s12, v20
	v_and_b32_sdwa v19, v19, s11 dst_sel:DWORD dst_unused:UNUSED_PAD src0_sel:BYTE_3 src1_sel:DWORD
	v_and_b32_sdwa v16, v16, s11 dst_sel:DWORD dst_unused:UNUSED_PAD src0_sel:BYTE_3 src1_sel:DWORD
	v_lshlrev_b32_e32 v5, 24, v5
	v_lshlrev_b32_e32 v20, 16, v20
	v_and_or_b32 v4, v18, s12, v4
	v_and_b32_sdwa v2, v2, s11 dst_sel:DWORD dst_unused:UNUSED_PAD src0_sel:BYTE_3 src1_sel:DWORD
	v_or_b32_e32 v5, v5, v20
	v_lshlrev_b32_e32 v4, 8, v4
	v_and_or_b32 v17, v17, s12, v19
	v_and_or_b32 v14, v14, s12, v16
	v_and_b32_sdwa v13, v13, s11 dst_sel:DWORD dst_unused:UNUSED_PAD src0_sel:BYTE_3 src1_sel:DWORD
	v_or3_b32 v5, v5, v4, v17
	v_lshlrev_b32_e32 v4, 24, v15
	v_and_b32_e32 v3, 0x80000000, v3
	v_lshlrev_b32_e32 v14, 16, v14
	v_and_or_b32 v2, v11, s12, v2
	v_lshlrev_b32_e32 v2, 8, v2
	v_or3_b32 v3, v4, v3, v14
	v_and_or_b32 v4, v12, s12, v13
	v_or3_b32 v4, v3, v2, v4
	v_add_u32_e32 v8, 16, v8
	global_store_dwordx2 v[6:7], v[4:5], off
	v_add_co_u32_e32 v6, vcc, 0x80, v6
	v_cmp_le_i32_e64 s[0:1], s6, v8
	v_add_u32_e32 v1, 0x100, v1
	s_or_b64 s[2:3], s[0:1], s[2:3]
	v_addc_co_u32_e32 v7, vcc, 0, v7, vcc
	s_andn2_b64 exec, exec, s[2:3]
	s_cbranch_execz .LBB29_153
.LBB29_106:                             ; =>This Inner Loop Header: Depth=1
	ds_read_b128 v[2:5], v1
	v_mov_b32_e32 v11, 0x7f
	s_waitcnt lgkmcnt(0)
	v_lshlrev_b32_e32 v12, 16, v2
	v_div_scale_f32 v13, s[0:1], v0, v0, v12
	v_rcp_f32_e32 v14, v13
	v_div_scale_f32 v15, vcc, v12, v0, v12
	v_fma_f32 v16, -v13, v14, 1.0
	v_fmac_f32_e32 v14, v16, v14
	v_mul_f32_e32 v16, v15, v14
	v_fma_f32 v17, -v13, v16, v15
	v_fmac_f32_e32 v16, v17, v14
	v_fma_f32 v13, -v13, v16, v15
	v_div_fmas_f32 v13, v13, v14, v16
	v_div_fixup_f32 v12, v13, v0, v12
	v_max_f32_e32 v12, v12, v9
	v_min_f32_e32 v13, v12, v10
	v_and_b32_e32 v14, 0x7fffffff, v13
	v_cmp_gt_u32_e32 vcc, s7, v14
	v_mov_b32_e32 v12, 0x7f
	s_and_saveexec_b64 s[0:1], vcc
	s_cbranch_execz .LBB29_112
; %bb.107:                              ;   in Loop: Header=BB29_106 Depth=1
	v_cmp_lt_u32_e32 vcc, s8, v14
                                        ; implicit-def: $vgpr12
	s_and_saveexec_b64 s[4:5], vcc
	s_xor_b64 s[4:5], exec, s[4:5]
; %bb.108:                              ;   in Loop: Header=BB29_106 Depth=1
	v_bfe_u32 v12, v13, 20, 1
	v_add3_u32 v12, v13, v12, s9
	v_lshrrev_b32_e32 v12, 20, v12
; %bb.109:                              ;   in Loop: Header=BB29_106 Depth=1
	s_andn2_saveexec_b64 s[4:5], s[4:5]
; %bb.110:                              ;   in Loop: Header=BB29_106 Depth=1
	v_add_f32_e64 v12, |v13|, s10
; %bb.111:                              ;   in Loop: Header=BB29_106 Depth=1
	s_or_b64 exec, exec, s[4:5]
.LBB29_112:                             ;   in Loop: Header=BB29_106 Depth=1
	s_or_b64 exec, exec, s[0:1]
	v_and_b32_e32 v2, 0xffff0000, v2
	v_div_scale_f32 v14, s[0:1], v0, v0, v2
	v_rcp_f32_e32 v15, v14
	v_div_scale_f32 v16, vcc, v2, v0, v2
	v_fma_f32 v17, -v14, v15, 1.0
	v_fmac_f32_e32 v15, v17, v15
	v_mul_f32_e32 v17, v16, v15
	v_fma_f32 v18, -v14, v17, v16
	v_fmac_f32_e32 v17, v18, v15
	v_fma_f32 v14, -v14, v17, v16
	v_div_fmas_f32 v14, v14, v15, v17
	v_div_fixup_f32 v2, v14, v0, v2
	v_max_f32_e32 v2, v2, v9
	v_min_f32_e32 v2, v2, v10
	v_and_b32_e32 v14, 0x7fffffff, v2
	v_cmp_gt_u32_e32 vcc, s7, v14
	s_and_saveexec_b64 s[0:1], vcc
	s_cbranch_execz .LBB29_118
; %bb.113:                              ;   in Loop: Header=BB29_106 Depth=1
	v_cmp_lt_u32_e32 vcc, s8, v14
                                        ; implicit-def: $vgpr11
	s_and_saveexec_b64 s[4:5], vcc
	s_xor_b64 s[4:5], exec, s[4:5]
; %bb.114:                              ;   in Loop: Header=BB29_106 Depth=1
	v_bfe_u32 v11, v2, 20, 1
	v_add3_u32 v11, v2, v11, s9
	v_lshrrev_b32_e32 v11, 20, v11
; %bb.115:                              ;   in Loop: Header=BB29_106 Depth=1
	s_andn2_saveexec_b64 s[4:5], s[4:5]
; %bb.116:                              ;   in Loop: Header=BB29_106 Depth=1
	v_add_f32_e64 v11, |v2|, s10
; %bb.117:                              ;   in Loop: Header=BB29_106 Depth=1
	s_or_b64 exec, exec, s[4:5]
.LBB29_118:                             ;   in Loop: Header=BB29_106 Depth=1
	s_or_b64 exec, exec, s[0:1]
	v_lshlrev_b32_e32 v14, 16, v3
	v_div_scale_f32 v15, s[0:1], v0, v0, v14
	v_rcp_f32_e32 v16, v15
	v_div_scale_f32 v17, vcc, v14, v0, v14
	v_fma_f32 v18, -v15, v16, 1.0
	v_fmac_f32_e32 v16, v18, v16
	v_mul_f32_e32 v18, v17, v16
	v_fma_f32 v19, -v15, v18, v17
	v_fmac_f32_e32 v18, v19, v16
	v_fma_f32 v15, -v15, v18, v17
	v_div_fmas_f32 v15, v15, v16, v18
	v_div_fixup_f32 v14, v15, v0, v14
	v_max_f32_e32 v14, v14, v9
	v_min_f32_e32 v16, v14, v10
	v_and_b32_e32 v17, 0x7fffffff, v16
	v_cmp_gt_u32_e32 vcc, s7, v17
	v_mov_b32_e32 v15, 0x7f
	v_mov_b32_e32 v14, 0x7f
	s_and_saveexec_b64 s[0:1], vcc
	s_cbranch_execz .LBB29_124
; %bb.119:                              ;   in Loop: Header=BB29_106 Depth=1
	v_cmp_lt_u32_e32 vcc, s8, v17
                                        ; implicit-def: $vgpr14
	s_and_saveexec_b64 s[4:5], vcc
	s_xor_b64 s[4:5], exec, s[4:5]
; %bb.120:                              ;   in Loop: Header=BB29_106 Depth=1
	v_bfe_u32 v14, v16, 20, 1
	v_add3_u32 v14, v16, v14, s9
	v_lshrrev_b32_e32 v14, 20, v14
; %bb.121:                              ;   in Loop: Header=BB29_106 Depth=1
	s_andn2_saveexec_b64 s[4:5], s[4:5]
; %bb.122:                              ;   in Loop: Header=BB29_106 Depth=1
	v_add_f32_e64 v14, |v16|, s10
; %bb.123:                              ;   in Loop: Header=BB29_106 Depth=1
	s_or_b64 exec, exec, s[4:5]
.LBB29_124:                             ;   in Loop: Header=BB29_106 Depth=1
	s_or_b64 exec, exec, s[0:1]
	v_and_b32_e32 v3, 0xffff0000, v3
	v_div_scale_f32 v17, s[0:1], v0, v0, v3
	v_rcp_f32_e32 v18, v17
	v_div_scale_f32 v19, vcc, v3, v0, v3
	v_fma_f32 v20, -v17, v18, 1.0
	v_fmac_f32_e32 v18, v20, v18
	v_mul_f32_e32 v20, v19, v18
	v_fma_f32 v21, -v17, v20, v19
	v_fmac_f32_e32 v20, v21, v18
	v_fma_f32 v17, -v17, v20, v19
	v_div_fmas_f32 v17, v17, v18, v20
	v_div_fixup_f32 v3, v17, v0, v3
	v_max_f32_e32 v3, v3, v9
	v_min_f32_e32 v3, v3, v10
	v_and_b32_e32 v17, 0x7fffffff, v3
	v_cmp_gt_u32_e32 vcc, s7, v17
	s_and_saveexec_b64 s[0:1], vcc
	s_cbranch_execz .LBB29_130
; %bb.125:                              ;   in Loop: Header=BB29_106 Depth=1
	v_cmp_lt_u32_e32 vcc, s8, v17
                                        ; implicit-def: $vgpr15
	s_and_saveexec_b64 s[4:5], vcc
	s_xor_b64 s[4:5], exec, s[4:5]
; %bb.126:                              ;   in Loop: Header=BB29_106 Depth=1
	v_bfe_u32 v15, v3, 20, 1
	v_add3_u32 v15, v3, v15, s9
	v_lshrrev_b32_e32 v15, 20, v15
; %bb.127:                              ;   in Loop: Header=BB29_106 Depth=1
	s_andn2_saveexec_b64 s[4:5], s[4:5]
; %bb.128:                              ;   in Loop: Header=BB29_106 Depth=1
	v_add_f32_e64 v15, |v3|, s10
; %bb.129:                              ;   in Loop: Header=BB29_106 Depth=1
	s_or_b64 exec, exec, s[4:5]
.LBB29_130:                             ;   in Loop: Header=BB29_106 Depth=1
	s_or_b64 exec, exec, s[0:1]
	v_lshlrev_b32_e32 v17, 16, v4
	v_div_scale_f32 v18, s[0:1], v0, v0, v17
	v_rcp_f32_e32 v19, v18
	v_div_scale_f32 v20, vcc, v17, v0, v17
	v_fma_f32 v21, -v18, v19, 1.0
	v_fmac_f32_e32 v19, v21, v19
	v_mul_f32_e32 v21, v20, v19
	v_fma_f32 v22, -v18, v21, v20
	v_fmac_f32_e32 v21, v22, v19
	v_fma_f32 v18, -v18, v21, v20
	v_div_fmas_f32 v18, v18, v19, v21
	v_div_fixup_f32 v17, v18, v0, v17
	v_max_f32_e32 v17, v17, v9
	v_min_f32_e32 v19, v17, v10
	v_and_b32_e32 v20, 0x7fffffff, v19
	v_cmp_gt_u32_e32 vcc, s7, v20
	v_mov_b32_e32 v18, 0x7f
	v_mov_b32_e32 v17, 0x7f
	s_and_saveexec_b64 s[0:1], vcc
	s_cbranch_execz .LBB29_136
; %bb.131:                              ;   in Loop: Header=BB29_106 Depth=1
	v_cmp_lt_u32_e32 vcc, s8, v20
                                        ; implicit-def: $vgpr17
	s_and_saveexec_b64 s[4:5], vcc
	s_xor_b64 s[4:5], exec, s[4:5]
; %bb.132:                              ;   in Loop: Header=BB29_106 Depth=1
	v_bfe_u32 v17, v19, 20, 1
	v_add3_u32 v17, v19, v17, s9
	v_lshrrev_b32_e32 v17, 20, v17
; %bb.133:                              ;   in Loop: Header=BB29_106 Depth=1
	s_andn2_saveexec_b64 s[4:5], s[4:5]
; %bb.134:                              ;   in Loop: Header=BB29_106 Depth=1
	v_add_f32_e64 v17, |v19|, s10
; %bb.135:                              ;   in Loop: Header=BB29_106 Depth=1
	s_or_b64 exec, exec, s[4:5]
.LBB29_136:                             ;   in Loop: Header=BB29_106 Depth=1
	s_or_b64 exec, exec, s[0:1]
	v_and_b32_e32 v4, 0xffff0000, v4
	v_div_scale_f32 v20, s[0:1], v0, v0, v4
	v_rcp_f32_e32 v21, v20
	v_div_scale_f32 v22, vcc, v4, v0, v4
	v_fma_f32 v23, -v20, v21, 1.0
	v_fmac_f32_e32 v21, v23, v21
	v_mul_f32_e32 v23, v22, v21
	v_fma_f32 v24, -v20, v23, v22
	v_fmac_f32_e32 v23, v24, v21
	v_fma_f32 v20, -v20, v23, v22
	v_div_fmas_f32 v20, v20, v21, v23
	v_div_fixup_f32 v4, v20, v0, v4
	v_max_f32_e32 v4, v4, v9
	v_min_f32_e32 v4, v4, v10
	v_and_b32_e32 v20, 0x7fffffff, v4
	v_cmp_gt_u32_e32 vcc, s7, v20
	s_and_saveexec_b64 s[0:1], vcc
	s_cbranch_execz .LBB29_142
; %bb.137:                              ;   in Loop: Header=BB29_106 Depth=1
	v_cmp_lt_u32_e32 vcc, s8, v20
                                        ; implicit-def: $vgpr18
	s_and_saveexec_b64 s[4:5], vcc
	s_xor_b64 s[4:5], exec, s[4:5]
; %bb.138:                              ;   in Loop: Header=BB29_106 Depth=1
	v_bfe_u32 v18, v4, 20, 1
	v_add3_u32 v18, v4, v18, s9
	v_lshrrev_b32_e32 v18, 20, v18
; %bb.139:                              ;   in Loop: Header=BB29_106 Depth=1
	s_andn2_saveexec_b64 s[4:5], s[4:5]
; %bb.140:                              ;   in Loop: Header=BB29_106 Depth=1
	v_add_f32_e64 v18, |v4|, s10
; %bb.141:                              ;   in Loop: Header=BB29_106 Depth=1
	s_or_b64 exec, exec, s[4:5]
.LBB29_142:                             ;   in Loop: Header=BB29_106 Depth=1
	s_or_b64 exec, exec, s[0:1]
	v_lshlrev_b32_e32 v20, 16, v5
	v_div_scale_f32 v21, s[0:1], v0, v0, v20
	v_rcp_f32_e32 v22, v21
	v_div_scale_f32 v23, vcc, v20, v0, v20
	v_fma_f32 v24, -v21, v22, 1.0
	v_fmac_f32_e32 v22, v24, v22
	v_mul_f32_e32 v24, v23, v22
	v_fma_f32 v25, -v21, v24, v23
	v_fmac_f32_e32 v24, v25, v22
	v_fma_f32 v21, -v21, v24, v23
	v_div_fmas_f32 v21, v21, v22, v24
	v_div_fixup_f32 v20, v21, v0, v20
	v_max_f32_e32 v20, v20, v9
	v_min_f32_e32 v20, v20, v10
	v_and_b32_e32 v23, 0x7fffffff, v20
	v_cmp_gt_u32_e32 vcc, s7, v23
	v_mov_b32_e32 v22, 0x7f
	v_mov_b32_e32 v21, 0x7f
	s_and_saveexec_b64 s[0:1], vcc
	s_cbranch_execz .LBB29_148
; %bb.143:                              ;   in Loop: Header=BB29_106 Depth=1
	v_cmp_lt_u32_e32 vcc, s8, v23
                                        ; implicit-def: $vgpr21
	s_and_saveexec_b64 s[4:5], vcc
	s_xor_b64 s[4:5], exec, s[4:5]
; %bb.144:                              ;   in Loop: Header=BB29_106 Depth=1
	v_bfe_u32 v21, v20, 20, 1
	v_add3_u32 v21, v20, v21, s9
	v_lshrrev_b32_e32 v21, 20, v21
; %bb.145:                              ;   in Loop: Header=BB29_106 Depth=1
	s_andn2_saveexec_b64 s[4:5], s[4:5]
; %bb.146:                              ;   in Loop: Header=BB29_106 Depth=1
	v_add_f32_e64 v21, |v20|, s10
; %bb.147:                              ;   in Loop: Header=BB29_106 Depth=1
	s_or_b64 exec, exec, s[4:5]
.LBB29_148:                             ;   in Loop: Header=BB29_106 Depth=1
	s_or_b64 exec, exec, s[0:1]
	v_and_b32_e32 v5, 0xffff0000, v5
	v_div_scale_f32 v23, s[0:1], v0, v0, v5
	v_rcp_f32_e32 v24, v23
	v_div_scale_f32 v25, vcc, v5, v0, v5
	v_fma_f32 v26, -v23, v24, 1.0
	v_fmac_f32_e32 v24, v26, v24
	v_mul_f32_e32 v26, v25, v24
	v_fma_f32 v27, -v23, v26, v25
	v_fmac_f32_e32 v26, v27, v24
	v_fma_f32 v23, -v23, v26, v25
	v_div_fmas_f32 v23, v23, v24, v26
	v_div_fixup_f32 v5, v23, v0, v5
	v_max_f32_e32 v5, v5, v9
	v_min_f32_e32 v5, v5, v10
	v_and_b32_e32 v23, 0x7fffffff, v5
	v_cmp_gt_u32_e32 vcc, s7, v23
	s_and_saveexec_b64 s[0:1], vcc
	s_cbranch_execz .LBB29_105
; %bb.149:                              ;   in Loop: Header=BB29_106 Depth=1
	v_cmp_lt_u32_e32 vcc, s8, v23
                                        ; implicit-def: $vgpr22
	s_and_saveexec_b64 s[4:5], vcc
	s_xor_b64 s[4:5], exec, s[4:5]
; %bb.150:                              ;   in Loop: Header=BB29_106 Depth=1
	v_bfe_u32 v22, v5, 20, 1
	v_add3_u32 v22, v5, v22, s9
	v_lshrrev_b32_e32 v22, 20, v22
; %bb.151:                              ;   in Loop: Header=BB29_106 Depth=1
	s_andn2_saveexec_b64 s[4:5], s[4:5]
	s_cbranch_execz .LBB29_104
; %bb.152:                              ;   in Loop: Header=BB29_106 Depth=1
	v_add_f32_e64 v22, |v5|, s10
	s_branch .LBB29_104
.LBB29_153:
	s_endpgm
	.section	.rodata,"a",@progbits
	.p2align	6, 0x0
	.amdhsa_kernel _Z33per_token_group_quant_8bit_kernelIN3c108BFloat16ENS0_13Float8_e4m3fnELb1ELb0EfEvPKT_PvPT3_iiifffii
		.amdhsa_group_segment_fixed_size 0
		.amdhsa_private_segment_fixed_size 0
		.amdhsa_kernarg_size 56
		.amdhsa_user_sgpr_count 6
		.amdhsa_user_sgpr_private_segment_buffer 1
		.amdhsa_user_sgpr_dispatch_ptr 0
		.amdhsa_user_sgpr_queue_ptr 0
		.amdhsa_user_sgpr_kernarg_segment_ptr 1
		.amdhsa_user_sgpr_dispatch_id 0
		.amdhsa_user_sgpr_flat_scratch_init 0
		.amdhsa_user_sgpr_kernarg_preload_length 0
		.amdhsa_user_sgpr_kernarg_preload_offset 0
		.amdhsa_user_sgpr_private_segment_size 0
		.amdhsa_uses_dynamic_stack 0
		.amdhsa_system_sgpr_private_segment_wavefront_offset 0
		.amdhsa_system_sgpr_workgroup_id_x 1
		.amdhsa_system_sgpr_workgroup_id_y 0
		.amdhsa_system_sgpr_workgroup_id_z 0
		.amdhsa_system_sgpr_workgroup_info 0
		.amdhsa_system_vgpr_workitem_id 0
		.amdhsa_next_free_vgpr 60
		.amdhsa_next_free_sgpr 26
		.amdhsa_accum_offset 60
		.amdhsa_reserve_vcc 1
		.amdhsa_reserve_flat_scratch 0
		.amdhsa_float_round_mode_32 0
		.amdhsa_float_round_mode_16_64 0
		.amdhsa_float_denorm_mode_32 3
		.amdhsa_float_denorm_mode_16_64 3
		.amdhsa_dx10_clamp 1
		.amdhsa_ieee_mode 1
		.amdhsa_fp16_overflow 0
		.amdhsa_tg_split 0
		.amdhsa_exception_fp_ieee_invalid_op 0
		.amdhsa_exception_fp_denorm_src 0
		.amdhsa_exception_fp_ieee_div_zero 0
		.amdhsa_exception_fp_ieee_overflow 0
		.amdhsa_exception_fp_ieee_underflow 0
		.amdhsa_exception_fp_ieee_inexact 0
		.amdhsa_exception_int_div_zero 0
	.end_amdhsa_kernel
	.section	.text._Z33per_token_group_quant_8bit_kernelIN3c108BFloat16ENS0_13Float8_e4m3fnELb1ELb0EfEvPKT_PvPT3_iiifffii,"axG",@progbits,_Z33per_token_group_quant_8bit_kernelIN3c108BFloat16ENS0_13Float8_e4m3fnELb1ELb0EfEvPKT_PvPT3_iiifffii,comdat
.Lfunc_end29:
	.size	_Z33per_token_group_quant_8bit_kernelIN3c108BFloat16ENS0_13Float8_e4m3fnELb1ELb0EfEvPKT_PvPT3_iiifffii, .Lfunc_end29-_Z33per_token_group_quant_8bit_kernelIN3c108BFloat16ENS0_13Float8_e4m3fnELb1ELb0EfEvPKT_PvPT3_iiifffii
                                        ; -- End function
	.section	.AMDGPU.csdata,"",@progbits
; Kernel info:
; codeLenInByte = 7384
; NumSgprs: 30
; NumVgprs: 60
; NumAgprs: 0
; TotalNumVgprs: 60
; ScratchSize: 0
; MemoryBound: 0
; FloatMode: 240
; IeeeMode: 1
; LDSByteSize: 0 bytes/workgroup (compile time only)
; SGPRBlocks: 3
; VGPRBlocks: 7
; NumSGPRsForWavesPerEU: 30
; NumVGPRsForWavesPerEU: 60
; AccumOffset: 60
; Occupancy: 8
; WaveLimiterHint : 0
; COMPUTE_PGM_RSRC2:SCRATCH_EN: 0
; COMPUTE_PGM_RSRC2:USER_SGPR: 6
; COMPUTE_PGM_RSRC2:TRAP_HANDLER: 0
; COMPUTE_PGM_RSRC2:TGID_X_EN: 1
; COMPUTE_PGM_RSRC2:TGID_Y_EN: 0
; COMPUTE_PGM_RSRC2:TGID_Z_EN: 0
; COMPUTE_PGM_RSRC2:TIDIG_COMP_CNT: 0
; COMPUTE_PGM_RSRC3_GFX90A:ACCUM_OFFSET: 14
; COMPUTE_PGM_RSRC3_GFX90A:TG_SPLIT: 0
	.section	.text._Z33per_token_group_quant_8bit_kernelIN3c108BFloat16ENS0_13Float8_e4m3fnELb0ELb1EfEvPKT_PvPT3_iiifffii,"axG",@progbits,_Z33per_token_group_quant_8bit_kernelIN3c108BFloat16ENS0_13Float8_e4m3fnELb0ELb1EfEvPKT_PvPT3_iiifffii,comdat
	.protected	_Z33per_token_group_quant_8bit_kernelIN3c108BFloat16ENS0_13Float8_e4m3fnELb0ELb1EfEvPKT_PvPT3_iiifffii ; -- Begin function _Z33per_token_group_quant_8bit_kernelIN3c108BFloat16ENS0_13Float8_e4m3fnELb0ELb1EfEvPKT_PvPT3_iiifffii
	.globl	_Z33per_token_group_quant_8bit_kernelIN3c108BFloat16ENS0_13Float8_e4m3fnELb0ELb1EfEvPKT_PvPT3_iiifffii
	.p2align	8
	.type	_Z33per_token_group_quant_8bit_kernelIN3c108BFloat16ENS0_13Float8_e4m3fnELb0ELb1EfEvPKT_PvPT3_iiifffii,@function
_Z33per_token_group_quant_8bit_kernelIN3c108BFloat16ENS0_13Float8_e4m3fnELb0ELb1EfEvPKT_PvPT3_iiifffii: ; @_Z33per_token_group_quant_8bit_kernelIN3c108BFloat16ENS0_13Float8_e4m3fnELb0ELb1EfEvPKT_PvPT3_iiifffii
; %bb.0:
	s_load_dword s21, s[4:5], 0x18
	s_load_dwordx4 s[8:11], s[4:5], 0x20
	s_load_dwordx2 s[2:3], s[4:5], 0x0
	v_lshrrev_b32_e32 v4, 4, v0
	v_and_b32_e32 v8, 15, v0
	s_waitcnt lgkmcnt(0)
	s_ashr_i32 s7, s21, 31
	s_mul_i32 s6, s6, s8
	v_add_co_u32_e32 v2, vcc, s6, v4
	v_addc_co_u32_e64 v3, s[0:1], 0, 0, vcc
	v_mul_lo_u32 v0, v3, s21
	v_mul_lo_u32 v1, v2, s7
	v_mad_u64_u32 v[12:13], s[0:1], v2, s21, 0
	v_add3_u32 v13, v13, v1, v0
	v_lshlrev_b64 v[0:1], 1, v[12:13]
	s_and_b32 s6, s21, 7
	v_mov_b32_e32 v6, s3
	v_add_co_u32_e32 v5, vcc, s2, v0
	s_cmp_eq_u32 s6, 0
	v_addc_co_u32_e32 v6, vcc, v6, v1, vcc
	v_mov_b32_e32 v15, 0
	v_and_b32_e32 v14, 15, v5
	s_cselect_b64 s[0:1], -1, 0
	s_cmp_lg_u32 s6, 0
	v_mul_lo_u32 v9, v4, s21
	v_cmp_ne_u64_e32 vcc, 0, v[14:15]
	s_cselect_b64 s[6:7], -1, 0
	v_lshl_add_u32 v11, v9, 1, 0
	s_or_b64 s[6:7], s[6:7], vcc
                                        ; implicit-def: $vgpr10
	s_and_saveexec_b64 s[12:13], s[6:7]
	s_xor_b64 s[6:7], exec, s[12:13]
	s_cbranch_execz .LBB30_12
; %bb.1:
	v_sub_u32_e32 v4, 0, v5
	v_bfe_u32 v4, v4, 1, 3
	v_min_i32_e32 v4, s21, v4
	v_cmp_gt_i32_e32 vcc, v4, v8
	v_mov_b32_e32 v10, s9
	s_and_saveexec_b64 s[12:13], vcc
	s_cbranch_execz .LBB30_3
; %bb.2:
	v_lshlrev_b32_e32 v7, 1, v8
	v_add_co_u32_e32 v14, vcc, v5, v7
	v_addc_co_u32_e32 v15, vcc, 0, v6, vcc
	global_load_ushort v5, v[14:15], off
	v_max_f32_e64 v6, s9, s9
	v_add_u32_e32 v7, v11, v7
	s_waitcnt vmcnt(0)
	v_lshlrev_b32_e32 v10, 16, v5
	v_max_f32_e64 v10, |v10|, |v10|
	v_max_f32_e32 v10, v6, v10
	ds_write_b16 v7, v5
.LBB30_3:
	s_or_b64 exec, exec, s[12:13]
	v_sub_u32_e32 v14, s21, v4
	v_ashrrev_i32_e32 v6, 31, v14
	v_lshrrev_b32_e32 v6, 29, v6
	v_add_u32_e32 v6, v14, v6
	v_ashrrev_i32_e32 v5, 31, v4
	v_ashrrev_i32_e32 v15, 3, v6
	v_cmp_gt_i32_e32 vcc, v15, v8
	v_lshlrev_b32_e32 v16, 1, v4
	v_lshlrev_b64 v[4:5], 1, v[4:5]
	s_and_saveexec_b64 s[12:13], vcc
	s_cbranch_execz .LBB30_7
; %bb.4:
	v_lshlrev_b32_e32 v6, 4, v8
	v_lshl_add_u32 v7, v9, 1, v6
	v_add_co_u32_e32 v6, vcc, v0, v6
	v_add3_u32 v17, v7, v16, 0
	v_addc_co_u32_e32 v7, vcc, 0, v1, vcc
	v_add_co_u32_e32 v6, vcc, v6, v4
	v_addc_co_u32_e32 v7, vcc, v7, v5, vcc
	v_mov_b32_e32 v18, s3
	v_add_co_u32_e32 v6, vcc, s2, v6
	v_addc_co_u32_e32 v7, vcc, v7, v18, vcc
	v_add_co_u32_e32 v6, vcc, 8, v6
	v_addc_co_u32_e32 v7, vcc, 0, v7, vcc
	s_mov_b64 s[14:15], 0
	v_mov_b32_e32 v18, v8
.LBB30_5:                               ; =>This Inner Loop Header: Depth=1
	global_load_dwordx4 v[20:23], v[6:7], off offset:-8
	v_add_co_u32_e32 v6, vcc, 0x100, v6
	v_add_u32_e32 v18, 16, v18
	v_addc_co_u32_e32 v7, vcc, 0, v7, vcc
	v_cmp_ge_i32_e32 vcc, v18, v15
	s_or_b64 s[14:15], vcc, s[14:15]
	s_waitcnt vmcnt(0)
	v_lshlrev_b32_e32 v19, 16, v20
	v_and_b32_e32 v24, 0xffff0000, v20
	v_lshlrev_b32_e32 v25, 16, v21
	v_and_b32_e32 v26, 0xffff0000, v21
	v_max3_f32 v10, v10, |v19|, |v24|
	v_lshlrev_b32_e32 v27, 16, v22
	v_and_b32_e32 v28, 0xffff0000, v22
	v_max3_f32 v10, v10, |v25|, |v26|
	;; [unrolled: 3-line block ×3, first 2 shown]
	ds_write_b128 v17, v[20:23]
	v_add_u32_e32 v17, 0x100, v17
	v_max3_f32 v10, v10, |v29|, |v30|
	s_andn2_b64 exec, exec, s[14:15]
	s_cbranch_execnz .LBB30_5
; %bb.6:
	s_or_b64 exec, exec, s[14:15]
.LBB30_7:
	s_or_b64 exec, exec, s[12:13]
	v_lshl_add_u32 v6, v15, 3, v8
	v_cmp_lt_i32_e32 vcc, v6, v14
	s_and_saveexec_b64 s[12:13], vcc
	s_cbranch_execz .LBB30_11
; %bb.8:
	v_lshlrev_b32_e32 v7, 1, v9
	v_lshlrev_b32_e32 v15, 4, v15
	v_add3_u32 v7, v7, v15, v16
	v_lshlrev_b32_e32 v15, 1, v8
	v_add3_u32 v15, v7, v15, 0
	v_add_co_u32_e32 v4, vcc, v0, v4
	v_ashrrev_i32_e32 v7, 31, v6
	v_addc_co_u32_e32 v5, vcc, v1, v5, vcc
	v_lshlrev_b64 v[0:1], 1, v[6:7]
	v_add_co_u32_e32 v0, vcc, v4, v0
	v_addc_co_u32_e32 v1, vcc, v5, v1, vcc
	v_mov_b32_e32 v4, s3
	v_add_co_u32_e32 v0, vcc, s2, v0
	v_addc_co_u32_e32 v1, vcc, v4, v1, vcc
	s_mov_b64 s[14:15], 0
.LBB30_9:                               ; =>This Inner Loop Header: Depth=1
	global_load_ushort v4, v[0:1], off
	v_add_co_u32_e32 v0, vcc, 32, v0
	v_add_u32_e32 v6, 16, v6
	v_addc_co_u32_e32 v1, vcc, 0, v1, vcc
	v_max_f32_e32 v5, v10, v10
	v_cmp_ge_i32_e32 vcc, v6, v14
	s_or_b64 s[14:15], vcc, s[14:15]
	s_waitcnt vmcnt(0)
	v_lshlrev_b32_e32 v7, 16, v4
	ds_write_b16 v15, v4
	v_max_f32_e64 v4, |v7|, |v7|
	v_add_u32_e32 v15, 32, v15
	v_max_f32_e32 v10, v5, v4
	s_andn2_b64 exec, exec, s[14:15]
	s_cbranch_execnz .LBB30_9
; %bb.10:
	s_or_b64 exec, exec, s[14:15]
.LBB30_11:
	s_or_b64 exec, exec, s[12:13]
                                        ; implicit-def: $vgpr0_vgpr1
.LBB30_12:
	s_andn2_saveexec_b64 s[6:7], s[6:7]
	s_cbranch_execz .LBB30_18
; %bb.13:
	s_ashr_i32 s8, s21, 3
	v_cmp_gt_i32_e32 vcc, s8, v8
	v_mov_b32_e32 v10, s9
	s_and_saveexec_b64 s[12:13], vcc
	s_cbranch_execz .LBB30_17
; %bb.14:
	v_lshlrev_b32_e32 v5, 4, v8
	v_add_co_u32_e32 v0, vcc, v0, v5
	v_lshlrev_b32_e32 v4, 1, v9
	v_addc_co_u32_e32 v1, vcc, 0, v1, vcc
	v_add3_u32 v4, v4, v5, 0
	v_mov_b32_e32 v5, s3
	v_add_co_u32_e32 v0, vcc, s2, v0
	v_addc_co_u32_e32 v1, vcc, v1, v5, vcc
	v_add_co_u32_e32 v0, vcc, 8, v0
	v_addc_co_u32_e32 v1, vcc, 0, v1, vcc
	s_mov_b64 s[2:3], 0
	v_mov_b32_e32 v10, s9
	v_mov_b32_e32 v5, v8
.LBB30_15:                              ; =>This Inner Loop Header: Depth=1
	global_load_dwordx4 v[14:17], v[0:1], off offset:-8
	v_add_co_u32_e32 v0, vcc, 0x100, v0
	v_add_u32_e32 v5, 16, v5
	v_addc_co_u32_e32 v1, vcc, 0, v1, vcc
	v_cmp_le_i32_e32 vcc, s8, v5
	s_or_b64 s[2:3], vcc, s[2:3]
	s_waitcnt vmcnt(0)
	v_lshlrev_b32_e32 v6, 16, v14
	v_and_b32_e32 v7, 0xffff0000, v14
	v_lshlrev_b32_e32 v18, 16, v15
	v_and_b32_e32 v19, 0xffff0000, v15
	v_max3_f32 v6, v10, |v6|, |v7|
	v_lshlrev_b32_e32 v20, 16, v16
	v_and_b32_e32 v21, 0xffff0000, v16
	v_max3_f32 v6, v6, |v18|, |v19|
	;; [unrolled: 3-line block ×3, first 2 shown]
	ds_write_b128 v4, v[14:17]
	v_add_u32_e32 v4, 0x100, v4
	v_max3_f32 v10, v6, |v22|, |v23|
	s_andn2_b64 exec, exec, s[2:3]
	s_cbranch_execnz .LBB30_15
; %bb.16:
	s_or_b64 exec, exec, s[2:3]
.LBB30_17:
	s_or_b64 exec, exec, s[12:13]
.LBB30_18:
	s_or_b64 exec, exec, s[6:7]
	v_mbcnt_lo_u32_b32 v0, -1, 0
	v_mbcnt_hi_u32_b32 v0, -1, v0
	v_and_b32_e32 v4, 0x70, v0
	v_xor_b32_e32 v1, 8, v0
	v_add_u32_e32 v4, 16, v4
	v_cmp_lt_i32_e32 vcc, v1, v4
	v_cndmask_b32_e32 v1, v0, v1, vcc
	v_lshlrev_b32_e32 v1, 2, v1
	ds_bpermute_b32 v1, v1, v10
	v_xor_b32_e32 v6, 4, v0
	v_max_f32_e32 v5, v10, v10
	v_cmp_lt_i32_e32 vcc, v6, v4
	s_load_dwordx2 s[8:9], s[4:5], 0x8
	s_waitcnt lgkmcnt(0)
	v_max_f32_e32 v1, v1, v1
	v_max_f32_e32 v1, v5, v1
	v_cndmask_b32_e32 v5, v0, v6, vcc
	v_lshlrev_b32_e32 v5, 2, v5
	ds_bpermute_b32 v5, v5, v1
	v_xor_b32_e32 v6, 2, v0
	v_cmp_lt_i32_e32 vcc, v6, v4
	s_waitcnt lgkmcnt(0)
	v_max_f32_e32 v5, v5, v5
	v_max_f32_e32 v1, v1, v5
	v_cndmask_b32_e32 v5, v0, v6, vcc
	v_lshlrev_b32_e32 v5, 2, v5
	ds_bpermute_b32 v5, v5, v1
	v_xor_b32_e32 v6, 1, v0
	v_cmp_lt_i32_e32 vcc, v6, v4
	v_cndmask_b32_e32 v0, v0, v6, vcc
	v_lshlrev_b32_e32 v0, 2, v0
	s_waitcnt lgkmcnt(0)
	v_max_f32_e32 v5, v5, v5
	v_max_f32_e32 v1, v1, v5
	ds_bpermute_b32 v0, v0, v1
	s_waitcnt lgkmcnt(0)
	v_max_f32_e32 v0, v0, v0
	v_max_f32_e32 v0, v1, v0
	v_div_scale_f32 v1, s[2:3], s11, s11, v0
	v_rcp_f32_e32 v4, v1
	v_div_scale_f32 v5, vcc, v0, s11, v0
	s_mov_b32 s2, 0x2edbe6ff
	v_fma_f32 v6, -v1, v4, 1.0
	v_fmac_f32_e32 v4, v6, v4
	v_mul_f32_e32 v6, v5, v4
	v_fma_f32 v7, -v1, v6, v5
	v_fmac_f32_e32 v6, v7, v4
	v_fma_f32 v1, -v1, v6, v5
	v_div_fmas_f32 v1, v1, v4, v6
	v_div_fixup_f32 v0, v1, s11, v0
	v_max_f32_e64 v0, |v0|, s2
	s_mov_b32 s2, 0x800000
	v_mov_b32_e32 v1, 0x4f800000
	v_cmp_gt_f32_e32 vcc, s2, v0
	v_cndmask_b32_e32 v1, 1.0, v1, vcc
	v_mul_f32_e32 v0, v0, v1
	v_log_f32_e32 v0, v0
	v_mov_b32_e32 v1, 0x42000000
	v_cndmask_b32_e32 v1, 0, v1, vcc
	s_mov_b32 s2, 0xc2fc0000
	v_sub_f32_e32 v0, v0, v1
	v_ceil_f32_e32 v0, v0
	v_mov_b32_e32 v1, 0x42800000
	v_cmp_gt_f32_e32 vcc, s2, v0
	v_cndmask_b32_e32 v1, 0, v1, vcc
	v_add_f32_e32 v0, v0, v1
	v_exp_f32_e32 v0, v0
	v_mov_b32_e32 v1, 0x1f800000
	v_cndmask_b32_e32 v1, 1.0, v1, vcc
	v_cmp_eq_u32_e32 vcc, 0, v8
	v_mul_f32_e32 v0, v0, v1
	s_and_saveexec_b64 s[2:3], vcc
	s_cbranch_execz .LBB30_20
; %bb.19:
	s_load_dwordx2 s[4:5], s[4:5], 0x10
	v_lshlrev_b64 v[2:3], 2, v[2:3]
	s_waitcnt lgkmcnt(0)
	v_mov_b32_e32 v1, s5
	v_add_co_u32_e32 v2, vcc, s4, v2
	v_addc_co_u32_e32 v3, vcc, v1, v3, vcc
	global_store_dword v[2:3], v0, off
.LBB30_20:
	s_or_b64 exec, exec, s[2:3]
	v_and_b32_e32 v2, 15, v11
	v_mov_b32_e32 v3, 0
	v_cmp_ne_u64_e32 vcc, 0, v[2:3]
	s_xor_b64 s[0:1], s[0:1], -1
	s_or_b64 s[0:1], s[0:1], vcc
	s_barrier
	s_and_saveexec_b64 s[2:3], s[0:1]
	s_xor_b64 s[12:13], exec, s[2:3]
	s_cbranch_execz .LBB30_97
; %bb.21:
	v_mov_b32_e32 v2, s9
	v_add_co_u32_e32 v1, vcc, s8, v12
	v_addc_co_u32_e32 v10, vcc, v2, v13, vcc
	v_sub_u32_e32 v2, 0, v11
	v_bfe_u32 v2, v2, 1, 3
	v_min_i32_e32 v21, s21, v2
	v_cmp_gt_i32_e32 vcc, v21, v8
	s_and_saveexec_b64 s[0:1], vcc
	s_cbranch_execz .LBB30_29
; %bb.22:
	v_lshl_add_u32 v2, v8, 1, v11
	ds_read_u16 v2, v2
	v_max_f32_e64 v3, s10, s10
	v_max_f32_e64 v4, s11, s11
	s_waitcnt lgkmcnt(0)
	v_lshlrev_b32_e32 v2, 16, v2
	v_div_scale_f32 v5, s[2:3], v0, v0, v2
	v_rcp_f32_e32 v6, v5
	v_div_scale_f32 v7, vcc, v2, v0, v2
	s_mov_b32 s2, 0x43f00000
	v_fma_f32 v11, -v5, v6, 1.0
	v_fmac_f32_e32 v6, v11, v6
	v_mul_f32_e32 v11, v7, v6
	v_fma_f32 v14, -v5, v11, v7
	v_fmac_f32_e32 v11, v14, v6
	v_fma_f32 v5, -v5, v11, v7
	v_div_fmas_f32 v5, v5, v6, v11
	v_div_fixup_f32 v2, v5, v0, v2
	v_max_f32_e32 v2, v2, v3
	v_min_f32_e32 v2, v2, v4
	v_and_b32_e32 v4, 0x7fffffff, v2
	v_cmp_gt_u32_e32 vcc, s2, v4
	v_mov_b32_e32 v3, 0x7f
	s_and_saveexec_b64 s[2:3], vcc
	s_cbranch_execz .LBB30_28
; %bb.23:
	s_mov_b32 s4, 0x3c7fffff
	v_cmp_lt_u32_e32 vcc, s4, v4
                                        ; implicit-def: $vgpr3
	s_and_saveexec_b64 s[4:5], vcc
	s_xor_b64 s[4:5], exec, s[4:5]
; %bb.24:
	v_bfe_u32 v3, v2, 20, 1
	s_mov_b32 s6, 0x407ffff
	v_add3_u32 v3, v2, v3, s6
	v_lshrrev_b32_e32 v3, 20, v3
; %bb.25:
	s_andn2_saveexec_b64 s[4:5], s[4:5]
; %bb.26:
	s_mov_b32 s6, 0x46800000
	v_add_f32_e64 v3, |v2|, s6
; %bb.27:
	s_or_b64 exec, exec, s[4:5]
.LBB30_28:
	s_or_b64 exec, exec, s[2:3]
	v_add_co_u32_e32 v4, vcc, v1, v8
	v_lshrrev_b32_e32 v2, 24, v2
	s_movk_i32 s2, 0x80
	v_addc_co_u32_e32 v5, vcc, 0, v10, vcc
	v_and_or_b32 v2, v2, s2, v3
	global_store_byte v[4:5], v2, off
.LBB30_29:
	s_or_b64 exec, exec, s[0:1]
	v_sub_u32_e32 v20, s21, v21
	v_ashrrev_i32_e32 v2, 31, v20
	v_lshrrev_b32_e32 v2, 29, v2
	v_add_u32_e32 v2, v20, v2
	v_ashrrev_i32_e32 v11, 3, v2
	v_ashrrev_i32_e32 v22, 31, v21
	v_cmp_gt_i32_e32 vcc, v11, v8
	v_lshlrev_b32_e32 v23, 1, v21
	s_and_saveexec_b64 s[2:3], vcc
	s_cbranch_execz .LBB30_80
; %bb.30:
	v_lshlrev_b32_e32 v2, 4, v8
	v_lshl_add_u32 v2, v9, 1, v2
	v_lshlrev_b32_e32 v3, 1, v21
	v_add3_u32 v14, v2, v3, 0
	v_add_co_u32_e32 v2, vcc, v21, v12
	v_addc_co_u32_e32 v3, vcc, v22, v13, vcc
	v_lshlrev_b32_e32 v4, 3, v8
	v_add_co_u32_e32 v2, vcc, v2, v4
	v_addc_co_u32_e32 v3, vcc, 0, v3, vcc
	v_mov_b32_e32 v4, s9
	v_add_co_u32_e32 v6, vcc, s8, v2
	v_addc_co_u32_e32 v7, vcc, v4, v3, vcc
	s_mov_b64 s[4:5], 0
	v_max_f32_e64 v15, s10, s10
	v_max_f32_e64 v16, s11, s11
	s_mov_b32 s14, 0x43f00000
	s_mov_b32 s15, 0x3c7fffff
	;; [unrolled: 1-line block ×4, first 2 shown]
	s_movk_i32 s18, 0x80
	s_movk_i32 s19, 0xff
	v_mov_b32_e32 v17, v8
	s_branch .LBB30_33
.LBB30_31:                              ;   in Loop: Header=BB30_33 Depth=1
	s_or_b64 exec, exec, s[6:7]
.LBB30_32:                              ;   in Loop: Header=BB30_33 Depth=1
	s_or_b64 exec, exec, s[0:1]
	v_and_b32_sdwa v31, v31, s18 dst_sel:DWORD dst_unused:UNUSED_PAD src0_sel:BYTE_3 src1_sel:DWORD
	v_lshrrev_b32_e32 v5, 24, v5
	v_and_b32_sdwa v4, v4, s18 dst_sel:DWORD dst_unused:UNUSED_PAD src0_sel:BYTE_3 src1_sel:DWORD
	v_and_or_b32 v5, v5, s18, v33
	v_and_or_b32 v31, v32, s19, v31
	v_and_b32_sdwa v30, v30, s18 dst_sel:DWORD dst_unused:UNUSED_PAD src0_sel:BYTE_3 src1_sel:DWORD
	v_and_b32_sdwa v27, v27, s18 dst_sel:DWORD dst_unused:UNUSED_PAD src0_sel:BYTE_3 src1_sel:DWORD
	v_lshlrev_b32_e32 v5, 24, v5
	v_lshlrev_b32_e32 v31, 16, v31
	v_and_or_b32 v4, v29, s19, v4
	v_and_b32_sdwa v2, v2, s18 dst_sel:DWORD dst_unused:UNUSED_PAD src0_sel:BYTE_3 src1_sel:DWORD
	v_or_b32_e32 v5, v5, v31
	v_lshlrev_b32_e32 v4, 8, v4
	v_and_or_b32 v28, v28, s19, v30
	v_and_or_b32 v25, v25, s19, v27
	v_and_b32_sdwa v24, v24, s18 dst_sel:DWORD dst_unused:UNUSED_PAD src0_sel:BYTE_3 src1_sel:DWORD
	v_or3_b32 v5, v5, v4, v28
	v_lshlrev_b32_e32 v4, 24, v26
	v_and_b32_e32 v3, 0x80000000, v3
	v_lshlrev_b32_e32 v25, 16, v25
	v_and_or_b32 v2, v18, s19, v2
	v_lshlrev_b32_e32 v2, 8, v2
	v_or3_b32 v3, v4, v3, v25
	v_and_or_b32 v4, v19, s19, v24
	v_or3_b32 v4, v3, v2, v4
	v_add_u32_e32 v17, 16, v17
	global_store_dwordx2 v[6:7], v[4:5], off
	v_add_co_u32_e32 v6, vcc, 0x80, v6
	v_cmp_ge_i32_e64 s[0:1], v17, v11
	v_add_u32_e32 v14, 0x100, v14
	s_or_b64 s[4:5], s[0:1], s[4:5]
	v_addc_co_u32_e32 v7, vcc, 0, v7, vcc
	s_andn2_b64 exec, exec, s[4:5]
	s_cbranch_execz .LBB30_80
.LBB30_33:                              ; =>This Inner Loop Header: Depth=1
	ds_read_b128 v[2:5], v14
	v_mov_b32_e32 v18, 0x7f
	s_waitcnt lgkmcnt(0)
	v_lshlrev_b32_e32 v19, 16, v2
	v_div_scale_f32 v24, s[0:1], v0, v0, v19
	v_rcp_f32_e32 v25, v24
	v_div_scale_f32 v26, vcc, v19, v0, v19
	v_fma_f32 v27, -v24, v25, 1.0
	v_fmac_f32_e32 v25, v27, v25
	v_mul_f32_e32 v27, v26, v25
	v_fma_f32 v28, -v24, v27, v26
	v_fmac_f32_e32 v27, v28, v25
	v_fma_f32 v24, -v24, v27, v26
	v_div_fmas_f32 v24, v24, v25, v27
	v_div_fixup_f32 v19, v24, v0, v19
	v_max_f32_e32 v19, v19, v15
	v_min_f32_e32 v24, v19, v16
	v_and_b32_e32 v25, 0x7fffffff, v24
	v_cmp_gt_u32_e32 vcc, s14, v25
	v_mov_b32_e32 v19, 0x7f
	s_and_saveexec_b64 s[0:1], vcc
	s_cbranch_execz .LBB30_39
; %bb.34:                               ;   in Loop: Header=BB30_33 Depth=1
	v_cmp_lt_u32_e32 vcc, s15, v25
                                        ; implicit-def: $vgpr19
	s_and_saveexec_b64 s[6:7], vcc
	s_xor_b64 s[6:7], exec, s[6:7]
; %bb.35:                               ;   in Loop: Header=BB30_33 Depth=1
	v_bfe_u32 v19, v24, 20, 1
	v_add3_u32 v19, v24, v19, s16
	v_lshrrev_b32_e32 v19, 20, v19
; %bb.36:                               ;   in Loop: Header=BB30_33 Depth=1
	s_andn2_saveexec_b64 s[6:7], s[6:7]
; %bb.37:                               ;   in Loop: Header=BB30_33 Depth=1
	v_add_f32_e64 v19, |v24|, s17
; %bb.38:                               ;   in Loop: Header=BB30_33 Depth=1
	s_or_b64 exec, exec, s[6:7]
.LBB30_39:                              ;   in Loop: Header=BB30_33 Depth=1
	s_or_b64 exec, exec, s[0:1]
	v_and_b32_e32 v2, 0xffff0000, v2
	v_div_scale_f32 v25, s[0:1], v0, v0, v2
	v_rcp_f32_e32 v26, v25
	v_div_scale_f32 v27, vcc, v2, v0, v2
	v_fma_f32 v28, -v25, v26, 1.0
	v_fmac_f32_e32 v26, v28, v26
	v_mul_f32_e32 v28, v27, v26
	v_fma_f32 v29, -v25, v28, v27
	v_fmac_f32_e32 v28, v29, v26
	v_fma_f32 v25, -v25, v28, v27
	v_div_fmas_f32 v25, v25, v26, v28
	v_div_fixup_f32 v2, v25, v0, v2
	v_max_f32_e32 v2, v2, v15
	v_min_f32_e32 v2, v2, v16
	v_and_b32_e32 v25, 0x7fffffff, v2
	v_cmp_gt_u32_e32 vcc, s14, v25
	s_and_saveexec_b64 s[0:1], vcc
	s_cbranch_execz .LBB30_45
; %bb.40:                               ;   in Loop: Header=BB30_33 Depth=1
	v_cmp_lt_u32_e32 vcc, s15, v25
                                        ; implicit-def: $vgpr18
	s_and_saveexec_b64 s[6:7], vcc
	s_xor_b64 s[6:7], exec, s[6:7]
; %bb.41:                               ;   in Loop: Header=BB30_33 Depth=1
	v_bfe_u32 v18, v2, 20, 1
	v_add3_u32 v18, v2, v18, s16
	v_lshrrev_b32_e32 v18, 20, v18
; %bb.42:                               ;   in Loop: Header=BB30_33 Depth=1
	s_andn2_saveexec_b64 s[6:7], s[6:7]
; %bb.43:                               ;   in Loop: Header=BB30_33 Depth=1
	v_add_f32_e64 v18, |v2|, s17
; %bb.44:                               ;   in Loop: Header=BB30_33 Depth=1
	s_or_b64 exec, exec, s[6:7]
.LBB30_45:                              ;   in Loop: Header=BB30_33 Depth=1
	s_or_b64 exec, exec, s[0:1]
	v_lshlrev_b32_e32 v25, 16, v3
	v_div_scale_f32 v26, s[0:1], v0, v0, v25
	v_rcp_f32_e32 v27, v26
	v_div_scale_f32 v28, vcc, v25, v0, v25
	v_fma_f32 v29, -v26, v27, 1.0
	v_fmac_f32_e32 v27, v29, v27
	v_mul_f32_e32 v29, v28, v27
	v_fma_f32 v30, -v26, v29, v28
	v_fmac_f32_e32 v29, v30, v27
	v_fma_f32 v26, -v26, v29, v28
	v_div_fmas_f32 v26, v26, v27, v29
	v_div_fixup_f32 v25, v26, v0, v25
	v_max_f32_e32 v25, v25, v15
	v_min_f32_e32 v27, v25, v16
	v_and_b32_e32 v28, 0x7fffffff, v27
	v_cmp_gt_u32_e32 vcc, s14, v28
	v_mov_b32_e32 v26, 0x7f
	v_mov_b32_e32 v25, 0x7f
	s_and_saveexec_b64 s[0:1], vcc
	s_cbranch_execz .LBB30_51
; %bb.46:                               ;   in Loop: Header=BB30_33 Depth=1
	v_cmp_lt_u32_e32 vcc, s15, v28
                                        ; implicit-def: $vgpr25
	s_and_saveexec_b64 s[6:7], vcc
	s_xor_b64 s[6:7], exec, s[6:7]
; %bb.47:                               ;   in Loop: Header=BB30_33 Depth=1
	v_bfe_u32 v25, v27, 20, 1
	v_add3_u32 v25, v27, v25, s16
	v_lshrrev_b32_e32 v25, 20, v25
; %bb.48:                               ;   in Loop: Header=BB30_33 Depth=1
	s_andn2_saveexec_b64 s[6:7], s[6:7]
; %bb.49:                               ;   in Loop: Header=BB30_33 Depth=1
	v_add_f32_e64 v25, |v27|, s17
; %bb.50:                               ;   in Loop: Header=BB30_33 Depth=1
	s_or_b64 exec, exec, s[6:7]
.LBB30_51:                              ;   in Loop: Header=BB30_33 Depth=1
	s_or_b64 exec, exec, s[0:1]
	v_and_b32_e32 v3, 0xffff0000, v3
	v_div_scale_f32 v28, s[0:1], v0, v0, v3
	v_rcp_f32_e32 v29, v28
	v_div_scale_f32 v30, vcc, v3, v0, v3
	v_fma_f32 v31, -v28, v29, 1.0
	v_fmac_f32_e32 v29, v31, v29
	v_mul_f32_e32 v31, v30, v29
	v_fma_f32 v32, -v28, v31, v30
	v_fmac_f32_e32 v31, v32, v29
	v_fma_f32 v28, -v28, v31, v30
	v_div_fmas_f32 v28, v28, v29, v31
	v_div_fixup_f32 v3, v28, v0, v3
	v_max_f32_e32 v3, v3, v15
	v_min_f32_e32 v3, v3, v16
	v_and_b32_e32 v28, 0x7fffffff, v3
	v_cmp_gt_u32_e32 vcc, s14, v28
	s_and_saveexec_b64 s[0:1], vcc
	s_cbranch_execz .LBB30_57
; %bb.52:                               ;   in Loop: Header=BB30_33 Depth=1
	v_cmp_lt_u32_e32 vcc, s15, v28
                                        ; implicit-def: $vgpr26
	s_and_saveexec_b64 s[6:7], vcc
	s_xor_b64 s[6:7], exec, s[6:7]
; %bb.53:                               ;   in Loop: Header=BB30_33 Depth=1
	v_bfe_u32 v26, v3, 20, 1
	v_add3_u32 v26, v3, v26, s16
	v_lshrrev_b32_e32 v26, 20, v26
; %bb.54:                               ;   in Loop: Header=BB30_33 Depth=1
	s_andn2_saveexec_b64 s[6:7], s[6:7]
; %bb.55:                               ;   in Loop: Header=BB30_33 Depth=1
	v_add_f32_e64 v26, |v3|, s17
; %bb.56:                               ;   in Loop: Header=BB30_33 Depth=1
	s_or_b64 exec, exec, s[6:7]
.LBB30_57:                              ;   in Loop: Header=BB30_33 Depth=1
	s_or_b64 exec, exec, s[0:1]
	v_lshlrev_b32_e32 v28, 16, v4
	v_div_scale_f32 v29, s[0:1], v0, v0, v28
	v_rcp_f32_e32 v30, v29
	v_div_scale_f32 v31, vcc, v28, v0, v28
	v_fma_f32 v32, -v29, v30, 1.0
	v_fmac_f32_e32 v30, v32, v30
	v_mul_f32_e32 v32, v31, v30
	v_fma_f32 v33, -v29, v32, v31
	v_fmac_f32_e32 v32, v33, v30
	v_fma_f32 v29, -v29, v32, v31
	v_div_fmas_f32 v29, v29, v30, v32
	v_div_fixup_f32 v28, v29, v0, v28
	v_max_f32_e32 v28, v28, v15
	v_min_f32_e32 v30, v28, v16
	v_and_b32_e32 v31, 0x7fffffff, v30
	v_cmp_gt_u32_e32 vcc, s14, v31
	v_mov_b32_e32 v29, 0x7f
	v_mov_b32_e32 v28, 0x7f
	s_and_saveexec_b64 s[0:1], vcc
	s_cbranch_execz .LBB30_63
; %bb.58:                               ;   in Loop: Header=BB30_33 Depth=1
	v_cmp_lt_u32_e32 vcc, s15, v31
                                        ; implicit-def: $vgpr28
	s_and_saveexec_b64 s[6:7], vcc
	s_xor_b64 s[6:7], exec, s[6:7]
; %bb.59:                               ;   in Loop: Header=BB30_33 Depth=1
	v_bfe_u32 v28, v30, 20, 1
	v_add3_u32 v28, v30, v28, s16
	v_lshrrev_b32_e32 v28, 20, v28
; %bb.60:                               ;   in Loop: Header=BB30_33 Depth=1
	s_andn2_saveexec_b64 s[6:7], s[6:7]
; %bb.61:                               ;   in Loop: Header=BB30_33 Depth=1
	v_add_f32_e64 v28, |v30|, s17
; %bb.62:                               ;   in Loop: Header=BB30_33 Depth=1
	s_or_b64 exec, exec, s[6:7]
.LBB30_63:                              ;   in Loop: Header=BB30_33 Depth=1
	s_or_b64 exec, exec, s[0:1]
	v_and_b32_e32 v4, 0xffff0000, v4
	v_div_scale_f32 v31, s[0:1], v0, v0, v4
	v_rcp_f32_e32 v32, v31
	v_div_scale_f32 v33, vcc, v4, v0, v4
	v_fma_f32 v34, -v31, v32, 1.0
	v_fmac_f32_e32 v32, v34, v32
	v_mul_f32_e32 v34, v33, v32
	v_fma_f32 v35, -v31, v34, v33
	v_fmac_f32_e32 v34, v35, v32
	v_fma_f32 v31, -v31, v34, v33
	v_div_fmas_f32 v31, v31, v32, v34
	v_div_fixup_f32 v4, v31, v0, v4
	v_max_f32_e32 v4, v4, v15
	v_min_f32_e32 v4, v4, v16
	v_and_b32_e32 v31, 0x7fffffff, v4
	v_cmp_gt_u32_e32 vcc, s14, v31
	s_and_saveexec_b64 s[0:1], vcc
	s_cbranch_execz .LBB30_69
; %bb.64:                               ;   in Loop: Header=BB30_33 Depth=1
	v_cmp_lt_u32_e32 vcc, s15, v31
                                        ; implicit-def: $vgpr29
	s_and_saveexec_b64 s[6:7], vcc
	s_xor_b64 s[6:7], exec, s[6:7]
; %bb.65:                               ;   in Loop: Header=BB30_33 Depth=1
	v_bfe_u32 v29, v4, 20, 1
	v_add3_u32 v29, v4, v29, s16
	v_lshrrev_b32_e32 v29, 20, v29
; %bb.66:                               ;   in Loop: Header=BB30_33 Depth=1
	s_andn2_saveexec_b64 s[6:7], s[6:7]
; %bb.67:                               ;   in Loop: Header=BB30_33 Depth=1
	v_add_f32_e64 v29, |v4|, s17
; %bb.68:                               ;   in Loop: Header=BB30_33 Depth=1
	s_or_b64 exec, exec, s[6:7]
.LBB30_69:                              ;   in Loop: Header=BB30_33 Depth=1
	s_or_b64 exec, exec, s[0:1]
	v_lshlrev_b32_e32 v31, 16, v5
	v_div_scale_f32 v32, s[0:1], v0, v0, v31
	v_rcp_f32_e32 v33, v32
	v_div_scale_f32 v34, vcc, v31, v0, v31
	v_fma_f32 v35, -v32, v33, 1.0
	v_fmac_f32_e32 v33, v35, v33
	v_mul_f32_e32 v35, v34, v33
	v_fma_f32 v36, -v32, v35, v34
	v_fmac_f32_e32 v35, v36, v33
	v_fma_f32 v32, -v32, v35, v34
	v_div_fmas_f32 v32, v32, v33, v35
	v_div_fixup_f32 v31, v32, v0, v31
	v_max_f32_e32 v31, v31, v15
	v_min_f32_e32 v31, v31, v16
	v_and_b32_e32 v34, 0x7fffffff, v31
	v_cmp_gt_u32_e32 vcc, s14, v34
	v_mov_b32_e32 v33, 0x7f
	v_mov_b32_e32 v32, 0x7f
	s_and_saveexec_b64 s[0:1], vcc
	s_cbranch_execz .LBB30_75
; %bb.70:                               ;   in Loop: Header=BB30_33 Depth=1
	v_cmp_lt_u32_e32 vcc, s15, v34
                                        ; implicit-def: $vgpr32
	s_and_saveexec_b64 s[6:7], vcc
	s_xor_b64 s[6:7], exec, s[6:7]
; %bb.71:                               ;   in Loop: Header=BB30_33 Depth=1
	v_bfe_u32 v32, v31, 20, 1
	v_add3_u32 v32, v31, v32, s16
	v_lshrrev_b32_e32 v32, 20, v32
; %bb.72:                               ;   in Loop: Header=BB30_33 Depth=1
	s_andn2_saveexec_b64 s[6:7], s[6:7]
; %bb.73:                               ;   in Loop: Header=BB30_33 Depth=1
	v_add_f32_e64 v32, |v31|, s17
; %bb.74:                               ;   in Loop: Header=BB30_33 Depth=1
	s_or_b64 exec, exec, s[6:7]
.LBB30_75:                              ;   in Loop: Header=BB30_33 Depth=1
	s_or_b64 exec, exec, s[0:1]
	v_and_b32_e32 v5, 0xffff0000, v5
	v_div_scale_f32 v34, s[0:1], v0, v0, v5
	v_rcp_f32_e32 v35, v34
	v_div_scale_f32 v36, vcc, v5, v0, v5
	v_fma_f32 v37, -v34, v35, 1.0
	v_fmac_f32_e32 v35, v37, v35
	v_mul_f32_e32 v37, v36, v35
	v_fma_f32 v38, -v34, v37, v36
	v_fmac_f32_e32 v37, v38, v35
	v_fma_f32 v34, -v34, v37, v36
	v_div_fmas_f32 v34, v34, v35, v37
	v_div_fixup_f32 v5, v34, v0, v5
	v_max_f32_e32 v5, v5, v15
	v_min_f32_e32 v5, v5, v16
	v_and_b32_e32 v34, 0x7fffffff, v5
	v_cmp_gt_u32_e32 vcc, s14, v34
	s_and_saveexec_b64 s[0:1], vcc
	s_cbranch_execz .LBB30_32
; %bb.76:                               ;   in Loop: Header=BB30_33 Depth=1
	v_cmp_lt_u32_e32 vcc, s15, v34
                                        ; implicit-def: $vgpr33
	s_and_saveexec_b64 s[6:7], vcc
	s_xor_b64 s[6:7], exec, s[6:7]
; %bb.77:                               ;   in Loop: Header=BB30_33 Depth=1
	v_bfe_u32 v33, v5, 20, 1
	v_add3_u32 v33, v5, v33, s16
	v_lshrrev_b32_e32 v33, 20, v33
; %bb.78:                               ;   in Loop: Header=BB30_33 Depth=1
	s_andn2_saveexec_b64 s[6:7], s[6:7]
	s_cbranch_execz .LBB30_31
; %bb.79:                               ;   in Loop: Header=BB30_33 Depth=1
	v_add_f32_e64 v33, |v5|, s17
	s_branch .LBB30_31
.LBB30_80:
	s_or_b64 exec, exec, s[2:3]
	v_lshlrev_b32_e32 v4, 3, v11
	v_add_u32_e32 v2, v4, v8
	v_cmp_lt_i32_e32 vcc, v2, v20
	s_and_saveexec_b64 s[14:15], vcc
	s_cbranch_execz .LBB30_96
; %bb.81:
	v_add_u32_e32 v3, 16, v2
	v_max_i32_e32 v5, v3, v20
	v_xad_u32 v5, v8, -1, v5
	v_sub_u32_e32 v4, v5, v4
	v_cmp_lt_u32_e32 vcc, 47, v4
	s_mov_b64 s[0:1], 0
                                        ; implicit-def: $vgpr24
	s_and_saveexec_b64 s[2:3], vcc
	s_xor_b64 s[16:17], exec, s[2:3]
	s_cbranch_execnz .LBB30_84
; %bb.82:
	s_andn2_saveexec_b64 s[2:3], s[16:17]
	s_cbranch_execnz .LBB30_87
.LBB30_83:
	s_or_b64 exec, exec, s[2:3]
	s_and_b64 exec, exec, s[0:1]
	s_cbranch_execnz .LBB30_88
	s_branch .LBB30_96
.LBB30_84:
	v_lshrrev_b32_e32 v4, 4, v4
	v_lshlrev_b32_e32 v24, 1, v9
	v_lshlrev_b32_e32 v9, 4, v11
	;; [unrolled: 1-line block ×3, first 2 shown]
	v_add_u32_e32 v25, 1, v4
	v_add_co_u32_e32 v27, vcc, v1, v21
	v_add_u32_e32 v5, 48, v2
	v_add_u32_e32 v4, 32, v2
	v_add3_u32 v9, v24, v9, v23
	v_lshlrev_b32_e32 v8, 1, v8
	v_addc_co_u32_e32 v28, vcc, v10, v22, vcc
	v_and_b32_e32 v26, 0x1ffffffc, v25
	s_mov_b32 s0, s10
	s_mov_b32 s1, s10
	;; [unrolled: 1-line block ×8, first 2 shown]
	v_add3_u32 v29, v9, v8, 0
	v_pk_mov_b32 v[10:11], v[4:5], v[4:5] op_sel:[0,1]
	v_mov_b32_e32 v1, v0
	v_mov_b32_e32 v6, v0
	v_mov_b32_e32 v7, v0
	s_mov_b64 s[18:19], 0
	v_max_f32_e64 v30, s3, s3
	v_max_f32_e64 v31, s2, s2
	;; [unrolled: 1-line block ×8, first 2 shown]
	s_mov_b32 s22, 0x43f00000
	s_mov_b32 s23, 0x7700000
	;; [unrolled: 1-line block ×4, first 2 shown]
	v_mov_b32_e32 v38, 0x7f
	s_movk_i32 s25, 0x80
	v_mov_b32_e32 v39, v26
	v_pk_mov_b32 v[8:9], v[2:3], v[2:3] op_sel:[0,1]
.LBB30_85:                              ; =>This Inner Loop Header: Depth=1
	ds_read_u16 v40, v29
	ds_read_u16 v41, v29 offset:32
	ds_read_u16 v42, v29 offset:64
	;; [unrolled: 1-line block ×3, first 2 shown]
	v_ashrrev_i32_e32 v3, 31, v11
	v_ashrrev_i32_e32 v15, 31, v10
	;; [unrolled: 1-line block ×4, first 2 shown]
	v_add_co_u32_e32 v4, vcc, v27, v9
	v_add_co_u32_e64 v14, s[0:1], v27, v10
	v_add_co_u32_e64 v16, s[2:3], v27, v11
	;; [unrolled: 1-line block ×3, first 2 shown]
	s_waitcnt lgkmcnt(3)
	v_lshlrev_b32_e32 v40, 16, v40
	v_addc_co_u32_e64 v19, s[4:5], v28, v17, s[4:5]
	v_addc_co_u32_e32 v5, vcc, v28, v5, vcc
	v_addc_co_u32_e64 v15, vcc, v28, v15, s[0:1]
	v_addc_co_u32_e64 v17, vcc, v28, v3, s[2:3]
	s_waitcnt lgkmcnt(0)
	v_lshlrev_b32_e32 v3, 16, v43
	v_lshlrev_b32_e32 v41, 16, v41
	v_div_scale_f32 v43, s[0:1], v0, v0, v40
	v_lshlrev_b32_e32 v42, 16, v42
	v_div_scale_f32 v45, s[0:1], v1, v1, v41
	v_rcp_f32_e32 v50, v43
	v_div_scale_f32 v47, s[2:3], v6, v6, v42
	v_div_scale_f32 v49, s[4:5], v7, v7, v3
	v_rcp_f32_e32 v51, v45
	v_rcp_f32_e32 v52, v47
	;; [unrolled: 1-line block ×3, first 2 shown]
	v_fma_f32 v54, -v43, v50, 1.0
	v_div_scale_f32 v44, vcc, v40, v0, v40
	v_fma_f32 v55, -v45, v51, 1.0
	v_fmac_f32_e32 v50, v54, v50
	v_div_scale_f32 v46, s[0:1], v41, v1, v41
	v_fma_f32 v56, -v47, v52, 1.0
	v_fma_f32 v57, -v49, v53, 1.0
	v_fmac_f32_e32 v51, v55, v51
	v_mul_f32_e32 v54, v44, v50
	v_div_scale_f32 v48, s[2:3], v42, v6, v42
	v_fmac_f32_e32 v52, v56, v52
	v_fmac_f32_e32 v53, v57, v53
	v_mul_f32_e32 v55, v46, v51
	v_fma_f32 v57, -v43, v54, v44
	v_mul_f32_e32 v56, v48, v52
	v_fmac_f32_e32 v54, v57, v50
	v_fma_f32 v57, -v45, v55, v46
	v_fmac_f32_e32 v55, v57, v51
	v_fma_f32 v57, -v47, v56, v48
	v_fmac_f32_e32 v56, v57, v52
	v_div_scale_f32 v57, s[4:5], v3, v7, v3
	v_mul_f32_e32 v58, v57, v53
	v_fma_f32 v43, -v43, v54, v44
	v_fma_f32 v59, -v49, v58, v57
	;; [unrolled: 1-line block ×3, first 2 shown]
	v_div_fmas_f32 v43, v43, v50, v54
	s_mov_b64 vcc, s[0:1]
	v_fmac_f32_e32 v58, v59, v53
	v_fma_f32 v45, -v47, v56, v48
	v_div_fixup_f32 v40, v43, v0, v40
	v_div_fmas_f32 v43, v44, v51, v55
	s_mov_b64 vcc, s[2:3]
	v_fma_f32 v46, -v49, v58, v57
	v_div_fixup_f32 v41, v43, v1, v41
	v_div_fmas_f32 v43, v45, v52, v56
	v_max_f32_e32 v40, v40, v33
	s_mov_b64 vcc, s[4:5]
	v_div_fixup_f32 v42, v43, v6, v42
	v_div_fmas_f32 v43, v46, v53, v58
	v_max_f32_e32 v41, v41, v32
	v_min_f32_e32 v44, v40, v34
	v_div_fixup_f32 v3, v43, v7, v3
	v_max_f32_e32 v42, v42, v31
	v_min_f32_e32 v43, v41, v35
	v_and_b32_e32 v40, 0x7fffffff, v44
	v_bfe_u32 v45, v44, 20, 1
	v_lshrrev_b32_e32 v46, 24, v44
	v_max_f32_e32 v3, v3, v30
	v_min_f32_e32 v47, v42, v36
	v_and_b32_e32 v41, 0x7fffffff, v43
	v_add_u32_e32 v48, 0xc3800000, v40
	v_bfe_u32 v49, v43, 20, 1
	v_add3_u32 v44, v44, v45, s24
	v_min_f32_e32 v3, v3, v37
	v_and_b32_e32 v42, 0x7fffffff, v47
	v_add_u32_e32 v51, 0xc3800000, v41
	v_bfe_u32 v52, v47, 20, 1
	v_add3_u32 v49, v43, v49, s24
	v_lshrrev_b32_e32 v53, 20, v44
	v_pk_add_f32 v[44:45], v[40:41], s[20:21] op_sel_hi:[1,0]
	v_cmp_gt_u32_e32 vcc, s23, v48
	v_lshrrev_b32_e32 v50, 24, v43
	v_lshrrev_b32_e32 v54, 24, v47
	v_and_b32_e32 v43, 0x7fffffff, v3
	v_cndmask_b32_e32 v44, v44, v53, vcc
	v_cmp_gt_u32_e32 vcc, s22, v40
	v_add_u32_e32 v48, 0xc3800000, v42
	v_bfe_u32 v40, v3, 20, 1
	v_add3_u32 v47, v47, v52, s24
	v_lshrrev_b32_e32 v49, 20, v49
	v_cmp_gt_u32_e64 s[0:1], s23, v51
	v_lshrrev_b32_e32 v52, 24, v3
	v_cndmask_b32_e64 v45, v45, v49, s[0:1]
	v_cmp_gt_u32_e64 s[0:1], s22, v41
	v_add_u32_e32 v49, 0xc3800000, v43
	v_add3_u32 v3, v3, v40, s24
	v_lshrrev_b32_e32 v47, 20, v47
	v_pk_add_f32 v[40:41], v[42:43], s[20:21] op_sel_hi:[1,0]
	v_cndmask_b32_e32 v44, v38, v44, vcc
	v_cmp_gt_u32_e32 vcc, s23, v48
	v_cndmask_b32_e32 v40, v40, v47, vcc
	v_cmp_gt_u32_e32 vcc, s22, v42
	v_lshrrev_b32_e32 v3, 20, v3
	v_cndmask_b32_e64 v42, v38, v45, s[0:1]
	v_cmp_gt_u32_e64 s[0:1], s23, v49
	v_cndmask_b32_e64 v3, v41, v3, s[0:1]
	v_cndmask_b32_e32 v40, v38, v40, vcc
	v_cmp_gt_u32_e32 vcc, s22, v43
	v_cndmask_b32_e32 v3, v38, v3, vcc
	v_and_or_b32 v44, v46, s25, v44
	v_and_or_b32 v41, v50, s25, v42
	;; [unrolled: 1-line block ×3, first 2 shown]
	v_add_u32_e32 v39, -4, v39
	global_store_byte v[18:19], v44, off
	v_and_or_b32 v18, v54, s25, v40
	v_lshlrev_b16_e32 v19, 8, v41
	v_lshlrev_b16_e32 v3, 8, v3
	v_cmp_eq_u32_e64 s[6:7], 0, v39
	v_lshrrev_b32_e32 v19, 8, v19
	v_or_b32_sdwa v3, v18, v3 dst_sel:DWORD dst_unused:UNUSED_PAD src0_sel:BYTE_0 src1_sel:DWORD
	v_add_u32_e32 v11, 64, v11
	v_add_u32_e32 v10, 64, v10
	;; [unrolled: 1-line block ×5, first 2 shown]
	s_or_b64 s[18:19], s[6:7], s[18:19]
	global_store_byte v[4:5], v19, off
	global_store_byte v[14:15], v3, off
	v_lshrrev_b32_e32 v3, 8, v3
	global_store_byte v[16:17], v3, off
	s_andn2_b64 exec, exec, s[18:19]
	s_cbranch_execnz .LBB30_85
; %bb.86:
	s_or_b64 exec, exec, s[18:19]
	v_cmp_ne_u32_e32 vcc, v25, v26
	v_lshl_add_u32 v2, v26, 4, v2
	s_and_b64 s[0:1], vcc, exec
                                        ; implicit-def: $vgpr9
	s_andn2_saveexec_b64 s[2:3], s[16:17]
	s_cbranch_execz .LBB30_83
.LBB30_87:
	v_lshlrev_b32_e32 v24, 1, v9
	s_or_b64 s[0:1], s[0:1], exec
	s_or_b64 exec, exec, s[2:3]
	s_and_b64 exec, exec, s[0:1]
	s_cbranch_execz .LBB30_96
.LBB30_88:
	v_add_co_u32_e32 v3, vcc, v21, v12
	v_addc_co_u32_e32 v4, vcc, v22, v13, vcc
	v_ashrrev_i32_e32 v5, 31, v2
	v_add_co_u32_e32 v3, vcc, v3, v2
	v_addc_co_u32_e32 v5, vcc, v4, v5, vcc
	v_lshl_add_u32 v1, v2, 1, v24
	v_mov_b32_e32 v6, s9
	v_add_co_u32_e32 v4, vcc, s8, v3
	v_add3_u32 v1, v1, v23, 0
	v_addc_co_u32_e32 v5, vcc, v6, v5, vcc
	s_mov_b64 s[0:1], 0
	v_max_f32_e64 v3, s10, s10
	v_max_f32_e64 v6, s11, s11
	s_mov_b32 s6, 0x43f00000
	s_mov_b32 s7, 0x3c7fffff
	;; [unrolled: 1-line block ×4, first 2 shown]
	s_movk_i32 s18, 0x80
	s_branch .LBB30_91
.LBB30_89:                              ;   in Loop: Header=BB30_91 Depth=1
	s_or_b64 exec, exec, s[4:5]
.LBB30_90:                              ;   in Loop: Header=BB30_91 Depth=1
	s_or_b64 exec, exec, s[2:3]
	v_lshrrev_b32_e32 v7, 24, v7
	v_add_u32_e32 v2, 16, v2
	v_and_or_b32 v7, v7, s18, v8
	v_cmp_ge_i32_e32 vcc, v2, v20
	global_store_byte v[4:5], v7, off
	s_or_b64 s[0:1], vcc, s[0:1]
	v_add_co_u32_e32 v4, vcc, 16, v4
	v_add_u32_e32 v1, 32, v1
	v_addc_co_u32_e32 v5, vcc, 0, v5, vcc
	s_andn2_b64 exec, exec, s[0:1]
	s_cbranch_execz .LBB30_96
.LBB30_91:                              ; =>This Inner Loop Header: Depth=1
	ds_read_u16 v7, v1
	s_waitcnt lgkmcnt(0)
	v_lshlrev_b32_e32 v7, 16, v7
	v_div_scale_f32 v8, s[2:3], v0, v0, v7
	v_rcp_f32_e32 v9, v8
	v_div_scale_f32 v10, vcc, v7, v0, v7
	v_fma_f32 v11, -v8, v9, 1.0
	v_fmac_f32_e32 v9, v11, v9
	v_mul_f32_e32 v11, v10, v9
	v_fma_f32 v12, -v8, v11, v10
	v_fmac_f32_e32 v11, v12, v9
	v_fma_f32 v8, -v8, v11, v10
	v_div_fmas_f32 v8, v8, v9, v11
	v_div_fixup_f32 v7, v8, v0, v7
	v_max_f32_e32 v7, v7, v3
	v_min_f32_e32 v7, v7, v6
	v_and_b32_e32 v9, 0x7fffffff, v7
	v_cmp_gt_u32_e32 vcc, s6, v9
	v_mov_b32_e32 v8, 0x7f
	s_and_saveexec_b64 s[2:3], vcc
	s_cbranch_execz .LBB30_90
; %bb.92:                               ;   in Loop: Header=BB30_91 Depth=1
	v_cmp_lt_u32_e32 vcc, s7, v9
                                        ; implicit-def: $vgpr8
	s_and_saveexec_b64 s[4:5], vcc
	s_xor_b64 s[4:5], exec, s[4:5]
; %bb.93:                               ;   in Loop: Header=BB30_91 Depth=1
	v_bfe_u32 v8, v7, 20, 1
	v_add3_u32 v8, v7, v8, s16
	v_lshrrev_b32_e32 v8, 20, v8
; %bb.94:                               ;   in Loop: Header=BB30_91 Depth=1
	s_andn2_saveexec_b64 s[4:5], s[4:5]
	s_cbranch_execz .LBB30_89
; %bb.95:                               ;   in Loop: Header=BB30_91 Depth=1
	v_add_f32_e64 v8, |v7|, s17
	s_branch .LBB30_89
.LBB30_96:
	s_or_b64 exec, exec, s[14:15]
                                        ; implicit-def: $vgpr8
                                        ; implicit-def: $vgpr0
                                        ; implicit-def: $vgpr9
                                        ; implicit-def: $vgpr12_vgpr13
.LBB30_97:
	s_andn2_saveexec_b64 s[0:1], s[12:13]
	s_cbranch_execz .LBB30_149
; %bb.98:
	s_ashr_i32 s6, s21, 3
	v_cmp_gt_i32_e32 vcc, s6, v8
	s_and_saveexec_b64 s[0:1], vcc
	s_cbranch_execz .LBB30_149
; %bb.99:
	v_lshlrev_b32_e32 v1, 1, v9
	v_lshlrev_b32_e32 v2, 4, v8
	v_add3_u32 v1, v1, v2, 0
	v_lshlrev_b32_e32 v2, 3, v8
	v_add_co_u32_e32 v2, vcc, v12, v2
	v_addc_co_u32_e32 v3, vcc, 0, v13, vcc
	v_mov_b32_e32 v4, s9
	v_add_co_u32_e32 v6, vcc, s8, v2
	v_addc_co_u32_e32 v7, vcc, v4, v3, vcc
	s_mov_b64 s[2:3], 0
	v_max_f32_e64 v9, s10, s10
	v_max_f32_e64 v10, s11, s11
	s_mov_b32 s7, 0x43f00000
	s_mov_b32 s8, 0x3c7fffff
	;; [unrolled: 1-line block ×4, first 2 shown]
	s_movk_i32 s11, 0x80
	s_movk_i32 s12, 0xff
	s_branch .LBB30_102
.LBB30_100:                             ;   in Loop: Header=BB30_102 Depth=1
	s_or_b64 exec, exec, s[4:5]
.LBB30_101:                             ;   in Loop: Header=BB30_102 Depth=1
	s_or_b64 exec, exec, s[0:1]
	v_and_b32_sdwa v20, v20, s11 dst_sel:DWORD dst_unused:UNUSED_PAD src0_sel:BYTE_3 src1_sel:DWORD
	v_lshrrev_b32_e32 v5, 24, v5
	v_and_b32_sdwa v4, v4, s11 dst_sel:DWORD dst_unused:UNUSED_PAD src0_sel:BYTE_3 src1_sel:DWORD
	v_and_or_b32 v5, v5, s11, v22
	v_and_or_b32 v20, v21, s12, v20
	v_and_b32_sdwa v19, v19, s11 dst_sel:DWORD dst_unused:UNUSED_PAD src0_sel:BYTE_3 src1_sel:DWORD
	v_and_b32_sdwa v16, v16, s11 dst_sel:DWORD dst_unused:UNUSED_PAD src0_sel:BYTE_3 src1_sel:DWORD
	v_lshlrev_b32_e32 v5, 24, v5
	v_lshlrev_b32_e32 v20, 16, v20
	v_and_or_b32 v4, v18, s12, v4
	v_and_b32_sdwa v2, v2, s11 dst_sel:DWORD dst_unused:UNUSED_PAD src0_sel:BYTE_3 src1_sel:DWORD
	v_or_b32_e32 v5, v5, v20
	v_lshlrev_b32_e32 v4, 8, v4
	v_and_or_b32 v17, v17, s12, v19
	v_and_or_b32 v14, v14, s12, v16
	v_and_b32_sdwa v13, v13, s11 dst_sel:DWORD dst_unused:UNUSED_PAD src0_sel:BYTE_3 src1_sel:DWORD
	v_or3_b32 v5, v5, v4, v17
	v_lshlrev_b32_e32 v4, 24, v15
	v_and_b32_e32 v3, 0x80000000, v3
	v_lshlrev_b32_e32 v14, 16, v14
	v_and_or_b32 v2, v11, s12, v2
	v_lshlrev_b32_e32 v2, 8, v2
	v_or3_b32 v3, v4, v3, v14
	v_and_or_b32 v4, v12, s12, v13
	v_or3_b32 v4, v3, v2, v4
	v_add_u32_e32 v8, 16, v8
	global_store_dwordx2 v[6:7], v[4:5], off
	v_add_co_u32_e32 v6, vcc, 0x80, v6
	v_cmp_le_i32_e64 s[0:1], s6, v8
	v_add_u32_e32 v1, 0x100, v1
	s_or_b64 s[2:3], s[0:1], s[2:3]
	v_addc_co_u32_e32 v7, vcc, 0, v7, vcc
	s_andn2_b64 exec, exec, s[2:3]
	s_cbranch_execz .LBB30_149
.LBB30_102:                             ; =>This Inner Loop Header: Depth=1
	ds_read_b128 v[2:5], v1
	v_mov_b32_e32 v11, 0x7f
	s_waitcnt lgkmcnt(0)
	v_lshlrev_b32_e32 v12, 16, v2
	v_div_scale_f32 v13, s[0:1], v0, v0, v12
	v_rcp_f32_e32 v14, v13
	v_div_scale_f32 v15, vcc, v12, v0, v12
	v_fma_f32 v16, -v13, v14, 1.0
	v_fmac_f32_e32 v14, v16, v14
	v_mul_f32_e32 v16, v15, v14
	v_fma_f32 v17, -v13, v16, v15
	v_fmac_f32_e32 v16, v17, v14
	v_fma_f32 v13, -v13, v16, v15
	v_div_fmas_f32 v13, v13, v14, v16
	v_div_fixup_f32 v12, v13, v0, v12
	v_max_f32_e32 v12, v12, v9
	v_min_f32_e32 v13, v12, v10
	v_and_b32_e32 v14, 0x7fffffff, v13
	v_cmp_gt_u32_e32 vcc, s7, v14
	v_mov_b32_e32 v12, 0x7f
	s_and_saveexec_b64 s[0:1], vcc
	s_cbranch_execz .LBB30_108
; %bb.103:                              ;   in Loop: Header=BB30_102 Depth=1
	v_cmp_lt_u32_e32 vcc, s8, v14
                                        ; implicit-def: $vgpr12
	s_and_saveexec_b64 s[4:5], vcc
	s_xor_b64 s[4:5], exec, s[4:5]
; %bb.104:                              ;   in Loop: Header=BB30_102 Depth=1
	v_bfe_u32 v12, v13, 20, 1
	v_add3_u32 v12, v13, v12, s9
	v_lshrrev_b32_e32 v12, 20, v12
; %bb.105:                              ;   in Loop: Header=BB30_102 Depth=1
	s_andn2_saveexec_b64 s[4:5], s[4:5]
; %bb.106:                              ;   in Loop: Header=BB30_102 Depth=1
	v_add_f32_e64 v12, |v13|, s10
; %bb.107:                              ;   in Loop: Header=BB30_102 Depth=1
	s_or_b64 exec, exec, s[4:5]
.LBB30_108:                             ;   in Loop: Header=BB30_102 Depth=1
	s_or_b64 exec, exec, s[0:1]
	v_and_b32_e32 v2, 0xffff0000, v2
	v_div_scale_f32 v14, s[0:1], v0, v0, v2
	v_rcp_f32_e32 v15, v14
	v_div_scale_f32 v16, vcc, v2, v0, v2
	v_fma_f32 v17, -v14, v15, 1.0
	v_fmac_f32_e32 v15, v17, v15
	v_mul_f32_e32 v17, v16, v15
	v_fma_f32 v18, -v14, v17, v16
	v_fmac_f32_e32 v17, v18, v15
	v_fma_f32 v14, -v14, v17, v16
	v_div_fmas_f32 v14, v14, v15, v17
	v_div_fixup_f32 v2, v14, v0, v2
	v_max_f32_e32 v2, v2, v9
	v_min_f32_e32 v2, v2, v10
	v_and_b32_e32 v14, 0x7fffffff, v2
	v_cmp_gt_u32_e32 vcc, s7, v14
	s_and_saveexec_b64 s[0:1], vcc
	s_cbranch_execz .LBB30_114
; %bb.109:                              ;   in Loop: Header=BB30_102 Depth=1
	v_cmp_lt_u32_e32 vcc, s8, v14
                                        ; implicit-def: $vgpr11
	s_and_saveexec_b64 s[4:5], vcc
	s_xor_b64 s[4:5], exec, s[4:5]
; %bb.110:                              ;   in Loop: Header=BB30_102 Depth=1
	v_bfe_u32 v11, v2, 20, 1
	v_add3_u32 v11, v2, v11, s9
	v_lshrrev_b32_e32 v11, 20, v11
; %bb.111:                              ;   in Loop: Header=BB30_102 Depth=1
	s_andn2_saveexec_b64 s[4:5], s[4:5]
; %bb.112:                              ;   in Loop: Header=BB30_102 Depth=1
	v_add_f32_e64 v11, |v2|, s10
; %bb.113:                              ;   in Loop: Header=BB30_102 Depth=1
	s_or_b64 exec, exec, s[4:5]
.LBB30_114:                             ;   in Loop: Header=BB30_102 Depth=1
	s_or_b64 exec, exec, s[0:1]
	v_lshlrev_b32_e32 v14, 16, v3
	v_div_scale_f32 v15, s[0:1], v0, v0, v14
	v_rcp_f32_e32 v16, v15
	v_div_scale_f32 v17, vcc, v14, v0, v14
	v_fma_f32 v18, -v15, v16, 1.0
	v_fmac_f32_e32 v16, v18, v16
	v_mul_f32_e32 v18, v17, v16
	v_fma_f32 v19, -v15, v18, v17
	v_fmac_f32_e32 v18, v19, v16
	v_fma_f32 v15, -v15, v18, v17
	v_div_fmas_f32 v15, v15, v16, v18
	v_div_fixup_f32 v14, v15, v0, v14
	v_max_f32_e32 v14, v14, v9
	v_min_f32_e32 v16, v14, v10
	v_and_b32_e32 v17, 0x7fffffff, v16
	v_cmp_gt_u32_e32 vcc, s7, v17
	v_mov_b32_e32 v15, 0x7f
	v_mov_b32_e32 v14, 0x7f
	s_and_saveexec_b64 s[0:1], vcc
	s_cbranch_execz .LBB30_120
; %bb.115:                              ;   in Loop: Header=BB30_102 Depth=1
	v_cmp_lt_u32_e32 vcc, s8, v17
                                        ; implicit-def: $vgpr14
	s_and_saveexec_b64 s[4:5], vcc
	s_xor_b64 s[4:5], exec, s[4:5]
; %bb.116:                              ;   in Loop: Header=BB30_102 Depth=1
	v_bfe_u32 v14, v16, 20, 1
	v_add3_u32 v14, v16, v14, s9
	v_lshrrev_b32_e32 v14, 20, v14
; %bb.117:                              ;   in Loop: Header=BB30_102 Depth=1
	s_andn2_saveexec_b64 s[4:5], s[4:5]
; %bb.118:                              ;   in Loop: Header=BB30_102 Depth=1
	v_add_f32_e64 v14, |v16|, s10
; %bb.119:                              ;   in Loop: Header=BB30_102 Depth=1
	s_or_b64 exec, exec, s[4:5]
.LBB30_120:                             ;   in Loop: Header=BB30_102 Depth=1
	s_or_b64 exec, exec, s[0:1]
	v_and_b32_e32 v3, 0xffff0000, v3
	v_div_scale_f32 v17, s[0:1], v0, v0, v3
	v_rcp_f32_e32 v18, v17
	v_div_scale_f32 v19, vcc, v3, v0, v3
	v_fma_f32 v20, -v17, v18, 1.0
	v_fmac_f32_e32 v18, v20, v18
	v_mul_f32_e32 v20, v19, v18
	v_fma_f32 v21, -v17, v20, v19
	v_fmac_f32_e32 v20, v21, v18
	v_fma_f32 v17, -v17, v20, v19
	v_div_fmas_f32 v17, v17, v18, v20
	v_div_fixup_f32 v3, v17, v0, v3
	v_max_f32_e32 v3, v3, v9
	v_min_f32_e32 v3, v3, v10
	v_and_b32_e32 v17, 0x7fffffff, v3
	v_cmp_gt_u32_e32 vcc, s7, v17
	s_and_saveexec_b64 s[0:1], vcc
	s_cbranch_execz .LBB30_126
; %bb.121:                              ;   in Loop: Header=BB30_102 Depth=1
	v_cmp_lt_u32_e32 vcc, s8, v17
                                        ; implicit-def: $vgpr15
	s_and_saveexec_b64 s[4:5], vcc
	s_xor_b64 s[4:5], exec, s[4:5]
; %bb.122:                              ;   in Loop: Header=BB30_102 Depth=1
	v_bfe_u32 v15, v3, 20, 1
	v_add3_u32 v15, v3, v15, s9
	v_lshrrev_b32_e32 v15, 20, v15
; %bb.123:                              ;   in Loop: Header=BB30_102 Depth=1
	s_andn2_saveexec_b64 s[4:5], s[4:5]
; %bb.124:                              ;   in Loop: Header=BB30_102 Depth=1
	v_add_f32_e64 v15, |v3|, s10
; %bb.125:                              ;   in Loop: Header=BB30_102 Depth=1
	s_or_b64 exec, exec, s[4:5]
.LBB30_126:                             ;   in Loop: Header=BB30_102 Depth=1
	s_or_b64 exec, exec, s[0:1]
	v_lshlrev_b32_e32 v17, 16, v4
	v_div_scale_f32 v18, s[0:1], v0, v0, v17
	v_rcp_f32_e32 v19, v18
	v_div_scale_f32 v20, vcc, v17, v0, v17
	v_fma_f32 v21, -v18, v19, 1.0
	v_fmac_f32_e32 v19, v21, v19
	v_mul_f32_e32 v21, v20, v19
	v_fma_f32 v22, -v18, v21, v20
	v_fmac_f32_e32 v21, v22, v19
	v_fma_f32 v18, -v18, v21, v20
	v_div_fmas_f32 v18, v18, v19, v21
	v_div_fixup_f32 v17, v18, v0, v17
	v_max_f32_e32 v17, v17, v9
	v_min_f32_e32 v19, v17, v10
	v_and_b32_e32 v20, 0x7fffffff, v19
	v_cmp_gt_u32_e32 vcc, s7, v20
	v_mov_b32_e32 v18, 0x7f
	v_mov_b32_e32 v17, 0x7f
	s_and_saveexec_b64 s[0:1], vcc
	s_cbranch_execz .LBB30_132
; %bb.127:                              ;   in Loop: Header=BB30_102 Depth=1
	v_cmp_lt_u32_e32 vcc, s8, v20
                                        ; implicit-def: $vgpr17
	s_and_saveexec_b64 s[4:5], vcc
	s_xor_b64 s[4:5], exec, s[4:5]
; %bb.128:                              ;   in Loop: Header=BB30_102 Depth=1
	v_bfe_u32 v17, v19, 20, 1
	v_add3_u32 v17, v19, v17, s9
	v_lshrrev_b32_e32 v17, 20, v17
; %bb.129:                              ;   in Loop: Header=BB30_102 Depth=1
	s_andn2_saveexec_b64 s[4:5], s[4:5]
; %bb.130:                              ;   in Loop: Header=BB30_102 Depth=1
	v_add_f32_e64 v17, |v19|, s10
; %bb.131:                              ;   in Loop: Header=BB30_102 Depth=1
	s_or_b64 exec, exec, s[4:5]
.LBB30_132:                             ;   in Loop: Header=BB30_102 Depth=1
	s_or_b64 exec, exec, s[0:1]
	v_and_b32_e32 v4, 0xffff0000, v4
	v_div_scale_f32 v20, s[0:1], v0, v0, v4
	v_rcp_f32_e32 v21, v20
	v_div_scale_f32 v22, vcc, v4, v0, v4
	v_fma_f32 v23, -v20, v21, 1.0
	v_fmac_f32_e32 v21, v23, v21
	v_mul_f32_e32 v23, v22, v21
	v_fma_f32 v24, -v20, v23, v22
	v_fmac_f32_e32 v23, v24, v21
	v_fma_f32 v20, -v20, v23, v22
	v_div_fmas_f32 v20, v20, v21, v23
	v_div_fixup_f32 v4, v20, v0, v4
	v_max_f32_e32 v4, v4, v9
	v_min_f32_e32 v4, v4, v10
	v_and_b32_e32 v20, 0x7fffffff, v4
	v_cmp_gt_u32_e32 vcc, s7, v20
	s_and_saveexec_b64 s[0:1], vcc
	s_cbranch_execz .LBB30_138
; %bb.133:                              ;   in Loop: Header=BB30_102 Depth=1
	v_cmp_lt_u32_e32 vcc, s8, v20
                                        ; implicit-def: $vgpr18
	s_and_saveexec_b64 s[4:5], vcc
	s_xor_b64 s[4:5], exec, s[4:5]
; %bb.134:                              ;   in Loop: Header=BB30_102 Depth=1
	v_bfe_u32 v18, v4, 20, 1
	v_add3_u32 v18, v4, v18, s9
	v_lshrrev_b32_e32 v18, 20, v18
; %bb.135:                              ;   in Loop: Header=BB30_102 Depth=1
	s_andn2_saveexec_b64 s[4:5], s[4:5]
; %bb.136:                              ;   in Loop: Header=BB30_102 Depth=1
	v_add_f32_e64 v18, |v4|, s10
; %bb.137:                              ;   in Loop: Header=BB30_102 Depth=1
	s_or_b64 exec, exec, s[4:5]
.LBB30_138:                             ;   in Loop: Header=BB30_102 Depth=1
	s_or_b64 exec, exec, s[0:1]
	v_lshlrev_b32_e32 v20, 16, v5
	v_div_scale_f32 v21, s[0:1], v0, v0, v20
	v_rcp_f32_e32 v22, v21
	v_div_scale_f32 v23, vcc, v20, v0, v20
	v_fma_f32 v24, -v21, v22, 1.0
	v_fmac_f32_e32 v22, v24, v22
	v_mul_f32_e32 v24, v23, v22
	v_fma_f32 v25, -v21, v24, v23
	v_fmac_f32_e32 v24, v25, v22
	v_fma_f32 v21, -v21, v24, v23
	v_div_fmas_f32 v21, v21, v22, v24
	v_div_fixup_f32 v20, v21, v0, v20
	v_max_f32_e32 v20, v20, v9
	v_min_f32_e32 v20, v20, v10
	v_and_b32_e32 v23, 0x7fffffff, v20
	v_cmp_gt_u32_e32 vcc, s7, v23
	v_mov_b32_e32 v22, 0x7f
	v_mov_b32_e32 v21, 0x7f
	s_and_saveexec_b64 s[0:1], vcc
	s_cbranch_execz .LBB30_144
; %bb.139:                              ;   in Loop: Header=BB30_102 Depth=1
	v_cmp_lt_u32_e32 vcc, s8, v23
                                        ; implicit-def: $vgpr21
	s_and_saveexec_b64 s[4:5], vcc
	s_xor_b64 s[4:5], exec, s[4:5]
; %bb.140:                              ;   in Loop: Header=BB30_102 Depth=1
	v_bfe_u32 v21, v20, 20, 1
	v_add3_u32 v21, v20, v21, s9
	v_lshrrev_b32_e32 v21, 20, v21
; %bb.141:                              ;   in Loop: Header=BB30_102 Depth=1
	s_andn2_saveexec_b64 s[4:5], s[4:5]
; %bb.142:                              ;   in Loop: Header=BB30_102 Depth=1
	v_add_f32_e64 v21, |v20|, s10
; %bb.143:                              ;   in Loop: Header=BB30_102 Depth=1
	s_or_b64 exec, exec, s[4:5]
.LBB30_144:                             ;   in Loop: Header=BB30_102 Depth=1
	s_or_b64 exec, exec, s[0:1]
	v_and_b32_e32 v5, 0xffff0000, v5
	v_div_scale_f32 v23, s[0:1], v0, v0, v5
	v_rcp_f32_e32 v24, v23
	v_div_scale_f32 v25, vcc, v5, v0, v5
	v_fma_f32 v26, -v23, v24, 1.0
	v_fmac_f32_e32 v24, v26, v24
	v_mul_f32_e32 v26, v25, v24
	v_fma_f32 v27, -v23, v26, v25
	v_fmac_f32_e32 v26, v27, v24
	v_fma_f32 v23, -v23, v26, v25
	v_div_fmas_f32 v23, v23, v24, v26
	v_div_fixup_f32 v5, v23, v0, v5
	v_max_f32_e32 v5, v5, v9
	v_min_f32_e32 v5, v5, v10
	v_and_b32_e32 v23, 0x7fffffff, v5
	v_cmp_gt_u32_e32 vcc, s7, v23
	s_and_saveexec_b64 s[0:1], vcc
	s_cbranch_execz .LBB30_101
; %bb.145:                              ;   in Loop: Header=BB30_102 Depth=1
	v_cmp_lt_u32_e32 vcc, s8, v23
                                        ; implicit-def: $vgpr22
	s_and_saveexec_b64 s[4:5], vcc
	s_xor_b64 s[4:5], exec, s[4:5]
; %bb.146:                              ;   in Loop: Header=BB30_102 Depth=1
	v_bfe_u32 v22, v5, 20, 1
	v_add3_u32 v22, v5, v22, s9
	v_lshrrev_b32_e32 v22, 20, v22
; %bb.147:                              ;   in Loop: Header=BB30_102 Depth=1
	s_andn2_saveexec_b64 s[4:5], s[4:5]
	s_cbranch_execz .LBB30_100
; %bb.148:                              ;   in Loop: Header=BB30_102 Depth=1
	v_add_f32_e64 v22, |v5|, s10
	s_branch .LBB30_100
.LBB30_149:
	s_endpgm
	.section	.rodata,"a",@progbits
	.p2align	6, 0x0
	.amdhsa_kernel _Z33per_token_group_quant_8bit_kernelIN3c108BFloat16ENS0_13Float8_e4m3fnELb0ELb1EfEvPKT_PvPT3_iiifffii
		.amdhsa_group_segment_fixed_size 0
		.amdhsa_private_segment_fixed_size 0
		.amdhsa_kernarg_size 56
		.amdhsa_user_sgpr_count 6
		.amdhsa_user_sgpr_private_segment_buffer 1
		.amdhsa_user_sgpr_dispatch_ptr 0
		.amdhsa_user_sgpr_queue_ptr 0
		.amdhsa_user_sgpr_kernarg_segment_ptr 1
		.amdhsa_user_sgpr_dispatch_id 0
		.amdhsa_user_sgpr_flat_scratch_init 0
		.amdhsa_user_sgpr_kernarg_preload_length 0
		.amdhsa_user_sgpr_kernarg_preload_offset 0
		.amdhsa_user_sgpr_private_segment_size 0
		.amdhsa_uses_dynamic_stack 0
		.amdhsa_system_sgpr_private_segment_wavefront_offset 0
		.amdhsa_system_sgpr_workgroup_id_x 1
		.amdhsa_system_sgpr_workgroup_id_y 0
		.amdhsa_system_sgpr_workgroup_id_z 0
		.amdhsa_system_sgpr_workgroup_info 0
		.amdhsa_system_vgpr_workitem_id 0
		.amdhsa_next_free_vgpr 60
		.amdhsa_next_free_sgpr 26
		.amdhsa_accum_offset 60
		.amdhsa_reserve_vcc 1
		.amdhsa_reserve_flat_scratch 0
		.amdhsa_float_round_mode_32 0
		.amdhsa_float_round_mode_16_64 0
		.amdhsa_float_denorm_mode_32 3
		.amdhsa_float_denorm_mode_16_64 3
		.amdhsa_dx10_clamp 1
		.amdhsa_ieee_mode 1
		.amdhsa_fp16_overflow 0
		.amdhsa_tg_split 0
		.amdhsa_exception_fp_ieee_invalid_op 0
		.amdhsa_exception_fp_denorm_src 0
		.amdhsa_exception_fp_ieee_div_zero 0
		.amdhsa_exception_fp_ieee_overflow 0
		.amdhsa_exception_fp_ieee_underflow 0
		.amdhsa_exception_fp_ieee_inexact 0
		.amdhsa_exception_int_div_zero 0
	.end_amdhsa_kernel
	.section	.text._Z33per_token_group_quant_8bit_kernelIN3c108BFloat16ENS0_13Float8_e4m3fnELb0ELb1EfEvPKT_PvPT3_iiifffii,"axG",@progbits,_Z33per_token_group_quant_8bit_kernelIN3c108BFloat16ENS0_13Float8_e4m3fnELb0ELb1EfEvPKT_PvPT3_iiifffii,comdat
.Lfunc_end30:
	.size	_Z33per_token_group_quant_8bit_kernelIN3c108BFloat16ENS0_13Float8_e4m3fnELb0ELb1EfEvPKT_PvPT3_iiifffii, .Lfunc_end30-_Z33per_token_group_quant_8bit_kernelIN3c108BFloat16ENS0_13Float8_e4m3fnELb0ELb1EfEvPKT_PvPT3_iiifffii
                                        ; -- End function
	.section	.AMDGPU.csdata,"",@progbits
; Kernel info:
; codeLenInByte = 6724
; NumSgprs: 30
; NumVgprs: 60
; NumAgprs: 0
; TotalNumVgprs: 60
; ScratchSize: 0
; MemoryBound: 0
; FloatMode: 240
; IeeeMode: 1
; LDSByteSize: 0 bytes/workgroup (compile time only)
; SGPRBlocks: 3
; VGPRBlocks: 7
; NumSGPRsForWavesPerEU: 30
; NumVGPRsForWavesPerEU: 60
; AccumOffset: 60
; Occupancy: 8
; WaveLimiterHint : 0
; COMPUTE_PGM_RSRC2:SCRATCH_EN: 0
; COMPUTE_PGM_RSRC2:USER_SGPR: 6
; COMPUTE_PGM_RSRC2:TRAP_HANDLER: 0
; COMPUTE_PGM_RSRC2:TGID_X_EN: 1
; COMPUTE_PGM_RSRC2:TGID_Y_EN: 0
; COMPUTE_PGM_RSRC2:TGID_Z_EN: 0
; COMPUTE_PGM_RSRC2:TIDIG_COMP_CNT: 0
; COMPUTE_PGM_RSRC3_GFX90A:ACCUM_OFFSET: 14
; COMPUTE_PGM_RSRC3_GFX90A:TG_SPLIT: 0
	.section	.text._Z33per_token_group_quant_8bit_kernelIN3c108BFloat16ENS0_13Float8_e4m3fnELb0ELb0EfEvPKT_PvPT3_iiifffii,"axG",@progbits,_Z33per_token_group_quant_8bit_kernelIN3c108BFloat16ENS0_13Float8_e4m3fnELb0ELb0EfEvPKT_PvPT3_iiifffii,comdat
	.protected	_Z33per_token_group_quant_8bit_kernelIN3c108BFloat16ENS0_13Float8_e4m3fnELb0ELb0EfEvPKT_PvPT3_iiifffii ; -- Begin function _Z33per_token_group_quant_8bit_kernelIN3c108BFloat16ENS0_13Float8_e4m3fnELb0ELb0EfEvPKT_PvPT3_iiifffii
	.globl	_Z33per_token_group_quant_8bit_kernelIN3c108BFloat16ENS0_13Float8_e4m3fnELb0ELb0EfEvPKT_PvPT3_iiifffii
	.p2align	8
	.type	_Z33per_token_group_quant_8bit_kernelIN3c108BFloat16ENS0_13Float8_e4m3fnELb0ELb0EfEvPKT_PvPT3_iiifffii,@function
_Z33per_token_group_quant_8bit_kernelIN3c108BFloat16ENS0_13Float8_e4m3fnELb0ELb0EfEvPKT_PvPT3_iiifffii: ; @_Z33per_token_group_quant_8bit_kernelIN3c108BFloat16ENS0_13Float8_e4m3fnELb0ELb0EfEvPKT_PvPT3_iiifffii
; %bb.0:
	s_load_dword s21, s[4:5], 0x18
	s_load_dwordx4 s[8:11], s[4:5], 0x20
	s_load_dwordx2 s[2:3], s[4:5], 0x0
	v_lshrrev_b32_e32 v4, 4, v0
	v_and_b32_e32 v8, 15, v0
	s_waitcnt lgkmcnt(0)
	s_ashr_i32 s7, s21, 31
	s_mul_i32 s6, s6, s8
	v_add_co_u32_e32 v2, vcc, s6, v4
	v_addc_co_u32_e64 v3, s[0:1], 0, 0, vcc
	v_mul_lo_u32 v0, v3, s21
	v_mul_lo_u32 v1, v2, s7
	v_mad_u64_u32 v[12:13], s[0:1], v2, s21, 0
	v_add3_u32 v13, v13, v1, v0
	v_lshlrev_b64 v[0:1], 1, v[12:13]
	s_and_b32 s6, s21, 7
	v_mov_b32_e32 v6, s3
	v_add_co_u32_e32 v5, vcc, s2, v0
	s_cmp_eq_u32 s6, 0
	v_addc_co_u32_e32 v6, vcc, v6, v1, vcc
	v_mov_b32_e32 v15, 0
	v_and_b32_e32 v14, 15, v5
	s_cselect_b64 s[0:1], -1, 0
	s_cmp_lg_u32 s6, 0
	v_mul_lo_u32 v9, v4, s21
	v_cmp_ne_u64_e32 vcc, 0, v[14:15]
	s_cselect_b64 s[6:7], -1, 0
	v_lshl_add_u32 v11, v9, 1, 0
	s_or_b64 s[6:7], s[6:7], vcc
                                        ; implicit-def: $vgpr10
	s_and_saveexec_b64 s[12:13], s[6:7]
	s_xor_b64 s[6:7], exec, s[12:13]
	s_cbranch_execz .LBB31_12
; %bb.1:
	v_sub_u32_e32 v4, 0, v5
	v_bfe_u32 v4, v4, 1, 3
	v_min_i32_e32 v4, s21, v4
	v_cmp_gt_i32_e32 vcc, v4, v8
	v_mov_b32_e32 v10, s9
	s_and_saveexec_b64 s[12:13], vcc
	s_cbranch_execz .LBB31_3
; %bb.2:
	v_lshlrev_b32_e32 v7, 1, v8
	v_add_co_u32_e32 v14, vcc, v5, v7
	v_addc_co_u32_e32 v15, vcc, 0, v6, vcc
	global_load_ushort v5, v[14:15], off
	v_max_f32_e64 v6, s9, s9
	v_add_u32_e32 v7, v11, v7
	s_waitcnt vmcnt(0)
	v_lshlrev_b32_e32 v10, 16, v5
	v_max_f32_e64 v10, |v10|, |v10|
	v_max_f32_e32 v10, v6, v10
	ds_write_b16 v7, v5
.LBB31_3:
	s_or_b64 exec, exec, s[12:13]
	v_sub_u32_e32 v14, s21, v4
	v_ashrrev_i32_e32 v6, 31, v14
	v_lshrrev_b32_e32 v6, 29, v6
	v_add_u32_e32 v6, v14, v6
	v_ashrrev_i32_e32 v5, 31, v4
	v_ashrrev_i32_e32 v15, 3, v6
	v_cmp_gt_i32_e32 vcc, v15, v8
	v_lshlrev_b32_e32 v16, 1, v4
	v_lshlrev_b64 v[4:5], 1, v[4:5]
	s_and_saveexec_b64 s[12:13], vcc
	s_cbranch_execz .LBB31_7
; %bb.4:
	v_lshlrev_b32_e32 v6, 4, v8
	v_lshl_add_u32 v7, v9, 1, v6
	v_add_co_u32_e32 v6, vcc, v0, v6
	v_add3_u32 v17, v7, v16, 0
	v_addc_co_u32_e32 v7, vcc, 0, v1, vcc
	v_add_co_u32_e32 v6, vcc, v6, v4
	v_addc_co_u32_e32 v7, vcc, v7, v5, vcc
	v_mov_b32_e32 v18, s3
	v_add_co_u32_e32 v6, vcc, s2, v6
	v_addc_co_u32_e32 v7, vcc, v7, v18, vcc
	v_add_co_u32_e32 v6, vcc, 8, v6
	v_addc_co_u32_e32 v7, vcc, 0, v7, vcc
	s_mov_b64 s[14:15], 0
	v_mov_b32_e32 v18, v8
.LBB31_5:                               ; =>This Inner Loop Header: Depth=1
	global_load_dwordx4 v[20:23], v[6:7], off offset:-8
	v_add_co_u32_e32 v6, vcc, 0x100, v6
	v_add_u32_e32 v18, 16, v18
	v_addc_co_u32_e32 v7, vcc, 0, v7, vcc
	v_cmp_ge_i32_e32 vcc, v18, v15
	s_or_b64 s[14:15], vcc, s[14:15]
	s_waitcnt vmcnt(0)
	v_lshlrev_b32_e32 v19, 16, v20
	v_and_b32_e32 v24, 0xffff0000, v20
	v_lshlrev_b32_e32 v25, 16, v21
	v_and_b32_e32 v26, 0xffff0000, v21
	v_max3_f32 v10, v10, |v19|, |v24|
	v_lshlrev_b32_e32 v27, 16, v22
	v_and_b32_e32 v28, 0xffff0000, v22
	v_max3_f32 v10, v10, |v25|, |v26|
	;; [unrolled: 3-line block ×3, first 2 shown]
	ds_write_b128 v17, v[20:23]
	v_add_u32_e32 v17, 0x100, v17
	v_max3_f32 v10, v10, |v29|, |v30|
	s_andn2_b64 exec, exec, s[14:15]
	s_cbranch_execnz .LBB31_5
; %bb.6:
	s_or_b64 exec, exec, s[14:15]
.LBB31_7:
	s_or_b64 exec, exec, s[12:13]
	v_lshl_add_u32 v6, v15, 3, v8
	v_cmp_lt_i32_e32 vcc, v6, v14
	s_and_saveexec_b64 s[12:13], vcc
	s_cbranch_execz .LBB31_11
; %bb.8:
	v_lshlrev_b32_e32 v7, 1, v9
	v_lshlrev_b32_e32 v15, 4, v15
	v_add3_u32 v7, v7, v15, v16
	v_lshlrev_b32_e32 v15, 1, v8
	v_add3_u32 v15, v7, v15, 0
	v_add_co_u32_e32 v4, vcc, v0, v4
	v_ashrrev_i32_e32 v7, 31, v6
	v_addc_co_u32_e32 v5, vcc, v1, v5, vcc
	v_lshlrev_b64 v[0:1], 1, v[6:7]
	v_add_co_u32_e32 v0, vcc, v4, v0
	v_addc_co_u32_e32 v1, vcc, v5, v1, vcc
	v_mov_b32_e32 v4, s3
	v_add_co_u32_e32 v0, vcc, s2, v0
	v_addc_co_u32_e32 v1, vcc, v4, v1, vcc
	s_mov_b64 s[14:15], 0
.LBB31_9:                               ; =>This Inner Loop Header: Depth=1
	global_load_ushort v4, v[0:1], off
	v_add_co_u32_e32 v0, vcc, 32, v0
	v_add_u32_e32 v6, 16, v6
	v_addc_co_u32_e32 v1, vcc, 0, v1, vcc
	v_max_f32_e32 v5, v10, v10
	v_cmp_ge_i32_e32 vcc, v6, v14
	s_or_b64 s[14:15], vcc, s[14:15]
	s_waitcnt vmcnt(0)
	v_lshlrev_b32_e32 v7, 16, v4
	ds_write_b16 v15, v4
	v_max_f32_e64 v4, |v7|, |v7|
	v_add_u32_e32 v15, 32, v15
	v_max_f32_e32 v10, v5, v4
	s_andn2_b64 exec, exec, s[14:15]
	s_cbranch_execnz .LBB31_9
; %bb.10:
	s_or_b64 exec, exec, s[14:15]
.LBB31_11:
	s_or_b64 exec, exec, s[12:13]
                                        ; implicit-def: $vgpr0_vgpr1
.LBB31_12:
	s_andn2_saveexec_b64 s[6:7], s[6:7]
	s_cbranch_execz .LBB31_18
; %bb.13:
	s_ashr_i32 s8, s21, 3
	v_cmp_gt_i32_e32 vcc, s8, v8
	v_mov_b32_e32 v10, s9
	s_and_saveexec_b64 s[12:13], vcc
	s_cbranch_execz .LBB31_17
; %bb.14:
	v_lshlrev_b32_e32 v5, 4, v8
	v_add_co_u32_e32 v0, vcc, v0, v5
	v_lshlrev_b32_e32 v4, 1, v9
	v_addc_co_u32_e32 v1, vcc, 0, v1, vcc
	v_add3_u32 v4, v4, v5, 0
	v_mov_b32_e32 v5, s3
	v_add_co_u32_e32 v0, vcc, s2, v0
	v_addc_co_u32_e32 v1, vcc, v1, v5, vcc
	v_add_co_u32_e32 v0, vcc, 8, v0
	v_addc_co_u32_e32 v1, vcc, 0, v1, vcc
	s_mov_b64 s[2:3], 0
	v_mov_b32_e32 v10, s9
	v_mov_b32_e32 v5, v8
.LBB31_15:                              ; =>This Inner Loop Header: Depth=1
	global_load_dwordx4 v[14:17], v[0:1], off offset:-8
	v_add_co_u32_e32 v0, vcc, 0x100, v0
	v_add_u32_e32 v5, 16, v5
	v_addc_co_u32_e32 v1, vcc, 0, v1, vcc
	v_cmp_le_i32_e32 vcc, s8, v5
	s_or_b64 s[2:3], vcc, s[2:3]
	s_waitcnt vmcnt(0)
	v_lshlrev_b32_e32 v6, 16, v14
	v_and_b32_e32 v7, 0xffff0000, v14
	v_lshlrev_b32_e32 v18, 16, v15
	v_and_b32_e32 v19, 0xffff0000, v15
	v_max3_f32 v6, v10, |v6|, |v7|
	v_lshlrev_b32_e32 v20, 16, v16
	v_and_b32_e32 v21, 0xffff0000, v16
	v_max3_f32 v6, v6, |v18|, |v19|
	;; [unrolled: 3-line block ×3, first 2 shown]
	ds_write_b128 v4, v[14:17]
	v_add_u32_e32 v4, 0x100, v4
	v_max3_f32 v10, v6, |v22|, |v23|
	s_andn2_b64 exec, exec, s[2:3]
	s_cbranch_execnz .LBB31_15
; %bb.16:
	s_or_b64 exec, exec, s[2:3]
.LBB31_17:
	s_or_b64 exec, exec, s[12:13]
.LBB31_18:
	s_or_b64 exec, exec, s[6:7]
	v_mbcnt_lo_u32_b32 v0, -1, 0
	v_mbcnt_hi_u32_b32 v0, -1, v0
	v_and_b32_e32 v4, 0x70, v0
	v_xor_b32_e32 v1, 8, v0
	v_add_u32_e32 v4, 16, v4
	v_cmp_lt_i32_e32 vcc, v1, v4
	v_cndmask_b32_e32 v1, v0, v1, vcc
	v_lshlrev_b32_e32 v1, 2, v1
	ds_bpermute_b32 v1, v1, v10
	v_xor_b32_e32 v6, 4, v0
	v_max_f32_e32 v5, v10, v10
	v_cmp_lt_i32_e32 vcc, v6, v4
	s_load_dwordx2 s[8:9], s[4:5], 0x8
	s_waitcnt lgkmcnt(0)
	v_max_f32_e32 v1, v1, v1
	v_max_f32_e32 v1, v5, v1
	v_cndmask_b32_e32 v5, v0, v6, vcc
	v_lshlrev_b32_e32 v5, 2, v5
	ds_bpermute_b32 v5, v5, v1
	v_xor_b32_e32 v6, 2, v0
	v_cmp_lt_i32_e32 vcc, v6, v4
	s_waitcnt lgkmcnt(0)
	v_max_f32_e32 v5, v5, v5
	v_max_f32_e32 v1, v1, v5
	v_cndmask_b32_e32 v5, v0, v6, vcc
	v_lshlrev_b32_e32 v5, 2, v5
	ds_bpermute_b32 v5, v5, v1
	v_xor_b32_e32 v6, 1, v0
	v_cmp_lt_i32_e32 vcc, v6, v4
	v_cndmask_b32_e32 v0, v0, v6, vcc
	v_lshlrev_b32_e32 v0, 2, v0
	s_waitcnt lgkmcnt(0)
	v_max_f32_e32 v5, v5, v5
	v_max_f32_e32 v1, v1, v5
	ds_bpermute_b32 v0, v0, v1
	s_waitcnt lgkmcnt(0)
	v_max_f32_e32 v0, v0, v0
	v_max_f32_e32 v0, v1, v0
	v_div_scale_f32 v1, s[2:3], s11, s11, v0
	v_rcp_f32_e32 v4, v1
	v_div_scale_f32 v5, vcc, v0, s11, v0
	v_fma_f32 v6, -v1, v4, 1.0
	v_fmac_f32_e32 v4, v6, v4
	v_mul_f32_e32 v6, v5, v4
	v_fma_f32 v7, -v1, v6, v5
	v_fmac_f32_e32 v6, v7, v4
	v_fma_f32 v1, -v1, v6, v5
	v_div_fmas_f32 v1, v1, v4, v6
	v_div_fixup_f32 v0, v1, s11, v0
	v_cmp_eq_u32_e32 vcc, 0, v8
	s_and_saveexec_b64 s[2:3], vcc
	s_cbranch_execz .LBB31_20
; %bb.19:
	s_load_dwordx2 s[4:5], s[4:5], 0x10
	v_lshlrev_b64 v[2:3], 2, v[2:3]
	s_waitcnt lgkmcnt(0)
	v_mov_b32_e32 v1, s5
	v_add_co_u32_e32 v2, vcc, s4, v2
	v_addc_co_u32_e32 v3, vcc, v1, v3, vcc
	global_store_dword v[2:3], v0, off
.LBB31_20:
	s_or_b64 exec, exec, s[2:3]
	v_and_b32_e32 v2, 15, v11
	v_mov_b32_e32 v3, 0
	v_cmp_ne_u64_e32 vcc, 0, v[2:3]
	s_xor_b64 s[0:1], s[0:1], -1
	s_or_b64 s[0:1], s[0:1], vcc
	s_barrier
	s_and_saveexec_b64 s[2:3], s[0:1]
	s_xor_b64 s[12:13], exec, s[2:3]
	s_cbranch_execz .LBB31_97
; %bb.21:
	v_mov_b32_e32 v2, s9
	v_add_co_u32_e32 v1, vcc, s8, v12
	v_addc_co_u32_e32 v10, vcc, v2, v13, vcc
	v_sub_u32_e32 v2, 0, v11
	v_bfe_u32 v2, v2, 1, 3
	v_min_i32_e32 v21, s21, v2
	v_cmp_gt_i32_e32 vcc, v21, v8
	s_and_saveexec_b64 s[0:1], vcc
	s_cbranch_execz .LBB31_29
; %bb.22:
	v_lshl_add_u32 v2, v8, 1, v11
	ds_read_u16 v2, v2
	v_max_f32_e64 v3, s10, s10
	v_max_f32_e64 v4, s11, s11
	s_waitcnt lgkmcnt(0)
	v_lshlrev_b32_e32 v2, 16, v2
	v_div_scale_f32 v5, s[2:3], v0, v0, v2
	v_rcp_f32_e32 v6, v5
	v_div_scale_f32 v7, vcc, v2, v0, v2
	s_mov_b32 s2, 0x43f00000
	v_fma_f32 v11, -v5, v6, 1.0
	v_fmac_f32_e32 v6, v11, v6
	v_mul_f32_e32 v11, v7, v6
	v_fma_f32 v14, -v5, v11, v7
	v_fmac_f32_e32 v11, v14, v6
	v_fma_f32 v5, -v5, v11, v7
	v_div_fmas_f32 v5, v5, v6, v11
	v_div_fixup_f32 v2, v5, v0, v2
	v_max_f32_e32 v2, v2, v3
	v_min_f32_e32 v2, v2, v4
	v_and_b32_e32 v4, 0x7fffffff, v2
	v_cmp_gt_u32_e32 vcc, s2, v4
	v_mov_b32_e32 v3, 0x7f
	s_and_saveexec_b64 s[2:3], vcc
	s_cbranch_execz .LBB31_28
; %bb.23:
	s_mov_b32 s4, 0x3c7fffff
	v_cmp_lt_u32_e32 vcc, s4, v4
                                        ; implicit-def: $vgpr3
	s_and_saveexec_b64 s[4:5], vcc
	s_xor_b64 s[4:5], exec, s[4:5]
; %bb.24:
	v_bfe_u32 v3, v2, 20, 1
	s_mov_b32 s6, 0x407ffff
	v_add3_u32 v3, v2, v3, s6
	v_lshrrev_b32_e32 v3, 20, v3
; %bb.25:
	s_andn2_saveexec_b64 s[4:5], s[4:5]
; %bb.26:
	s_mov_b32 s6, 0x46800000
	v_add_f32_e64 v3, |v2|, s6
; %bb.27:
	s_or_b64 exec, exec, s[4:5]
.LBB31_28:
	s_or_b64 exec, exec, s[2:3]
	v_add_co_u32_e32 v4, vcc, v1, v8
	v_lshrrev_b32_e32 v2, 24, v2
	s_movk_i32 s2, 0x80
	v_addc_co_u32_e32 v5, vcc, 0, v10, vcc
	v_and_or_b32 v2, v2, s2, v3
	global_store_byte v[4:5], v2, off
.LBB31_29:
	s_or_b64 exec, exec, s[0:1]
	v_sub_u32_e32 v20, s21, v21
	v_ashrrev_i32_e32 v2, 31, v20
	v_lshrrev_b32_e32 v2, 29, v2
	v_add_u32_e32 v2, v20, v2
	v_ashrrev_i32_e32 v11, 3, v2
	v_ashrrev_i32_e32 v22, 31, v21
	v_cmp_gt_i32_e32 vcc, v11, v8
	v_lshlrev_b32_e32 v23, 1, v21
	s_and_saveexec_b64 s[2:3], vcc
	s_cbranch_execz .LBB31_80
; %bb.30:
	v_lshlrev_b32_e32 v2, 4, v8
	v_lshl_add_u32 v2, v9, 1, v2
	v_lshlrev_b32_e32 v3, 1, v21
	v_add3_u32 v14, v2, v3, 0
	v_add_co_u32_e32 v2, vcc, v21, v12
	v_addc_co_u32_e32 v3, vcc, v22, v13, vcc
	v_lshlrev_b32_e32 v4, 3, v8
	v_add_co_u32_e32 v2, vcc, v2, v4
	v_addc_co_u32_e32 v3, vcc, 0, v3, vcc
	v_mov_b32_e32 v4, s9
	v_add_co_u32_e32 v6, vcc, s8, v2
	v_addc_co_u32_e32 v7, vcc, v4, v3, vcc
	s_mov_b64 s[4:5], 0
	v_max_f32_e64 v15, s10, s10
	v_max_f32_e64 v16, s11, s11
	s_mov_b32 s14, 0x43f00000
	s_mov_b32 s15, 0x3c7fffff
	;; [unrolled: 1-line block ×4, first 2 shown]
	s_movk_i32 s18, 0x80
	s_movk_i32 s19, 0xff
	v_mov_b32_e32 v17, v8
	s_branch .LBB31_33
.LBB31_31:                              ;   in Loop: Header=BB31_33 Depth=1
	s_or_b64 exec, exec, s[6:7]
.LBB31_32:                              ;   in Loop: Header=BB31_33 Depth=1
	s_or_b64 exec, exec, s[0:1]
	v_and_b32_sdwa v31, v31, s18 dst_sel:DWORD dst_unused:UNUSED_PAD src0_sel:BYTE_3 src1_sel:DWORD
	v_lshrrev_b32_e32 v5, 24, v5
	v_and_b32_sdwa v4, v4, s18 dst_sel:DWORD dst_unused:UNUSED_PAD src0_sel:BYTE_3 src1_sel:DWORD
	v_and_or_b32 v5, v5, s18, v33
	v_and_or_b32 v31, v32, s19, v31
	v_and_b32_sdwa v30, v30, s18 dst_sel:DWORD dst_unused:UNUSED_PAD src0_sel:BYTE_3 src1_sel:DWORD
	v_and_b32_sdwa v27, v27, s18 dst_sel:DWORD dst_unused:UNUSED_PAD src0_sel:BYTE_3 src1_sel:DWORD
	v_lshlrev_b32_e32 v5, 24, v5
	v_lshlrev_b32_e32 v31, 16, v31
	v_and_or_b32 v4, v29, s19, v4
	v_and_b32_sdwa v2, v2, s18 dst_sel:DWORD dst_unused:UNUSED_PAD src0_sel:BYTE_3 src1_sel:DWORD
	v_or_b32_e32 v5, v5, v31
	v_lshlrev_b32_e32 v4, 8, v4
	v_and_or_b32 v28, v28, s19, v30
	v_and_or_b32 v25, v25, s19, v27
	v_and_b32_sdwa v24, v24, s18 dst_sel:DWORD dst_unused:UNUSED_PAD src0_sel:BYTE_3 src1_sel:DWORD
	v_or3_b32 v5, v5, v4, v28
	v_lshlrev_b32_e32 v4, 24, v26
	v_and_b32_e32 v3, 0x80000000, v3
	v_lshlrev_b32_e32 v25, 16, v25
	v_and_or_b32 v2, v18, s19, v2
	v_lshlrev_b32_e32 v2, 8, v2
	v_or3_b32 v3, v4, v3, v25
	v_and_or_b32 v4, v19, s19, v24
	v_or3_b32 v4, v3, v2, v4
	v_add_u32_e32 v17, 16, v17
	global_store_dwordx2 v[6:7], v[4:5], off
	v_add_co_u32_e32 v6, vcc, 0x80, v6
	v_cmp_ge_i32_e64 s[0:1], v17, v11
	v_add_u32_e32 v14, 0x100, v14
	s_or_b64 s[4:5], s[0:1], s[4:5]
	v_addc_co_u32_e32 v7, vcc, 0, v7, vcc
	s_andn2_b64 exec, exec, s[4:5]
	s_cbranch_execz .LBB31_80
.LBB31_33:                              ; =>This Inner Loop Header: Depth=1
	ds_read_b128 v[2:5], v14
	v_mov_b32_e32 v18, 0x7f
	s_waitcnt lgkmcnt(0)
	v_lshlrev_b32_e32 v19, 16, v2
	v_div_scale_f32 v24, s[0:1], v0, v0, v19
	v_rcp_f32_e32 v25, v24
	v_div_scale_f32 v26, vcc, v19, v0, v19
	v_fma_f32 v27, -v24, v25, 1.0
	v_fmac_f32_e32 v25, v27, v25
	v_mul_f32_e32 v27, v26, v25
	v_fma_f32 v28, -v24, v27, v26
	v_fmac_f32_e32 v27, v28, v25
	v_fma_f32 v24, -v24, v27, v26
	v_div_fmas_f32 v24, v24, v25, v27
	v_div_fixup_f32 v19, v24, v0, v19
	v_max_f32_e32 v19, v19, v15
	v_min_f32_e32 v24, v19, v16
	v_and_b32_e32 v25, 0x7fffffff, v24
	v_cmp_gt_u32_e32 vcc, s14, v25
	v_mov_b32_e32 v19, 0x7f
	s_and_saveexec_b64 s[0:1], vcc
	s_cbranch_execz .LBB31_39
; %bb.34:                               ;   in Loop: Header=BB31_33 Depth=1
	v_cmp_lt_u32_e32 vcc, s15, v25
                                        ; implicit-def: $vgpr19
	s_and_saveexec_b64 s[6:7], vcc
	s_xor_b64 s[6:7], exec, s[6:7]
; %bb.35:                               ;   in Loop: Header=BB31_33 Depth=1
	v_bfe_u32 v19, v24, 20, 1
	v_add3_u32 v19, v24, v19, s16
	v_lshrrev_b32_e32 v19, 20, v19
; %bb.36:                               ;   in Loop: Header=BB31_33 Depth=1
	s_andn2_saveexec_b64 s[6:7], s[6:7]
; %bb.37:                               ;   in Loop: Header=BB31_33 Depth=1
	v_add_f32_e64 v19, |v24|, s17
; %bb.38:                               ;   in Loop: Header=BB31_33 Depth=1
	s_or_b64 exec, exec, s[6:7]
.LBB31_39:                              ;   in Loop: Header=BB31_33 Depth=1
	s_or_b64 exec, exec, s[0:1]
	v_and_b32_e32 v2, 0xffff0000, v2
	v_div_scale_f32 v25, s[0:1], v0, v0, v2
	v_rcp_f32_e32 v26, v25
	v_div_scale_f32 v27, vcc, v2, v0, v2
	v_fma_f32 v28, -v25, v26, 1.0
	v_fmac_f32_e32 v26, v28, v26
	v_mul_f32_e32 v28, v27, v26
	v_fma_f32 v29, -v25, v28, v27
	v_fmac_f32_e32 v28, v29, v26
	v_fma_f32 v25, -v25, v28, v27
	v_div_fmas_f32 v25, v25, v26, v28
	v_div_fixup_f32 v2, v25, v0, v2
	v_max_f32_e32 v2, v2, v15
	v_min_f32_e32 v2, v2, v16
	v_and_b32_e32 v25, 0x7fffffff, v2
	v_cmp_gt_u32_e32 vcc, s14, v25
	s_and_saveexec_b64 s[0:1], vcc
	s_cbranch_execz .LBB31_45
; %bb.40:                               ;   in Loop: Header=BB31_33 Depth=1
	v_cmp_lt_u32_e32 vcc, s15, v25
                                        ; implicit-def: $vgpr18
	s_and_saveexec_b64 s[6:7], vcc
	s_xor_b64 s[6:7], exec, s[6:7]
; %bb.41:                               ;   in Loop: Header=BB31_33 Depth=1
	v_bfe_u32 v18, v2, 20, 1
	v_add3_u32 v18, v2, v18, s16
	v_lshrrev_b32_e32 v18, 20, v18
; %bb.42:                               ;   in Loop: Header=BB31_33 Depth=1
	s_andn2_saveexec_b64 s[6:7], s[6:7]
; %bb.43:                               ;   in Loop: Header=BB31_33 Depth=1
	v_add_f32_e64 v18, |v2|, s17
; %bb.44:                               ;   in Loop: Header=BB31_33 Depth=1
	s_or_b64 exec, exec, s[6:7]
.LBB31_45:                              ;   in Loop: Header=BB31_33 Depth=1
	s_or_b64 exec, exec, s[0:1]
	v_lshlrev_b32_e32 v25, 16, v3
	v_div_scale_f32 v26, s[0:1], v0, v0, v25
	v_rcp_f32_e32 v27, v26
	v_div_scale_f32 v28, vcc, v25, v0, v25
	v_fma_f32 v29, -v26, v27, 1.0
	v_fmac_f32_e32 v27, v29, v27
	v_mul_f32_e32 v29, v28, v27
	v_fma_f32 v30, -v26, v29, v28
	v_fmac_f32_e32 v29, v30, v27
	v_fma_f32 v26, -v26, v29, v28
	v_div_fmas_f32 v26, v26, v27, v29
	v_div_fixup_f32 v25, v26, v0, v25
	v_max_f32_e32 v25, v25, v15
	v_min_f32_e32 v27, v25, v16
	v_and_b32_e32 v28, 0x7fffffff, v27
	v_cmp_gt_u32_e32 vcc, s14, v28
	v_mov_b32_e32 v26, 0x7f
	v_mov_b32_e32 v25, 0x7f
	s_and_saveexec_b64 s[0:1], vcc
	s_cbranch_execz .LBB31_51
; %bb.46:                               ;   in Loop: Header=BB31_33 Depth=1
	v_cmp_lt_u32_e32 vcc, s15, v28
                                        ; implicit-def: $vgpr25
	s_and_saveexec_b64 s[6:7], vcc
	s_xor_b64 s[6:7], exec, s[6:7]
; %bb.47:                               ;   in Loop: Header=BB31_33 Depth=1
	v_bfe_u32 v25, v27, 20, 1
	v_add3_u32 v25, v27, v25, s16
	v_lshrrev_b32_e32 v25, 20, v25
; %bb.48:                               ;   in Loop: Header=BB31_33 Depth=1
	s_andn2_saveexec_b64 s[6:7], s[6:7]
; %bb.49:                               ;   in Loop: Header=BB31_33 Depth=1
	v_add_f32_e64 v25, |v27|, s17
; %bb.50:                               ;   in Loop: Header=BB31_33 Depth=1
	s_or_b64 exec, exec, s[6:7]
.LBB31_51:                              ;   in Loop: Header=BB31_33 Depth=1
	s_or_b64 exec, exec, s[0:1]
	v_and_b32_e32 v3, 0xffff0000, v3
	v_div_scale_f32 v28, s[0:1], v0, v0, v3
	v_rcp_f32_e32 v29, v28
	v_div_scale_f32 v30, vcc, v3, v0, v3
	v_fma_f32 v31, -v28, v29, 1.0
	v_fmac_f32_e32 v29, v31, v29
	v_mul_f32_e32 v31, v30, v29
	v_fma_f32 v32, -v28, v31, v30
	v_fmac_f32_e32 v31, v32, v29
	v_fma_f32 v28, -v28, v31, v30
	v_div_fmas_f32 v28, v28, v29, v31
	v_div_fixup_f32 v3, v28, v0, v3
	v_max_f32_e32 v3, v3, v15
	v_min_f32_e32 v3, v3, v16
	v_and_b32_e32 v28, 0x7fffffff, v3
	v_cmp_gt_u32_e32 vcc, s14, v28
	s_and_saveexec_b64 s[0:1], vcc
	s_cbranch_execz .LBB31_57
; %bb.52:                               ;   in Loop: Header=BB31_33 Depth=1
	v_cmp_lt_u32_e32 vcc, s15, v28
                                        ; implicit-def: $vgpr26
	s_and_saveexec_b64 s[6:7], vcc
	s_xor_b64 s[6:7], exec, s[6:7]
; %bb.53:                               ;   in Loop: Header=BB31_33 Depth=1
	v_bfe_u32 v26, v3, 20, 1
	v_add3_u32 v26, v3, v26, s16
	v_lshrrev_b32_e32 v26, 20, v26
; %bb.54:                               ;   in Loop: Header=BB31_33 Depth=1
	s_andn2_saveexec_b64 s[6:7], s[6:7]
; %bb.55:                               ;   in Loop: Header=BB31_33 Depth=1
	v_add_f32_e64 v26, |v3|, s17
; %bb.56:                               ;   in Loop: Header=BB31_33 Depth=1
	s_or_b64 exec, exec, s[6:7]
.LBB31_57:                              ;   in Loop: Header=BB31_33 Depth=1
	s_or_b64 exec, exec, s[0:1]
	v_lshlrev_b32_e32 v28, 16, v4
	v_div_scale_f32 v29, s[0:1], v0, v0, v28
	v_rcp_f32_e32 v30, v29
	v_div_scale_f32 v31, vcc, v28, v0, v28
	v_fma_f32 v32, -v29, v30, 1.0
	v_fmac_f32_e32 v30, v32, v30
	v_mul_f32_e32 v32, v31, v30
	v_fma_f32 v33, -v29, v32, v31
	v_fmac_f32_e32 v32, v33, v30
	v_fma_f32 v29, -v29, v32, v31
	v_div_fmas_f32 v29, v29, v30, v32
	v_div_fixup_f32 v28, v29, v0, v28
	v_max_f32_e32 v28, v28, v15
	v_min_f32_e32 v30, v28, v16
	v_and_b32_e32 v31, 0x7fffffff, v30
	v_cmp_gt_u32_e32 vcc, s14, v31
	v_mov_b32_e32 v29, 0x7f
	v_mov_b32_e32 v28, 0x7f
	s_and_saveexec_b64 s[0:1], vcc
	s_cbranch_execz .LBB31_63
; %bb.58:                               ;   in Loop: Header=BB31_33 Depth=1
	v_cmp_lt_u32_e32 vcc, s15, v31
                                        ; implicit-def: $vgpr28
	s_and_saveexec_b64 s[6:7], vcc
	s_xor_b64 s[6:7], exec, s[6:7]
; %bb.59:                               ;   in Loop: Header=BB31_33 Depth=1
	v_bfe_u32 v28, v30, 20, 1
	v_add3_u32 v28, v30, v28, s16
	v_lshrrev_b32_e32 v28, 20, v28
; %bb.60:                               ;   in Loop: Header=BB31_33 Depth=1
	s_andn2_saveexec_b64 s[6:7], s[6:7]
; %bb.61:                               ;   in Loop: Header=BB31_33 Depth=1
	v_add_f32_e64 v28, |v30|, s17
; %bb.62:                               ;   in Loop: Header=BB31_33 Depth=1
	s_or_b64 exec, exec, s[6:7]
.LBB31_63:                              ;   in Loop: Header=BB31_33 Depth=1
	s_or_b64 exec, exec, s[0:1]
	v_and_b32_e32 v4, 0xffff0000, v4
	v_div_scale_f32 v31, s[0:1], v0, v0, v4
	v_rcp_f32_e32 v32, v31
	v_div_scale_f32 v33, vcc, v4, v0, v4
	v_fma_f32 v34, -v31, v32, 1.0
	v_fmac_f32_e32 v32, v34, v32
	v_mul_f32_e32 v34, v33, v32
	v_fma_f32 v35, -v31, v34, v33
	v_fmac_f32_e32 v34, v35, v32
	v_fma_f32 v31, -v31, v34, v33
	v_div_fmas_f32 v31, v31, v32, v34
	v_div_fixup_f32 v4, v31, v0, v4
	v_max_f32_e32 v4, v4, v15
	v_min_f32_e32 v4, v4, v16
	v_and_b32_e32 v31, 0x7fffffff, v4
	v_cmp_gt_u32_e32 vcc, s14, v31
	s_and_saveexec_b64 s[0:1], vcc
	s_cbranch_execz .LBB31_69
; %bb.64:                               ;   in Loop: Header=BB31_33 Depth=1
	v_cmp_lt_u32_e32 vcc, s15, v31
                                        ; implicit-def: $vgpr29
	s_and_saveexec_b64 s[6:7], vcc
	s_xor_b64 s[6:7], exec, s[6:7]
; %bb.65:                               ;   in Loop: Header=BB31_33 Depth=1
	v_bfe_u32 v29, v4, 20, 1
	v_add3_u32 v29, v4, v29, s16
	v_lshrrev_b32_e32 v29, 20, v29
; %bb.66:                               ;   in Loop: Header=BB31_33 Depth=1
	s_andn2_saveexec_b64 s[6:7], s[6:7]
; %bb.67:                               ;   in Loop: Header=BB31_33 Depth=1
	v_add_f32_e64 v29, |v4|, s17
; %bb.68:                               ;   in Loop: Header=BB31_33 Depth=1
	s_or_b64 exec, exec, s[6:7]
.LBB31_69:                              ;   in Loop: Header=BB31_33 Depth=1
	s_or_b64 exec, exec, s[0:1]
	v_lshlrev_b32_e32 v31, 16, v5
	v_div_scale_f32 v32, s[0:1], v0, v0, v31
	v_rcp_f32_e32 v33, v32
	v_div_scale_f32 v34, vcc, v31, v0, v31
	v_fma_f32 v35, -v32, v33, 1.0
	v_fmac_f32_e32 v33, v35, v33
	v_mul_f32_e32 v35, v34, v33
	v_fma_f32 v36, -v32, v35, v34
	v_fmac_f32_e32 v35, v36, v33
	v_fma_f32 v32, -v32, v35, v34
	v_div_fmas_f32 v32, v32, v33, v35
	v_div_fixup_f32 v31, v32, v0, v31
	v_max_f32_e32 v31, v31, v15
	v_min_f32_e32 v31, v31, v16
	v_and_b32_e32 v34, 0x7fffffff, v31
	v_cmp_gt_u32_e32 vcc, s14, v34
	v_mov_b32_e32 v33, 0x7f
	v_mov_b32_e32 v32, 0x7f
	s_and_saveexec_b64 s[0:1], vcc
	s_cbranch_execz .LBB31_75
; %bb.70:                               ;   in Loop: Header=BB31_33 Depth=1
	v_cmp_lt_u32_e32 vcc, s15, v34
                                        ; implicit-def: $vgpr32
	s_and_saveexec_b64 s[6:7], vcc
	s_xor_b64 s[6:7], exec, s[6:7]
; %bb.71:                               ;   in Loop: Header=BB31_33 Depth=1
	v_bfe_u32 v32, v31, 20, 1
	v_add3_u32 v32, v31, v32, s16
	v_lshrrev_b32_e32 v32, 20, v32
; %bb.72:                               ;   in Loop: Header=BB31_33 Depth=1
	s_andn2_saveexec_b64 s[6:7], s[6:7]
; %bb.73:                               ;   in Loop: Header=BB31_33 Depth=1
	v_add_f32_e64 v32, |v31|, s17
; %bb.74:                               ;   in Loop: Header=BB31_33 Depth=1
	s_or_b64 exec, exec, s[6:7]
.LBB31_75:                              ;   in Loop: Header=BB31_33 Depth=1
	s_or_b64 exec, exec, s[0:1]
	v_and_b32_e32 v5, 0xffff0000, v5
	v_div_scale_f32 v34, s[0:1], v0, v0, v5
	v_rcp_f32_e32 v35, v34
	v_div_scale_f32 v36, vcc, v5, v0, v5
	v_fma_f32 v37, -v34, v35, 1.0
	v_fmac_f32_e32 v35, v37, v35
	v_mul_f32_e32 v37, v36, v35
	v_fma_f32 v38, -v34, v37, v36
	v_fmac_f32_e32 v37, v38, v35
	v_fma_f32 v34, -v34, v37, v36
	v_div_fmas_f32 v34, v34, v35, v37
	v_div_fixup_f32 v5, v34, v0, v5
	v_max_f32_e32 v5, v5, v15
	v_min_f32_e32 v5, v5, v16
	v_and_b32_e32 v34, 0x7fffffff, v5
	v_cmp_gt_u32_e32 vcc, s14, v34
	s_and_saveexec_b64 s[0:1], vcc
	s_cbranch_execz .LBB31_32
; %bb.76:                               ;   in Loop: Header=BB31_33 Depth=1
	v_cmp_lt_u32_e32 vcc, s15, v34
                                        ; implicit-def: $vgpr33
	s_and_saveexec_b64 s[6:7], vcc
	s_xor_b64 s[6:7], exec, s[6:7]
; %bb.77:                               ;   in Loop: Header=BB31_33 Depth=1
	v_bfe_u32 v33, v5, 20, 1
	v_add3_u32 v33, v5, v33, s16
	v_lshrrev_b32_e32 v33, 20, v33
; %bb.78:                               ;   in Loop: Header=BB31_33 Depth=1
	s_andn2_saveexec_b64 s[6:7], s[6:7]
	s_cbranch_execz .LBB31_31
; %bb.79:                               ;   in Loop: Header=BB31_33 Depth=1
	v_add_f32_e64 v33, |v5|, s17
	s_branch .LBB31_31
.LBB31_80:
	s_or_b64 exec, exec, s[2:3]
	v_lshlrev_b32_e32 v4, 3, v11
	v_add_u32_e32 v2, v4, v8
	v_cmp_lt_i32_e32 vcc, v2, v20
	s_and_saveexec_b64 s[14:15], vcc
	s_cbranch_execz .LBB31_96
; %bb.81:
	v_add_u32_e32 v3, 16, v2
	v_max_i32_e32 v5, v3, v20
	v_xad_u32 v5, v8, -1, v5
	v_sub_u32_e32 v4, v5, v4
	v_cmp_lt_u32_e32 vcc, 47, v4
	s_mov_b64 s[0:1], 0
                                        ; implicit-def: $vgpr24
	s_and_saveexec_b64 s[2:3], vcc
	s_xor_b64 s[16:17], exec, s[2:3]
	s_cbranch_execnz .LBB31_84
; %bb.82:
	s_andn2_saveexec_b64 s[2:3], s[16:17]
	s_cbranch_execnz .LBB31_87
.LBB31_83:
	s_or_b64 exec, exec, s[2:3]
	s_and_b64 exec, exec, s[0:1]
	s_cbranch_execnz .LBB31_88
	s_branch .LBB31_96
.LBB31_84:
	v_lshrrev_b32_e32 v4, 4, v4
	v_lshlrev_b32_e32 v24, 1, v9
	v_lshlrev_b32_e32 v9, 4, v11
	;; [unrolled: 1-line block ×3, first 2 shown]
	v_add_u32_e32 v25, 1, v4
	v_add_co_u32_e32 v27, vcc, v1, v21
	v_add_u32_e32 v5, 48, v2
	v_add_u32_e32 v4, 32, v2
	v_add3_u32 v9, v24, v9, v23
	v_lshlrev_b32_e32 v8, 1, v8
	v_addc_co_u32_e32 v28, vcc, v10, v22, vcc
	v_and_b32_e32 v26, 0x1ffffffc, v25
	s_mov_b32 s0, s10
	s_mov_b32 s1, s10
	;; [unrolled: 1-line block ×8, first 2 shown]
	v_add3_u32 v29, v9, v8, 0
	v_pk_mov_b32 v[10:11], v[4:5], v[4:5] op_sel:[0,1]
	v_mov_b32_e32 v1, v0
	v_mov_b32_e32 v6, v0
	;; [unrolled: 1-line block ×3, first 2 shown]
	s_mov_b64 s[18:19], 0
	v_max_f32_e64 v30, s3, s3
	v_max_f32_e64 v31, s2, s2
	;; [unrolled: 1-line block ×8, first 2 shown]
	s_mov_b32 s22, 0x43f00000
	s_mov_b32 s23, 0x7700000
	;; [unrolled: 1-line block ×4, first 2 shown]
	v_mov_b32_e32 v38, 0x7f
	s_movk_i32 s25, 0x80
	v_mov_b32_e32 v39, v26
	v_pk_mov_b32 v[8:9], v[2:3], v[2:3] op_sel:[0,1]
.LBB31_85:                              ; =>This Inner Loop Header: Depth=1
	ds_read_u16 v40, v29
	ds_read_u16 v41, v29 offset:32
	ds_read_u16 v42, v29 offset:64
	;; [unrolled: 1-line block ×3, first 2 shown]
	v_ashrrev_i32_e32 v3, 31, v11
	v_ashrrev_i32_e32 v15, 31, v10
	;; [unrolled: 1-line block ×4, first 2 shown]
	v_add_co_u32_e32 v4, vcc, v27, v9
	v_add_co_u32_e64 v14, s[0:1], v27, v10
	v_add_co_u32_e64 v16, s[2:3], v27, v11
	;; [unrolled: 1-line block ×3, first 2 shown]
	s_waitcnt lgkmcnt(3)
	v_lshlrev_b32_e32 v40, 16, v40
	v_addc_co_u32_e64 v19, s[4:5], v28, v17, s[4:5]
	v_addc_co_u32_e32 v5, vcc, v28, v5, vcc
	v_addc_co_u32_e64 v15, vcc, v28, v15, s[0:1]
	v_addc_co_u32_e64 v17, vcc, v28, v3, s[2:3]
	s_waitcnt lgkmcnt(0)
	v_lshlrev_b32_e32 v3, 16, v43
	v_lshlrev_b32_e32 v41, 16, v41
	v_div_scale_f32 v43, s[0:1], v0, v0, v40
	v_lshlrev_b32_e32 v42, 16, v42
	v_div_scale_f32 v45, s[0:1], v1, v1, v41
	v_rcp_f32_e32 v50, v43
	v_div_scale_f32 v47, s[2:3], v6, v6, v42
	v_div_scale_f32 v49, s[4:5], v7, v7, v3
	v_rcp_f32_e32 v51, v45
	v_rcp_f32_e32 v52, v47
	;; [unrolled: 1-line block ×3, first 2 shown]
	v_fma_f32 v54, -v43, v50, 1.0
	v_div_scale_f32 v44, vcc, v40, v0, v40
	v_fma_f32 v55, -v45, v51, 1.0
	v_fmac_f32_e32 v50, v54, v50
	v_div_scale_f32 v46, s[0:1], v41, v1, v41
	v_fma_f32 v56, -v47, v52, 1.0
	v_fma_f32 v57, -v49, v53, 1.0
	v_fmac_f32_e32 v51, v55, v51
	v_mul_f32_e32 v54, v44, v50
	v_div_scale_f32 v48, s[2:3], v42, v6, v42
	v_fmac_f32_e32 v52, v56, v52
	v_fmac_f32_e32 v53, v57, v53
	v_mul_f32_e32 v55, v46, v51
	v_fma_f32 v57, -v43, v54, v44
	v_mul_f32_e32 v56, v48, v52
	v_fmac_f32_e32 v54, v57, v50
	v_fma_f32 v57, -v45, v55, v46
	v_fmac_f32_e32 v55, v57, v51
	v_fma_f32 v57, -v47, v56, v48
	v_fmac_f32_e32 v56, v57, v52
	v_div_scale_f32 v57, s[4:5], v3, v7, v3
	v_mul_f32_e32 v58, v57, v53
	v_fma_f32 v43, -v43, v54, v44
	v_fma_f32 v59, -v49, v58, v57
	v_fma_f32 v44, -v45, v55, v46
	v_div_fmas_f32 v43, v43, v50, v54
	s_mov_b64 vcc, s[0:1]
	v_fmac_f32_e32 v58, v59, v53
	v_fma_f32 v45, -v47, v56, v48
	v_div_fixup_f32 v40, v43, v0, v40
	v_div_fmas_f32 v43, v44, v51, v55
	s_mov_b64 vcc, s[2:3]
	v_fma_f32 v46, -v49, v58, v57
	v_div_fixup_f32 v41, v43, v1, v41
	v_div_fmas_f32 v43, v45, v52, v56
	v_max_f32_e32 v40, v40, v33
	s_mov_b64 vcc, s[4:5]
	v_div_fixup_f32 v42, v43, v6, v42
	v_div_fmas_f32 v43, v46, v53, v58
	v_max_f32_e32 v41, v41, v32
	v_min_f32_e32 v44, v40, v34
	v_div_fixup_f32 v3, v43, v7, v3
	v_max_f32_e32 v42, v42, v31
	v_min_f32_e32 v43, v41, v35
	v_and_b32_e32 v40, 0x7fffffff, v44
	v_bfe_u32 v45, v44, 20, 1
	v_lshrrev_b32_e32 v46, 24, v44
	v_max_f32_e32 v3, v3, v30
	v_min_f32_e32 v47, v42, v36
	v_and_b32_e32 v41, 0x7fffffff, v43
	v_add_u32_e32 v48, 0xc3800000, v40
	v_bfe_u32 v49, v43, 20, 1
	v_add3_u32 v44, v44, v45, s24
	v_min_f32_e32 v3, v3, v37
	v_and_b32_e32 v42, 0x7fffffff, v47
	v_add_u32_e32 v51, 0xc3800000, v41
	v_bfe_u32 v52, v47, 20, 1
	v_add3_u32 v49, v43, v49, s24
	v_lshrrev_b32_e32 v53, 20, v44
	v_pk_add_f32 v[44:45], v[40:41], s[20:21] op_sel_hi:[1,0]
	v_cmp_gt_u32_e32 vcc, s23, v48
	v_lshrrev_b32_e32 v50, 24, v43
	v_lshrrev_b32_e32 v54, 24, v47
	v_and_b32_e32 v43, 0x7fffffff, v3
	v_cndmask_b32_e32 v44, v44, v53, vcc
	v_cmp_gt_u32_e32 vcc, s22, v40
	v_add_u32_e32 v48, 0xc3800000, v42
	v_bfe_u32 v40, v3, 20, 1
	v_add3_u32 v47, v47, v52, s24
	v_lshrrev_b32_e32 v49, 20, v49
	v_cmp_gt_u32_e64 s[0:1], s23, v51
	v_lshrrev_b32_e32 v52, 24, v3
	v_cndmask_b32_e64 v45, v45, v49, s[0:1]
	v_cmp_gt_u32_e64 s[0:1], s22, v41
	v_add_u32_e32 v49, 0xc3800000, v43
	v_add3_u32 v3, v3, v40, s24
	v_lshrrev_b32_e32 v47, 20, v47
	v_pk_add_f32 v[40:41], v[42:43], s[20:21] op_sel_hi:[1,0]
	v_cndmask_b32_e32 v44, v38, v44, vcc
	v_cmp_gt_u32_e32 vcc, s23, v48
	v_cndmask_b32_e32 v40, v40, v47, vcc
	v_cmp_gt_u32_e32 vcc, s22, v42
	v_lshrrev_b32_e32 v3, 20, v3
	v_cndmask_b32_e64 v42, v38, v45, s[0:1]
	v_cmp_gt_u32_e64 s[0:1], s23, v49
	v_cndmask_b32_e64 v3, v41, v3, s[0:1]
	v_cndmask_b32_e32 v40, v38, v40, vcc
	v_cmp_gt_u32_e32 vcc, s22, v43
	v_cndmask_b32_e32 v3, v38, v3, vcc
	v_and_or_b32 v44, v46, s25, v44
	v_and_or_b32 v41, v50, s25, v42
	;; [unrolled: 1-line block ×3, first 2 shown]
	v_add_u32_e32 v39, -4, v39
	global_store_byte v[18:19], v44, off
	v_and_or_b32 v18, v54, s25, v40
	v_lshlrev_b16_e32 v19, 8, v41
	v_lshlrev_b16_e32 v3, 8, v3
	v_cmp_eq_u32_e64 s[6:7], 0, v39
	v_lshrrev_b32_e32 v19, 8, v19
	v_or_b32_sdwa v3, v18, v3 dst_sel:DWORD dst_unused:UNUSED_PAD src0_sel:BYTE_0 src1_sel:DWORD
	v_add_u32_e32 v11, 64, v11
	v_add_u32_e32 v10, 64, v10
	;; [unrolled: 1-line block ×5, first 2 shown]
	s_or_b64 s[18:19], s[6:7], s[18:19]
	global_store_byte v[4:5], v19, off
	global_store_byte v[14:15], v3, off
	v_lshrrev_b32_e32 v3, 8, v3
	global_store_byte v[16:17], v3, off
	s_andn2_b64 exec, exec, s[18:19]
	s_cbranch_execnz .LBB31_85
; %bb.86:
	s_or_b64 exec, exec, s[18:19]
	v_cmp_ne_u32_e32 vcc, v25, v26
	v_lshl_add_u32 v2, v26, 4, v2
	s_and_b64 s[0:1], vcc, exec
                                        ; implicit-def: $vgpr9
	s_andn2_saveexec_b64 s[2:3], s[16:17]
	s_cbranch_execz .LBB31_83
.LBB31_87:
	v_lshlrev_b32_e32 v24, 1, v9
	s_or_b64 s[0:1], s[0:1], exec
	s_or_b64 exec, exec, s[2:3]
	s_and_b64 exec, exec, s[0:1]
	s_cbranch_execz .LBB31_96
.LBB31_88:
	v_add_co_u32_e32 v3, vcc, v21, v12
	v_addc_co_u32_e32 v4, vcc, v22, v13, vcc
	v_ashrrev_i32_e32 v5, 31, v2
	v_add_co_u32_e32 v3, vcc, v3, v2
	v_addc_co_u32_e32 v5, vcc, v4, v5, vcc
	v_lshl_add_u32 v1, v2, 1, v24
	v_mov_b32_e32 v6, s9
	v_add_co_u32_e32 v4, vcc, s8, v3
	v_add3_u32 v1, v1, v23, 0
	v_addc_co_u32_e32 v5, vcc, v6, v5, vcc
	s_mov_b64 s[0:1], 0
	v_max_f32_e64 v3, s10, s10
	v_max_f32_e64 v6, s11, s11
	s_mov_b32 s6, 0x43f00000
	s_mov_b32 s7, 0x3c7fffff
	s_mov_b32 s16, 0x407ffff
	s_mov_b32 s17, 0x46800000
	s_movk_i32 s18, 0x80
	s_branch .LBB31_91
.LBB31_89:                              ;   in Loop: Header=BB31_91 Depth=1
	s_or_b64 exec, exec, s[4:5]
.LBB31_90:                              ;   in Loop: Header=BB31_91 Depth=1
	s_or_b64 exec, exec, s[2:3]
	v_lshrrev_b32_e32 v7, 24, v7
	v_add_u32_e32 v2, 16, v2
	v_and_or_b32 v7, v7, s18, v8
	v_cmp_ge_i32_e32 vcc, v2, v20
	global_store_byte v[4:5], v7, off
	s_or_b64 s[0:1], vcc, s[0:1]
	v_add_co_u32_e32 v4, vcc, 16, v4
	v_add_u32_e32 v1, 32, v1
	v_addc_co_u32_e32 v5, vcc, 0, v5, vcc
	s_andn2_b64 exec, exec, s[0:1]
	s_cbranch_execz .LBB31_96
.LBB31_91:                              ; =>This Inner Loop Header: Depth=1
	ds_read_u16 v7, v1
	s_waitcnt lgkmcnt(0)
	v_lshlrev_b32_e32 v7, 16, v7
	v_div_scale_f32 v8, s[2:3], v0, v0, v7
	v_rcp_f32_e32 v9, v8
	v_div_scale_f32 v10, vcc, v7, v0, v7
	v_fma_f32 v11, -v8, v9, 1.0
	v_fmac_f32_e32 v9, v11, v9
	v_mul_f32_e32 v11, v10, v9
	v_fma_f32 v12, -v8, v11, v10
	v_fmac_f32_e32 v11, v12, v9
	v_fma_f32 v8, -v8, v11, v10
	v_div_fmas_f32 v8, v8, v9, v11
	v_div_fixup_f32 v7, v8, v0, v7
	v_max_f32_e32 v7, v7, v3
	v_min_f32_e32 v7, v7, v6
	v_and_b32_e32 v9, 0x7fffffff, v7
	v_cmp_gt_u32_e32 vcc, s6, v9
	v_mov_b32_e32 v8, 0x7f
	s_and_saveexec_b64 s[2:3], vcc
	s_cbranch_execz .LBB31_90
; %bb.92:                               ;   in Loop: Header=BB31_91 Depth=1
	v_cmp_lt_u32_e32 vcc, s7, v9
                                        ; implicit-def: $vgpr8
	s_and_saveexec_b64 s[4:5], vcc
	s_xor_b64 s[4:5], exec, s[4:5]
; %bb.93:                               ;   in Loop: Header=BB31_91 Depth=1
	v_bfe_u32 v8, v7, 20, 1
	v_add3_u32 v8, v7, v8, s16
	v_lshrrev_b32_e32 v8, 20, v8
; %bb.94:                               ;   in Loop: Header=BB31_91 Depth=1
	s_andn2_saveexec_b64 s[4:5], s[4:5]
	s_cbranch_execz .LBB31_89
; %bb.95:                               ;   in Loop: Header=BB31_91 Depth=1
	v_add_f32_e64 v8, |v7|, s17
	s_branch .LBB31_89
.LBB31_96:
	s_or_b64 exec, exec, s[14:15]
                                        ; implicit-def: $vgpr8
                                        ; implicit-def: $vgpr0
                                        ; implicit-def: $vgpr9
                                        ; implicit-def: $vgpr12_vgpr13
.LBB31_97:
	s_andn2_saveexec_b64 s[0:1], s[12:13]
	s_cbranch_execz .LBB31_149
; %bb.98:
	s_ashr_i32 s6, s21, 3
	v_cmp_gt_i32_e32 vcc, s6, v8
	s_and_saveexec_b64 s[0:1], vcc
	s_cbranch_execz .LBB31_149
; %bb.99:
	v_lshlrev_b32_e32 v1, 1, v9
	v_lshlrev_b32_e32 v2, 4, v8
	v_add3_u32 v1, v1, v2, 0
	v_lshlrev_b32_e32 v2, 3, v8
	v_add_co_u32_e32 v2, vcc, v12, v2
	v_addc_co_u32_e32 v3, vcc, 0, v13, vcc
	v_mov_b32_e32 v4, s9
	v_add_co_u32_e32 v6, vcc, s8, v2
	v_addc_co_u32_e32 v7, vcc, v4, v3, vcc
	s_mov_b64 s[2:3], 0
	v_max_f32_e64 v9, s10, s10
	v_max_f32_e64 v10, s11, s11
	s_mov_b32 s7, 0x43f00000
	s_mov_b32 s8, 0x3c7fffff
	;; [unrolled: 1-line block ×4, first 2 shown]
	s_movk_i32 s11, 0x80
	s_movk_i32 s12, 0xff
	s_branch .LBB31_102
.LBB31_100:                             ;   in Loop: Header=BB31_102 Depth=1
	s_or_b64 exec, exec, s[4:5]
.LBB31_101:                             ;   in Loop: Header=BB31_102 Depth=1
	s_or_b64 exec, exec, s[0:1]
	v_and_b32_sdwa v20, v20, s11 dst_sel:DWORD dst_unused:UNUSED_PAD src0_sel:BYTE_3 src1_sel:DWORD
	v_lshrrev_b32_e32 v5, 24, v5
	v_and_b32_sdwa v4, v4, s11 dst_sel:DWORD dst_unused:UNUSED_PAD src0_sel:BYTE_3 src1_sel:DWORD
	v_and_or_b32 v5, v5, s11, v22
	v_and_or_b32 v20, v21, s12, v20
	v_and_b32_sdwa v19, v19, s11 dst_sel:DWORD dst_unused:UNUSED_PAD src0_sel:BYTE_3 src1_sel:DWORD
	v_and_b32_sdwa v16, v16, s11 dst_sel:DWORD dst_unused:UNUSED_PAD src0_sel:BYTE_3 src1_sel:DWORD
	v_lshlrev_b32_e32 v5, 24, v5
	v_lshlrev_b32_e32 v20, 16, v20
	v_and_or_b32 v4, v18, s12, v4
	v_and_b32_sdwa v2, v2, s11 dst_sel:DWORD dst_unused:UNUSED_PAD src0_sel:BYTE_3 src1_sel:DWORD
	v_or_b32_e32 v5, v5, v20
	v_lshlrev_b32_e32 v4, 8, v4
	v_and_or_b32 v17, v17, s12, v19
	v_and_or_b32 v14, v14, s12, v16
	v_and_b32_sdwa v13, v13, s11 dst_sel:DWORD dst_unused:UNUSED_PAD src0_sel:BYTE_3 src1_sel:DWORD
	v_or3_b32 v5, v5, v4, v17
	v_lshlrev_b32_e32 v4, 24, v15
	v_and_b32_e32 v3, 0x80000000, v3
	v_lshlrev_b32_e32 v14, 16, v14
	v_and_or_b32 v2, v11, s12, v2
	v_lshlrev_b32_e32 v2, 8, v2
	v_or3_b32 v3, v4, v3, v14
	v_and_or_b32 v4, v12, s12, v13
	v_or3_b32 v4, v3, v2, v4
	v_add_u32_e32 v8, 16, v8
	global_store_dwordx2 v[6:7], v[4:5], off
	v_add_co_u32_e32 v6, vcc, 0x80, v6
	v_cmp_le_i32_e64 s[0:1], s6, v8
	v_add_u32_e32 v1, 0x100, v1
	s_or_b64 s[2:3], s[0:1], s[2:3]
	v_addc_co_u32_e32 v7, vcc, 0, v7, vcc
	s_andn2_b64 exec, exec, s[2:3]
	s_cbranch_execz .LBB31_149
.LBB31_102:                             ; =>This Inner Loop Header: Depth=1
	ds_read_b128 v[2:5], v1
	v_mov_b32_e32 v11, 0x7f
	s_waitcnt lgkmcnt(0)
	v_lshlrev_b32_e32 v12, 16, v2
	v_div_scale_f32 v13, s[0:1], v0, v0, v12
	v_rcp_f32_e32 v14, v13
	v_div_scale_f32 v15, vcc, v12, v0, v12
	v_fma_f32 v16, -v13, v14, 1.0
	v_fmac_f32_e32 v14, v16, v14
	v_mul_f32_e32 v16, v15, v14
	v_fma_f32 v17, -v13, v16, v15
	v_fmac_f32_e32 v16, v17, v14
	v_fma_f32 v13, -v13, v16, v15
	v_div_fmas_f32 v13, v13, v14, v16
	v_div_fixup_f32 v12, v13, v0, v12
	v_max_f32_e32 v12, v12, v9
	v_min_f32_e32 v13, v12, v10
	v_and_b32_e32 v14, 0x7fffffff, v13
	v_cmp_gt_u32_e32 vcc, s7, v14
	v_mov_b32_e32 v12, 0x7f
	s_and_saveexec_b64 s[0:1], vcc
	s_cbranch_execz .LBB31_108
; %bb.103:                              ;   in Loop: Header=BB31_102 Depth=1
	v_cmp_lt_u32_e32 vcc, s8, v14
                                        ; implicit-def: $vgpr12
	s_and_saveexec_b64 s[4:5], vcc
	s_xor_b64 s[4:5], exec, s[4:5]
; %bb.104:                              ;   in Loop: Header=BB31_102 Depth=1
	v_bfe_u32 v12, v13, 20, 1
	v_add3_u32 v12, v13, v12, s9
	v_lshrrev_b32_e32 v12, 20, v12
; %bb.105:                              ;   in Loop: Header=BB31_102 Depth=1
	s_andn2_saveexec_b64 s[4:5], s[4:5]
; %bb.106:                              ;   in Loop: Header=BB31_102 Depth=1
	v_add_f32_e64 v12, |v13|, s10
; %bb.107:                              ;   in Loop: Header=BB31_102 Depth=1
	s_or_b64 exec, exec, s[4:5]
.LBB31_108:                             ;   in Loop: Header=BB31_102 Depth=1
	s_or_b64 exec, exec, s[0:1]
	v_and_b32_e32 v2, 0xffff0000, v2
	v_div_scale_f32 v14, s[0:1], v0, v0, v2
	v_rcp_f32_e32 v15, v14
	v_div_scale_f32 v16, vcc, v2, v0, v2
	v_fma_f32 v17, -v14, v15, 1.0
	v_fmac_f32_e32 v15, v17, v15
	v_mul_f32_e32 v17, v16, v15
	v_fma_f32 v18, -v14, v17, v16
	v_fmac_f32_e32 v17, v18, v15
	v_fma_f32 v14, -v14, v17, v16
	v_div_fmas_f32 v14, v14, v15, v17
	v_div_fixup_f32 v2, v14, v0, v2
	v_max_f32_e32 v2, v2, v9
	v_min_f32_e32 v2, v2, v10
	v_and_b32_e32 v14, 0x7fffffff, v2
	v_cmp_gt_u32_e32 vcc, s7, v14
	s_and_saveexec_b64 s[0:1], vcc
	s_cbranch_execz .LBB31_114
; %bb.109:                              ;   in Loop: Header=BB31_102 Depth=1
	v_cmp_lt_u32_e32 vcc, s8, v14
                                        ; implicit-def: $vgpr11
	s_and_saveexec_b64 s[4:5], vcc
	s_xor_b64 s[4:5], exec, s[4:5]
; %bb.110:                              ;   in Loop: Header=BB31_102 Depth=1
	v_bfe_u32 v11, v2, 20, 1
	v_add3_u32 v11, v2, v11, s9
	v_lshrrev_b32_e32 v11, 20, v11
; %bb.111:                              ;   in Loop: Header=BB31_102 Depth=1
	s_andn2_saveexec_b64 s[4:5], s[4:5]
; %bb.112:                              ;   in Loop: Header=BB31_102 Depth=1
	v_add_f32_e64 v11, |v2|, s10
; %bb.113:                              ;   in Loop: Header=BB31_102 Depth=1
	s_or_b64 exec, exec, s[4:5]
.LBB31_114:                             ;   in Loop: Header=BB31_102 Depth=1
	s_or_b64 exec, exec, s[0:1]
	v_lshlrev_b32_e32 v14, 16, v3
	v_div_scale_f32 v15, s[0:1], v0, v0, v14
	v_rcp_f32_e32 v16, v15
	v_div_scale_f32 v17, vcc, v14, v0, v14
	v_fma_f32 v18, -v15, v16, 1.0
	v_fmac_f32_e32 v16, v18, v16
	v_mul_f32_e32 v18, v17, v16
	v_fma_f32 v19, -v15, v18, v17
	v_fmac_f32_e32 v18, v19, v16
	v_fma_f32 v15, -v15, v18, v17
	v_div_fmas_f32 v15, v15, v16, v18
	v_div_fixup_f32 v14, v15, v0, v14
	v_max_f32_e32 v14, v14, v9
	v_min_f32_e32 v16, v14, v10
	v_and_b32_e32 v17, 0x7fffffff, v16
	v_cmp_gt_u32_e32 vcc, s7, v17
	v_mov_b32_e32 v15, 0x7f
	v_mov_b32_e32 v14, 0x7f
	s_and_saveexec_b64 s[0:1], vcc
	s_cbranch_execz .LBB31_120
; %bb.115:                              ;   in Loop: Header=BB31_102 Depth=1
	v_cmp_lt_u32_e32 vcc, s8, v17
                                        ; implicit-def: $vgpr14
	s_and_saveexec_b64 s[4:5], vcc
	s_xor_b64 s[4:5], exec, s[4:5]
; %bb.116:                              ;   in Loop: Header=BB31_102 Depth=1
	v_bfe_u32 v14, v16, 20, 1
	v_add3_u32 v14, v16, v14, s9
	v_lshrrev_b32_e32 v14, 20, v14
; %bb.117:                              ;   in Loop: Header=BB31_102 Depth=1
	s_andn2_saveexec_b64 s[4:5], s[4:5]
; %bb.118:                              ;   in Loop: Header=BB31_102 Depth=1
	v_add_f32_e64 v14, |v16|, s10
; %bb.119:                              ;   in Loop: Header=BB31_102 Depth=1
	s_or_b64 exec, exec, s[4:5]
.LBB31_120:                             ;   in Loop: Header=BB31_102 Depth=1
	s_or_b64 exec, exec, s[0:1]
	v_and_b32_e32 v3, 0xffff0000, v3
	v_div_scale_f32 v17, s[0:1], v0, v0, v3
	v_rcp_f32_e32 v18, v17
	v_div_scale_f32 v19, vcc, v3, v0, v3
	v_fma_f32 v20, -v17, v18, 1.0
	v_fmac_f32_e32 v18, v20, v18
	v_mul_f32_e32 v20, v19, v18
	v_fma_f32 v21, -v17, v20, v19
	v_fmac_f32_e32 v20, v21, v18
	v_fma_f32 v17, -v17, v20, v19
	v_div_fmas_f32 v17, v17, v18, v20
	v_div_fixup_f32 v3, v17, v0, v3
	v_max_f32_e32 v3, v3, v9
	v_min_f32_e32 v3, v3, v10
	v_and_b32_e32 v17, 0x7fffffff, v3
	v_cmp_gt_u32_e32 vcc, s7, v17
	s_and_saveexec_b64 s[0:1], vcc
	s_cbranch_execz .LBB31_126
; %bb.121:                              ;   in Loop: Header=BB31_102 Depth=1
	v_cmp_lt_u32_e32 vcc, s8, v17
                                        ; implicit-def: $vgpr15
	s_and_saveexec_b64 s[4:5], vcc
	s_xor_b64 s[4:5], exec, s[4:5]
; %bb.122:                              ;   in Loop: Header=BB31_102 Depth=1
	v_bfe_u32 v15, v3, 20, 1
	v_add3_u32 v15, v3, v15, s9
	v_lshrrev_b32_e32 v15, 20, v15
; %bb.123:                              ;   in Loop: Header=BB31_102 Depth=1
	s_andn2_saveexec_b64 s[4:5], s[4:5]
; %bb.124:                              ;   in Loop: Header=BB31_102 Depth=1
	v_add_f32_e64 v15, |v3|, s10
; %bb.125:                              ;   in Loop: Header=BB31_102 Depth=1
	s_or_b64 exec, exec, s[4:5]
.LBB31_126:                             ;   in Loop: Header=BB31_102 Depth=1
	s_or_b64 exec, exec, s[0:1]
	v_lshlrev_b32_e32 v17, 16, v4
	v_div_scale_f32 v18, s[0:1], v0, v0, v17
	v_rcp_f32_e32 v19, v18
	v_div_scale_f32 v20, vcc, v17, v0, v17
	v_fma_f32 v21, -v18, v19, 1.0
	v_fmac_f32_e32 v19, v21, v19
	v_mul_f32_e32 v21, v20, v19
	v_fma_f32 v22, -v18, v21, v20
	v_fmac_f32_e32 v21, v22, v19
	v_fma_f32 v18, -v18, v21, v20
	v_div_fmas_f32 v18, v18, v19, v21
	v_div_fixup_f32 v17, v18, v0, v17
	v_max_f32_e32 v17, v17, v9
	v_min_f32_e32 v19, v17, v10
	v_and_b32_e32 v20, 0x7fffffff, v19
	v_cmp_gt_u32_e32 vcc, s7, v20
	v_mov_b32_e32 v18, 0x7f
	v_mov_b32_e32 v17, 0x7f
	s_and_saveexec_b64 s[0:1], vcc
	s_cbranch_execz .LBB31_132
; %bb.127:                              ;   in Loop: Header=BB31_102 Depth=1
	v_cmp_lt_u32_e32 vcc, s8, v20
                                        ; implicit-def: $vgpr17
	s_and_saveexec_b64 s[4:5], vcc
	s_xor_b64 s[4:5], exec, s[4:5]
; %bb.128:                              ;   in Loop: Header=BB31_102 Depth=1
	v_bfe_u32 v17, v19, 20, 1
	v_add3_u32 v17, v19, v17, s9
	v_lshrrev_b32_e32 v17, 20, v17
; %bb.129:                              ;   in Loop: Header=BB31_102 Depth=1
	s_andn2_saveexec_b64 s[4:5], s[4:5]
; %bb.130:                              ;   in Loop: Header=BB31_102 Depth=1
	v_add_f32_e64 v17, |v19|, s10
; %bb.131:                              ;   in Loop: Header=BB31_102 Depth=1
	s_or_b64 exec, exec, s[4:5]
.LBB31_132:                             ;   in Loop: Header=BB31_102 Depth=1
	s_or_b64 exec, exec, s[0:1]
	v_and_b32_e32 v4, 0xffff0000, v4
	v_div_scale_f32 v20, s[0:1], v0, v0, v4
	v_rcp_f32_e32 v21, v20
	v_div_scale_f32 v22, vcc, v4, v0, v4
	v_fma_f32 v23, -v20, v21, 1.0
	v_fmac_f32_e32 v21, v23, v21
	v_mul_f32_e32 v23, v22, v21
	v_fma_f32 v24, -v20, v23, v22
	v_fmac_f32_e32 v23, v24, v21
	v_fma_f32 v20, -v20, v23, v22
	v_div_fmas_f32 v20, v20, v21, v23
	v_div_fixup_f32 v4, v20, v0, v4
	v_max_f32_e32 v4, v4, v9
	v_min_f32_e32 v4, v4, v10
	v_and_b32_e32 v20, 0x7fffffff, v4
	v_cmp_gt_u32_e32 vcc, s7, v20
	s_and_saveexec_b64 s[0:1], vcc
	s_cbranch_execz .LBB31_138
; %bb.133:                              ;   in Loop: Header=BB31_102 Depth=1
	v_cmp_lt_u32_e32 vcc, s8, v20
                                        ; implicit-def: $vgpr18
	s_and_saveexec_b64 s[4:5], vcc
	s_xor_b64 s[4:5], exec, s[4:5]
; %bb.134:                              ;   in Loop: Header=BB31_102 Depth=1
	v_bfe_u32 v18, v4, 20, 1
	v_add3_u32 v18, v4, v18, s9
	v_lshrrev_b32_e32 v18, 20, v18
; %bb.135:                              ;   in Loop: Header=BB31_102 Depth=1
	s_andn2_saveexec_b64 s[4:5], s[4:5]
; %bb.136:                              ;   in Loop: Header=BB31_102 Depth=1
	v_add_f32_e64 v18, |v4|, s10
; %bb.137:                              ;   in Loop: Header=BB31_102 Depth=1
	s_or_b64 exec, exec, s[4:5]
.LBB31_138:                             ;   in Loop: Header=BB31_102 Depth=1
	s_or_b64 exec, exec, s[0:1]
	v_lshlrev_b32_e32 v20, 16, v5
	v_div_scale_f32 v21, s[0:1], v0, v0, v20
	v_rcp_f32_e32 v22, v21
	v_div_scale_f32 v23, vcc, v20, v0, v20
	v_fma_f32 v24, -v21, v22, 1.0
	v_fmac_f32_e32 v22, v24, v22
	v_mul_f32_e32 v24, v23, v22
	v_fma_f32 v25, -v21, v24, v23
	v_fmac_f32_e32 v24, v25, v22
	v_fma_f32 v21, -v21, v24, v23
	v_div_fmas_f32 v21, v21, v22, v24
	v_div_fixup_f32 v20, v21, v0, v20
	v_max_f32_e32 v20, v20, v9
	v_min_f32_e32 v20, v20, v10
	v_and_b32_e32 v23, 0x7fffffff, v20
	v_cmp_gt_u32_e32 vcc, s7, v23
	v_mov_b32_e32 v22, 0x7f
	v_mov_b32_e32 v21, 0x7f
	s_and_saveexec_b64 s[0:1], vcc
	s_cbranch_execz .LBB31_144
; %bb.139:                              ;   in Loop: Header=BB31_102 Depth=1
	v_cmp_lt_u32_e32 vcc, s8, v23
                                        ; implicit-def: $vgpr21
	s_and_saveexec_b64 s[4:5], vcc
	s_xor_b64 s[4:5], exec, s[4:5]
; %bb.140:                              ;   in Loop: Header=BB31_102 Depth=1
	v_bfe_u32 v21, v20, 20, 1
	v_add3_u32 v21, v20, v21, s9
	v_lshrrev_b32_e32 v21, 20, v21
; %bb.141:                              ;   in Loop: Header=BB31_102 Depth=1
	s_andn2_saveexec_b64 s[4:5], s[4:5]
; %bb.142:                              ;   in Loop: Header=BB31_102 Depth=1
	v_add_f32_e64 v21, |v20|, s10
; %bb.143:                              ;   in Loop: Header=BB31_102 Depth=1
	s_or_b64 exec, exec, s[4:5]
.LBB31_144:                             ;   in Loop: Header=BB31_102 Depth=1
	s_or_b64 exec, exec, s[0:1]
	v_and_b32_e32 v5, 0xffff0000, v5
	v_div_scale_f32 v23, s[0:1], v0, v0, v5
	v_rcp_f32_e32 v24, v23
	v_div_scale_f32 v25, vcc, v5, v0, v5
	v_fma_f32 v26, -v23, v24, 1.0
	v_fmac_f32_e32 v24, v26, v24
	v_mul_f32_e32 v26, v25, v24
	v_fma_f32 v27, -v23, v26, v25
	v_fmac_f32_e32 v26, v27, v24
	v_fma_f32 v23, -v23, v26, v25
	v_div_fmas_f32 v23, v23, v24, v26
	v_div_fixup_f32 v5, v23, v0, v5
	v_max_f32_e32 v5, v5, v9
	v_min_f32_e32 v5, v5, v10
	v_and_b32_e32 v23, 0x7fffffff, v5
	v_cmp_gt_u32_e32 vcc, s7, v23
	s_and_saveexec_b64 s[0:1], vcc
	s_cbranch_execz .LBB31_101
; %bb.145:                              ;   in Loop: Header=BB31_102 Depth=1
	v_cmp_lt_u32_e32 vcc, s8, v23
                                        ; implicit-def: $vgpr22
	s_and_saveexec_b64 s[4:5], vcc
	s_xor_b64 s[4:5], exec, s[4:5]
; %bb.146:                              ;   in Loop: Header=BB31_102 Depth=1
	v_bfe_u32 v22, v5, 20, 1
	v_add3_u32 v22, v5, v22, s9
	v_lshrrev_b32_e32 v22, 20, v22
; %bb.147:                              ;   in Loop: Header=BB31_102 Depth=1
	s_andn2_saveexec_b64 s[4:5], s[4:5]
	s_cbranch_execz .LBB31_100
; %bb.148:                              ;   in Loop: Header=BB31_102 Depth=1
	v_add_f32_e64 v22, |v5|, s10
	s_branch .LBB31_100
.LBB31_149:
	s_endpgm
	.section	.rodata,"a",@progbits
	.p2align	6, 0x0
	.amdhsa_kernel _Z33per_token_group_quant_8bit_kernelIN3c108BFloat16ENS0_13Float8_e4m3fnELb0ELb0EfEvPKT_PvPT3_iiifffii
		.amdhsa_group_segment_fixed_size 0
		.amdhsa_private_segment_fixed_size 0
		.amdhsa_kernarg_size 56
		.amdhsa_user_sgpr_count 6
		.amdhsa_user_sgpr_private_segment_buffer 1
		.amdhsa_user_sgpr_dispatch_ptr 0
		.amdhsa_user_sgpr_queue_ptr 0
		.amdhsa_user_sgpr_kernarg_segment_ptr 1
		.amdhsa_user_sgpr_dispatch_id 0
		.amdhsa_user_sgpr_flat_scratch_init 0
		.amdhsa_user_sgpr_kernarg_preload_length 0
		.amdhsa_user_sgpr_kernarg_preload_offset 0
		.amdhsa_user_sgpr_private_segment_size 0
		.amdhsa_uses_dynamic_stack 0
		.amdhsa_system_sgpr_private_segment_wavefront_offset 0
		.amdhsa_system_sgpr_workgroup_id_x 1
		.amdhsa_system_sgpr_workgroup_id_y 0
		.amdhsa_system_sgpr_workgroup_id_z 0
		.amdhsa_system_sgpr_workgroup_info 0
		.amdhsa_system_vgpr_workitem_id 0
		.amdhsa_next_free_vgpr 60
		.amdhsa_next_free_sgpr 26
		.amdhsa_accum_offset 60
		.amdhsa_reserve_vcc 1
		.amdhsa_reserve_flat_scratch 0
		.amdhsa_float_round_mode_32 0
		.amdhsa_float_round_mode_16_64 0
		.amdhsa_float_denorm_mode_32 3
		.amdhsa_float_denorm_mode_16_64 3
		.amdhsa_dx10_clamp 1
		.amdhsa_ieee_mode 1
		.amdhsa_fp16_overflow 0
		.amdhsa_tg_split 0
		.amdhsa_exception_fp_ieee_invalid_op 0
		.amdhsa_exception_fp_denorm_src 0
		.amdhsa_exception_fp_ieee_div_zero 0
		.amdhsa_exception_fp_ieee_overflow 0
		.amdhsa_exception_fp_ieee_underflow 0
		.amdhsa_exception_fp_ieee_inexact 0
		.amdhsa_exception_int_div_zero 0
	.end_amdhsa_kernel
	.section	.text._Z33per_token_group_quant_8bit_kernelIN3c108BFloat16ENS0_13Float8_e4m3fnELb0ELb0EfEvPKT_PvPT3_iiifffii,"axG",@progbits,_Z33per_token_group_quant_8bit_kernelIN3c108BFloat16ENS0_13Float8_e4m3fnELb0ELb0EfEvPKT_PvPT3_iiifffii,comdat
.Lfunc_end31:
	.size	_Z33per_token_group_quant_8bit_kernelIN3c108BFloat16ENS0_13Float8_e4m3fnELb0ELb0EfEvPKT_PvPT3_iiifffii, .Lfunc_end31-_Z33per_token_group_quant_8bit_kernelIN3c108BFloat16ENS0_13Float8_e4m3fnELb0ELb0EfEvPKT_PvPT3_iiifffii
                                        ; -- End function
	.section	.AMDGPU.csdata,"",@progbits
; Kernel info:
; codeLenInByte = 6608
; NumSgprs: 30
; NumVgprs: 60
; NumAgprs: 0
; TotalNumVgprs: 60
; ScratchSize: 0
; MemoryBound: 0
; FloatMode: 240
; IeeeMode: 1
; LDSByteSize: 0 bytes/workgroup (compile time only)
; SGPRBlocks: 3
; VGPRBlocks: 7
; NumSGPRsForWavesPerEU: 30
; NumVGPRsForWavesPerEU: 60
; AccumOffset: 60
; Occupancy: 8
; WaveLimiterHint : 0
; COMPUTE_PGM_RSRC2:SCRATCH_EN: 0
; COMPUTE_PGM_RSRC2:USER_SGPR: 6
; COMPUTE_PGM_RSRC2:TRAP_HANDLER: 0
; COMPUTE_PGM_RSRC2:TGID_X_EN: 1
; COMPUTE_PGM_RSRC2:TGID_Y_EN: 0
; COMPUTE_PGM_RSRC2:TGID_Z_EN: 0
; COMPUTE_PGM_RSRC2:TIDIG_COMP_CNT: 0
; COMPUTE_PGM_RSRC3_GFX90A:ACCUM_OFFSET: 14
; COMPUTE_PGM_RSRC3_GFX90A:TG_SPLIT: 0
	.section	.text._Z33per_token_group_quant_8bit_kernelIN3c108BFloat16ENS0_15Float8_e4m3fnuzELb1ELb1EfEvPKT_PvPT3_iiifffii,"axG",@progbits,_Z33per_token_group_quant_8bit_kernelIN3c108BFloat16ENS0_15Float8_e4m3fnuzELb1ELb1EfEvPKT_PvPT3_iiifffii,comdat
	.protected	_Z33per_token_group_quant_8bit_kernelIN3c108BFloat16ENS0_15Float8_e4m3fnuzELb1ELb1EfEvPKT_PvPT3_iiifffii ; -- Begin function _Z33per_token_group_quant_8bit_kernelIN3c108BFloat16ENS0_15Float8_e4m3fnuzELb1ELb1EfEvPKT_PvPT3_iiifffii
	.globl	_Z33per_token_group_quant_8bit_kernelIN3c108BFloat16ENS0_15Float8_e4m3fnuzELb1ELb1EfEvPKT_PvPT3_iiifffii
	.p2align	8
	.type	_Z33per_token_group_quant_8bit_kernelIN3c108BFloat16ENS0_15Float8_e4m3fnuzELb1ELb1EfEvPKT_PvPT3_iiifffii,@function
_Z33per_token_group_quant_8bit_kernelIN3c108BFloat16ENS0_15Float8_e4m3fnuzELb1ELb1EfEvPKT_PvPT3_iiifffii: ; @_Z33per_token_group_quant_8bit_kernelIN3c108BFloat16ENS0_15Float8_e4m3fnuzELb1ELb1EfEvPKT_PvPT3_iiifffii
; %bb.0:
	s_load_dword s31, s[4:5], 0x18
	s_load_dwordx2 s[0:1], s[4:5], 0x0
	s_load_dwordx4 s[16:19], s[4:5], 0x20
	s_load_dwordx2 s[2:3], s[4:5], 0x30
	v_lshrrev_b32_e32 v2, 4, v0
	s_waitcnt lgkmcnt(0)
	s_ashr_i32 s8, s31, 31
	v_and_b32_e32 v24, 15, v0
	s_mul_i32 s6, s6, s16
	v_add_co_u32_e32 v7, vcc, s6, v2
	v_addc_co_u32_e64 v8, s[6:7], 0, 0, vcc
	v_mul_lo_u32 v0, v8, s31
	v_mul_lo_u32 v1, v7, s8
	v_mad_u64_u32 v[12:13], s[6:7], v7, s31, 0
	v_add3_u32 v13, v13, v1, v0
	v_lshlrev_b64 v[0:1], 1, v[12:13]
	s_and_b32 s8, s31, 7
	v_mov_b32_e32 v4, s1
	v_add_co_u32_e32 v3, vcc, s0, v0
	s_cmp_eq_u32 s8, 0
	v_addc_co_u32_e32 v4, vcc, v4, v1, vcc
	v_mov_b32_e32 v11, 0
	v_and_b32_e32 v10, 15, v3
	s_cselect_b64 s[6:7], -1, 0
	s_cmp_lg_u32 s8, 0
	v_mul_lo_u32 v25, v2, s31
	v_cmp_ne_u64_e32 vcc, 0, v[10:11]
	s_cselect_b64 s[8:9], -1, 0
	v_lshl_add_u32 v6, v25, 1, 0
	s_or_b64 s[8:9], s[8:9], vcc
                                        ; implicit-def: $vgpr9
	s_and_saveexec_b64 s[10:11], s[8:9]
	s_xor_b64 s[8:9], exec, s[10:11]
	s_cbranch_execz .LBB32_12
; %bb.1:
	v_sub_u32_e32 v2, 0, v3
	v_bfe_u32 v2, v2, 1, 3
	v_min_i32_e32 v2, s31, v2
	v_cmp_gt_i32_e32 vcc, v2, v24
	v_mov_b32_e32 v9, s17
	s_and_saveexec_b64 s[10:11], vcc
	s_cbranch_execz .LBB32_3
; %bb.2:
	v_lshlrev_b32_e32 v5, 1, v24
	v_add_co_u32_e32 v10, vcc, v3, v5
	v_addc_co_u32_e32 v11, vcc, 0, v4, vcc
	global_load_ushort v3, v[10:11], off
	v_max_f32_e64 v4, s17, s17
	v_add_u32_e32 v5, v6, v5
	s_waitcnt vmcnt(0)
	v_lshlrev_b32_e32 v9, 16, v3
	v_max_f32_e64 v9, |v9|, |v9|
	v_max_f32_e32 v9, v4, v9
	ds_write_b16 v5, v3
.LBB32_3:
	s_or_b64 exec, exec, s[10:11]
	v_sub_u32_e32 v10, s31, v2
	v_ashrrev_i32_e32 v4, 31, v10
	v_lshrrev_b32_e32 v4, 29, v4
	v_add_u32_e32 v4, v10, v4
	v_ashrrev_i32_e32 v3, 31, v2
	v_ashrrev_i32_e32 v11, 3, v4
	v_cmp_gt_i32_e32 vcc, v11, v24
	v_lshlrev_b32_e32 v14, 1, v2
	v_lshlrev_b64 v[2:3], 1, v[2:3]
	s_and_saveexec_b64 s[10:11], vcc
	s_cbranch_execz .LBB32_7
; %bb.4:
	v_lshlrev_b32_e32 v4, 4, v24
	v_lshl_add_u32 v5, v25, 1, v4
	v_add_co_u32_e32 v4, vcc, v0, v4
	v_add3_u32 v15, v5, v14, 0
	v_addc_co_u32_e32 v5, vcc, 0, v1, vcc
	v_add_co_u32_e32 v4, vcc, v4, v2
	v_addc_co_u32_e32 v5, vcc, v5, v3, vcc
	v_mov_b32_e32 v16, s1
	v_add_co_u32_e32 v4, vcc, s0, v4
	v_addc_co_u32_e32 v5, vcc, v5, v16, vcc
	v_add_co_u32_e32 v4, vcc, 8, v4
	v_addc_co_u32_e32 v5, vcc, 0, v5, vcc
	s_mov_b64 s[12:13], 0
	v_mov_b32_e32 v16, v24
.LBB32_5:                               ; =>This Inner Loop Header: Depth=1
	global_load_dwordx4 v[18:21], v[4:5], off offset:-8
	v_add_co_u32_e32 v4, vcc, 0x100, v4
	v_add_u32_e32 v16, 16, v16
	v_addc_co_u32_e32 v5, vcc, 0, v5, vcc
	v_cmp_ge_i32_e32 vcc, v16, v11
	s_or_b64 s[12:13], vcc, s[12:13]
	s_waitcnt vmcnt(0)
	v_lshlrev_b32_e32 v17, 16, v18
	v_and_b32_e32 v22, 0xffff0000, v18
	v_lshlrev_b32_e32 v23, 16, v19
	v_and_b32_e32 v26, 0xffff0000, v19
	v_max3_f32 v9, v9, |v17|, |v22|
	v_lshlrev_b32_e32 v27, 16, v20
	v_and_b32_e32 v28, 0xffff0000, v20
	v_max3_f32 v9, v9, |v23|, |v26|
	;; [unrolled: 3-line block ×3, first 2 shown]
	ds_write_b128 v15, v[18:21]
	v_add_u32_e32 v15, 0x100, v15
	v_max3_f32 v9, v9, |v29|, |v30|
	s_andn2_b64 exec, exec, s[12:13]
	s_cbranch_execnz .LBB32_5
; %bb.6:
	s_or_b64 exec, exec, s[12:13]
.LBB32_7:
	s_or_b64 exec, exec, s[10:11]
	v_lshl_add_u32 v4, v11, 3, v24
	v_cmp_lt_i32_e32 vcc, v4, v10
	s_and_saveexec_b64 s[10:11], vcc
	s_cbranch_execz .LBB32_11
; %bb.8:
	v_lshlrev_b32_e32 v5, 1, v25
	v_lshlrev_b32_e32 v11, 4, v11
	v_add3_u32 v5, v5, v11, v14
	v_lshlrev_b32_e32 v11, 1, v24
	v_add3_u32 v11, v5, v11, 0
	v_add_co_u32_e32 v2, vcc, v0, v2
	v_ashrrev_i32_e32 v5, 31, v4
	v_addc_co_u32_e32 v3, vcc, v1, v3, vcc
	v_lshlrev_b64 v[0:1], 1, v[4:5]
	v_add_co_u32_e32 v0, vcc, v2, v0
	v_addc_co_u32_e32 v1, vcc, v3, v1, vcc
	v_mov_b32_e32 v2, s1
	v_add_co_u32_e32 v0, vcc, s0, v0
	v_addc_co_u32_e32 v1, vcc, v2, v1, vcc
	s_mov_b64 s[12:13], 0
.LBB32_9:                               ; =>This Inner Loop Header: Depth=1
	global_load_ushort v2, v[0:1], off
	v_add_co_u32_e32 v0, vcc, 32, v0
	v_add_u32_e32 v4, 16, v4
	v_addc_co_u32_e32 v1, vcc, 0, v1, vcc
	v_max_f32_e32 v3, v9, v9
	v_cmp_ge_i32_e32 vcc, v4, v10
	s_or_b64 s[12:13], vcc, s[12:13]
	s_waitcnt vmcnt(0)
	v_lshlrev_b32_e32 v5, 16, v2
	ds_write_b16 v11, v2
	v_max_f32_e64 v2, |v5|, |v5|
	v_add_u32_e32 v11, 32, v11
	v_max_f32_e32 v9, v3, v2
	s_andn2_b64 exec, exec, s[12:13]
	s_cbranch_execnz .LBB32_9
; %bb.10:
	s_or_b64 exec, exec, s[12:13]
.LBB32_11:
	s_or_b64 exec, exec, s[10:11]
                                        ; implicit-def: $vgpr0_vgpr1
.LBB32_12:
	s_andn2_saveexec_b64 s[8:9], s[8:9]
	s_cbranch_execz .LBB32_18
; %bb.13:
	s_ashr_i32 s12, s31, 3
	v_cmp_gt_i32_e32 vcc, s12, v24
	v_mov_b32_e32 v9, s17
	s_and_saveexec_b64 s[10:11], vcc
	s_cbranch_execz .LBB32_17
; %bb.14:
	v_lshlrev_b32_e32 v3, 4, v24
	v_add_co_u32_e32 v0, vcc, v0, v3
	v_lshlrev_b32_e32 v2, 1, v25
	v_addc_co_u32_e32 v1, vcc, 0, v1, vcc
	v_add3_u32 v2, v2, v3, 0
	v_mov_b32_e32 v3, s1
	v_add_co_u32_e32 v0, vcc, s0, v0
	v_addc_co_u32_e32 v1, vcc, v1, v3, vcc
	v_add_co_u32_e32 v0, vcc, 8, v0
	v_addc_co_u32_e32 v1, vcc, 0, v1, vcc
	s_mov_b64 s[0:1], 0
	v_mov_b32_e32 v9, s17
	v_mov_b32_e32 v3, v24
.LBB32_15:                              ; =>This Inner Loop Header: Depth=1
	global_load_dwordx4 v[14:17], v[0:1], off offset:-8
	v_add_co_u32_e32 v0, vcc, 0x100, v0
	v_add_u32_e32 v3, 16, v3
	v_addc_co_u32_e32 v1, vcc, 0, v1, vcc
	v_cmp_le_i32_e32 vcc, s12, v3
	s_or_b64 s[0:1], vcc, s[0:1]
	s_waitcnt vmcnt(0)
	v_lshlrev_b32_e32 v4, 16, v14
	v_and_b32_e32 v5, 0xffff0000, v14
	v_lshlrev_b32_e32 v10, 16, v15
	v_and_b32_e32 v11, 0xffff0000, v15
	v_max3_f32 v4, v9, |v4|, |v5|
	v_lshlrev_b32_e32 v18, 16, v16
	v_and_b32_e32 v19, 0xffff0000, v16
	v_max3_f32 v4, v4, |v10|, |v11|
	;; [unrolled: 3-line block ×3, first 2 shown]
	ds_write_b128 v2, v[14:17]
	v_add_u32_e32 v2, 0x100, v2
	v_max3_f32 v9, v4, |v20|, |v21|
	s_andn2_b64 exec, exec, s[0:1]
	s_cbranch_execnz .LBB32_15
; %bb.16:
	s_or_b64 exec, exec, s[0:1]
.LBB32_17:
	s_or_b64 exec, exec, s[10:11]
.LBB32_18:
	s_or_b64 exec, exec, s[8:9]
	v_mbcnt_lo_u32_b32 v0, -1, 0
	v_mbcnt_hi_u32_b32 v0, -1, v0
	v_and_b32_e32 v2, 0x70, v0
	v_xor_b32_e32 v1, 8, v0
	v_add_u32_e32 v2, 16, v2
	v_cmp_lt_i32_e32 vcc, v1, v2
	v_cndmask_b32_e32 v1, v0, v1, vcc
	v_lshlrev_b32_e32 v1, 2, v1
	ds_bpermute_b32 v1, v1, v9
	v_xor_b32_e32 v4, 4, v0
	v_max_f32_e32 v3, v9, v9
	v_cmp_lt_i32_e32 vcc, v4, v2
	s_load_dwordx2 s[20:21], s[4:5], 0x8
	s_waitcnt lgkmcnt(0)
	v_max_f32_e32 v1, v1, v1
	v_max_f32_e32 v1, v3, v1
	v_cndmask_b32_e32 v3, v0, v4, vcc
	v_lshlrev_b32_e32 v3, 2, v3
	ds_bpermute_b32 v3, v3, v1
	v_xor_b32_e32 v4, 2, v0
	v_cmp_lt_i32_e32 vcc, v4, v2
	s_waitcnt lgkmcnt(0)
	v_max_f32_e32 v3, v3, v3
	v_max_f32_e32 v1, v1, v3
	v_cndmask_b32_e32 v3, v0, v4, vcc
	v_lshlrev_b32_e32 v3, 2, v3
	ds_bpermute_b32 v3, v3, v1
	v_xor_b32_e32 v4, 1, v0
	v_cmp_lt_i32_e32 vcc, v4, v2
	v_cndmask_b32_e32 v0, v0, v4, vcc
	v_lshlrev_b32_e32 v0, 2, v0
	s_waitcnt lgkmcnt(0)
	v_max_f32_e32 v3, v3, v3
	v_max_f32_e32 v1, v1, v3
	ds_bpermute_b32 v0, v0, v1
	s_waitcnt lgkmcnt(0)
	v_max_f32_e32 v0, v0, v0
	v_max_f32_e32 v0, v1, v0
	v_div_scale_f32 v1, s[0:1], s19, s19, v0
	v_rcp_f32_e32 v2, v1
	v_div_scale_f32 v3, vcc, v0, s19, v0
	s_mov_b32 s0, 0x2edbe6ff
	v_fma_f32 v4, -v1, v2, 1.0
	v_fmac_f32_e32 v2, v4, v2
	v_mul_f32_e32 v4, v3, v2
	v_fma_f32 v5, -v1, v4, v3
	v_fmac_f32_e32 v4, v5, v2
	v_fma_f32 v1, -v1, v4, v3
	v_div_fmas_f32 v1, v1, v2, v4
	v_div_fixup_f32 v0, v1, s19, v0
	v_max_f32_e64 v0, |v0|, s0
	s_mov_b32 s0, 0x800000
	v_mov_b32_e32 v1, 0x4f800000
	v_cmp_gt_f32_e32 vcc, s0, v0
	v_cndmask_b32_e32 v1, 1.0, v1, vcc
	v_mul_f32_e32 v0, v0, v1
	v_log_f32_e32 v0, v0
	v_mov_b32_e32 v1, 0x42000000
	v_cndmask_b32_e32 v1, 0, v1, vcc
	s_mov_b32 s0, 0xc2fc0000
	v_sub_f32_e32 v0, v0, v1
	v_ceil_f32_e32 v0, v0
	v_mov_b32_e32 v1, 0x42800000
	v_cmp_gt_f32_e32 vcc, s0, v0
	v_cndmask_b32_e32 v1, 0, v1, vcc
	v_add_f32_e32 v0, v0, v1
	v_exp_f32_e32 v0, v0
	v_mov_b32_e32 v1, 0x1f800000
	v_cndmask_b32_e32 v1, 1.0, v1, vcc
	v_cmp_eq_u32_e32 vcc, 0, v24
	v_mul_f32_e32 v0, v0, v1
	s_and_saveexec_b64 s[8:9], vcc
	s_cbranch_execz .LBB32_24
; %bb.19:
	s_load_dwordx2 s[4:5], s[4:5], 0x10
	s_ashr_i32 s0, s2, 31
	v_or_b32_e32 v3, s0, v8
	v_mov_b32_e32 v2, 0
	v_cmp_ne_u64_e32 vcc, 0, v[2:3]
                                        ; implicit-def: $vgpr2_vgpr3
	s_and_saveexec_b64 s[10:11], vcc
	s_xor_b64 s[10:11], exec, s[10:11]
	s_cbranch_execz .LBB32_21
; %bb.20:
	s_add_u32 s14, s2, s0
	s_mov_b32 s12, s0
	s_mov_b32 s13, s0
	s_addc_u32 s15, s0, s0
	s_xor_b64 s[14:15], s[14:15], s[12:13]
	v_cvt_f32_u32_e32 v1, s14
	v_cvt_f32_u32_e32 v2, s15
	s_sub_u32 s0, 0, s14
	s_subb_u32 s1, 0, s15
	v_madmk_f32 v1, v2, 0x4f800000, v1
	v_rcp_f32_e32 v1, v1
	v_mul_f32_e32 v1, 0x5f7ffffc, v1
	v_mul_f32_e32 v2, 0x2f800000, v1
	v_trunc_f32_e32 v2, v2
	v_madmk_f32 v1, v2, 0xcf800000, v1
	v_cvt_u32_f32_e32 v2, v2
	v_cvt_u32_f32_e32 v1, v1
	v_mul_lo_u32 v3, s0, v2
	v_mul_hi_u32 v5, s0, v1
	v_mul_lo_u32 v4, s1, v1
	v_add_u32_e32 v3, v5, v3
	v_mul_lo_u32 v9, s0, v1
	v_add_u32_e32 v3, v3, v4
	v_mul_lo_u32 v5, v1, v3
	v_mul_hi_u32 v10, v1, v9
	v_mul_hi_u32 v4, v1, v3
	v_add_co_u32_e32 v5, vcc, v10, v5
	v_addc_co_u32_e32 v4, vcc, 0, v4, vcc
	v_mul_hi_u32 v11, v2, v9
	v_mul_lo_u32 v9, v2, v9
	v_add_co_u32_e32 v5, vcc, v5, v9
	v_mul_hi_u32 v10, v2, v3
	v_addc_co_u32_e32 v4, vcc, v4, v11, vcc
	v_addc_co_u32_e32 v5, vcc, 0, v10, vcc
	v_mul_lo_u32 v3, v2, v3
	v_add_co_u32_e32 v3, vcc, v4, v3
	v_addc_co_u32_e32 v4, vcc, 0, v5, vcc
	v_add_co_u32_e32 v1, vcc, v1, v3
	v_addc_co_u32_e32 v2, vcc, v2, v4, vcc
	v_mul_lo_u32 v3, s0, v2
	v_mul_hi_u32 v4, s0, v1
	v_add_u32_e32 v3, v4, v3
	v_mul_lo_u32 v4, s1, v1
	v_add_u32_e32 v3, v3, v4
	v_mul_lo_u32 v5, s0, v1
	v_mul_hi_u32 v9, v2, v5
	v_mul_lo_u32 v10, v2, v5
	v_mul_lo_u32 v14, v1, v3
	v_mul_hi_u32 v5, v1, v5
	v_mul_hi_u32 v11, v1, v3
	v_add_co_u32_e32 v5, vcc, v5, v14
	v_addc_co_u32_e32 v11, vcc, 0, v11, vcc
	v_add_co_u32_e32 v5, vcc, v5, v10
	v_mul_hi_u32 v4, v2, v3
	v_addc_co_u32_e32 v5, vcc, v11, v9, vcc
	v_addc_co_u32_e32 v4, vcc, 0, v4, vcc
	v_mul_lo_u32 v3, v2, v3
	v_add_co_u32_e32 v3, vcc, v5, v3
	v_addc_co_u32_e32 v4, vcc, 0, v4, vcc
	v_add_co_u32_e32 v1, vcc, v1, v3
	v_addc_co_u32_e32 v4, vcc, v2, v4, vcc
	v_mad_u64_u32 v[2:3], s[0:1], v7, v4, 0
	v_mul_hi_u32 v5, v7, v1
	v_add_co_u32_e32 v9, vcc, v5, v2
	v_addc_co_u32_e32 v10, vcc, 0, v3, vcc
	v_mad_u64_u32 v[2:3], s[0:1], v8, v4, 0
	v_mad_u64_u32 v[4:5], s[0:1], v8, v1, 0
	v_add_co_u32_e32 v1, vcc, v9, v4
	v_addc_co_u32_e32 v1, vcc, v10, v5, vcc
	v_addc_co_u32_e32 v3, vcc, 0, v3, vcc
	v_add_co_u32_e32 v1, vcc, v1, v2
	v_addc_co_u32_e32 v2, vcc, 0, v3, vcc
	v_mul_lo_u32 v4, s15, v1
	v_mul_lo_u32 v5, s14, v2
	v_mad_u64_u32 v[2:3], s[0:1], s14, v1, 0
	v_add3_u32 v3, v3, v5, v4
	v_sub_u32_e32 v4, v8, v3
	v_mov_b32_e32 v5, s15
	v_sub_co_u32_e32 v2, vcc, v7, v2
	v_subb_co_u32_e64 v4, s[0:1], v4, v5, vcc
	v_subrev_co_u32_e64 v5, s[0:1], s14, v2
	v_subbrev_co_u32_e64 v4, s[0:1], 0, v4, s[0:1]
	v_cmp_le_u32_e64 s[0:1], s15, v4
	v_subb_co_u32_e32 v3, vcc, v8, v3, vcc
	v_cndmask_b32_e64 v9, 0, -1, s[0:1]
	v_cmp_le_u32_e64 s[0:1], s14, v5
	v_cmp_le_u32_e32 vcc, s15, v3
	v_cndmask_b32_e64 v5, 0, -1, s[0:1]
	v_cmp_eq_u32_e64 s[0:1], s15, v4
	v_cndmask_b32_e64 v8, 0, -1, vcc
	v_cmp_le_u32_e32 vcc, s14, v2
	v_cndmask_b32_e64 v4, v9, v5, s[0:1]
	v_cndmask_b32_e64 v2, 0, -1, vcc
	v_cmp_eq_u32_e32 vcc, s15, v3
	v_add_co_u32_e64 v5, s[0:1], 2, v1
	v_add_co_u32_e64 v9, s[0:1], 1, v1
	v_cndmask_b32_e32 v2, v8, v2, vcc
	v_cmp_ne_u32_e32 vcc, 0, v4
	v_cndmask_b32_e32 v3, v9, v5, vcc
	v_cmp_ne_u32_e32 vcc, 0, v2
	v_cndmask_b32_e32 v1, v1, v3, vcc
	v_xor_b32_e32 v1, s12, v1
	v_subrev_co_u32_e32 v2, vcc, s12, v1
.LBB32_21:
	s_andn2_saveexec_b64 s[0:1], s[10:11]
	s_cbranch_execz .LBB32_23
; %bb.22:
	v_cvt_f32_u32_e32 v1, s2
	s_sub_i32 s10, 0, s2
	v_rcp_iflag_f32_e32 v1, v1
	v_mul_f32_e32 v1, 0x4f7ffffe, v1
	v_cvt_u32_f32_e32 v1, v1
	v_mul_lo_u32 v2, s10, v1
	v_mul_hi_u32 v2, v1, v2
	v_add_u32_e32 v1, v1, v2
	v_mul_hi_u32 v1, v7, v1
	v_mul_lo_u32 v2, v1, s2
	v_sub_u32_e32 v2, v7, v2
	v_add_u32_e32 v3, 1, v1
	v_subrev_u32_e32 v4, s2, v2
	v_cmp_le_u32_e32 vcc, s2, v2
	v_cndmask_b32_e32 v2, v2, v4, vcc
	v_cndmask_b32_e32 v1, v1, v3, vcc
	v_add_u32_e32 v3, 1, v1
	v_cmp_le_u32_e32 vcc, s2, v2
	v_cndmask_b32_e32 v2, v1, v3, vcc
.LBB32_23:
	s_or_b64 exec, exec, s[0:1]
	v_mul_lo_u32 v1, v2, s2
	v_sub_u32_e32 v1, v7, v1
	v_mad_u64_u32 v[2:3], s[0:1], v1, s3, v[2:3]
	v_ashrrev_i32_e32 v3, 31, v2
	v_lshlrev_b64 v[2:3], 2, v[2:3]
	s_waitcnt lgkmcnt(0)
	v_mov_b32_e32 v1, s5
	v_add_co_u32_e32 v2, vcc, s4, v2
	v_addc_co_u32_e32 v3, vcc, v1, v3, vcc
	global_store_dword v[2:3], v0, off
.LBB32_24:
	s_or_b64 exec, exec, s[8:9]
	v_and_b32_e32 v2, 15, v6
	v_mov_b32_e32 v3, 0
	v_cmp_ne_u64_e32 vcc, 0, v[2:3]
	s_xor_b64 s[0:1], s[6:7], -1
	s_or_b64 s[0:1], s[0:1], vcc
	s_barrier
	s_and_saveexec_b64 s[2:3], s[0:1]
	s_xor_b64 s[22:23], exec, s[2:3]
	s_cbranch_execz .LBB32_119
; %bb.25:
	v_mov_b32_e32 v2, s21
	v_add_co_u32_e32 v1, vcc, s20, v12
	v_addc_co_u32_e32 v30, vcc, v2, v13, vcc
	v_sub_u32_e32 v2, 0, v6
	v_bfe_u32 v2, v2, 1, 3
	v_min_i32_e32 v27, s31, v2
	v_cmp_gt_i32_e32 vcc, v27, v24
	s_and_saveexec_b64 s[0:1], vcc
	s_cbranch_execz .LBB32_33
; %bb.26:
	v_lshl_add_u32 v2, v24, 1, v6
	ds_read_u16 v2, v2
	v_max_f32_e64 v3, s18, s18
	v_max_f32_e64 v4, s19, s19
	s_waitcnt lgkmcnt(0)
	v_lshlrev_b32_e32 v2, 16, v2
	v_div_scale_f32 v5, s[2:3], v0, v0, v2
	v_rcp_f32_e32 v6, v5
	v_div_scale_f32 v7, vcc, v2, v0, v2
	s_mov_b32 s2, 0x43800000
	v_fma_f32 v8, -v5, v6, 1.0
	v_fmac_f32_e32 v6, v8, v6
	v_mul_f32_e32 v8, v7, v6
	v_fma_f32 v9, -v5, v8, v7
	v_fmac_f32_e32 v8, v9, v6
	v_fma_f32 v5, -v5, v8, v7
	v_div_fmas_f32 v5, v5, v6, v8
	v_div_fixup_f32 v2, v5, v0, v2
	v_max_f32_e32 v2, v2, v3
	v_min_f32_e32 v2, v2, v4
	v_and_b32_e32 v3, 0x7fffffff, v2
	v_cmp_gt_u32_e32 vcc, s2, v3
	v_mov_b32_e32 v4, 0x80
	s_and_saveexec_b64 s[2:3], vcc
	s_cbranch_execz .LBB32_32
; %bb.27:
	s_mov_b32 s4, 0x3bffffff
	v_cmp_lt_u32_e32 vcc, s4, v3
	s_mov_b64 s[4:5], 0
                                        ; implicit-def: $vgpr3
	s_and_saveexec_b64 s[6:7], vcc
	s_xor_b64 s[6:7], exec, s[6:7]
	s_cbranch_execnz .LBB32_188
; %bb.28:
	s_or_saveexec_b64 s[6:7], s[6:7]
                                        ; implicit-def: $sgpr8
	s_xor_b64 exec, exec, s[6:7]
	s_cbranch_execnz .LBB32_189
.LBB32_29:
	s_or_b64 exec, exec, s[6:7]
	v_mov_b32_e32 v4, s8
	s_and_saveexec_b64 s[6:7], s[4:5]
.LBB32_30:
	v_lshrrev_b32_e32 v2, 24, v2
	s_movk_i32 s4, 0x80
	v_and_or_b32 v4, v2, s4, v3
.LBB32_31:
	s_or_b64 exec, exec, s[6:7]
.LBB32_32:
	s_or_b64 exec, exec, s[2:3]
	v_add_co_u32_e32 v2, vcc, v1, v24
	v_addc_co_u32_e32 v3, vcc, 0, v30, vcc
	global_store_byte v[2:3], v4, off
.LBB32_33:
	s_or_b64 exec, exec, s[0:1]
	v_sub_u32_e32 v26, s31, v27
	v_ashrrev_i32_e32 v2, 31, v26
	v_lshrrev_b32_e32 v2, 29, v2
	v_add_u32_e32 v2, v26, v2
	v_ashrrev_i32_e32 v31, 3, v2
	v_ashrrev_i32_e32 v28, 31, v27
	v_cmp_gt_i32_e32 vcc, v31, v24
	v_lshlrev_b32_e32 v29, 1, v27
	s_and_saveexec_b64 s[2:3], vcc
	s_cbranch_execz .LBB32_100
; %bb.34:
	v_lshlrev_b32_e32 v2, 4, v24
	v_lshl_add_u32 v2, v25, 1, v2
	v_lshlrev_b32_e32 v3, 1, v27
	v_add3_u32 v32, v2, v3, 0
	v_add_co_u32_e32 v2, vcc, v27, v12
	v_addc_co_u32_e32 v3, vcc, v28, v13, vcc
	v_lshlrev_b32_e32 v4, 3, v24
	v_add_co_u32_e32 v2, vcc, v2, v4
	v_addc_co_u32_e32 v3, vcc, 0, v3, vcc
	v_mov_b32_e32 v4, s21
	v_add_co_u32_e32 v6, vcc, s20, v2
	v_addc_co_u32_e32 v7, vcc, v4, v3, vcc
	s_mov_b64 s[4:5], 0
	v_max_f32_e64 v33, s18, s18
	v_max_f32_e64 v34, s19, s19
	s_mov_b32 s12, 0x43800000
	s_mov_b32 s13, 0x3bffffff
	;; [unrolled: 1-line block ×4, first 2 shown]
	s_movk_i32 s16, 0x80
	s_mov_b32 s17, 0xff00
	s_mov_b32 s24, 0x4020c0c
	v_mov_b32_e32 v35, v24
	s_branch .LBB32_37
.LBB32_35:                              ;   in Loop: Header=BB32_37 Depth=1
	s_or_b64 exec, exec, s[8:9]
.LBB32_36:                              ;   in Loop: Header=BB32_37 Depth=1
	s_or_b64 exec, exec, s[0:1]
	v_lshlrev_b32_e32 v4, 16, v20
	v_lshlrev_b32_e32 v3, 24, v22
	v_and_b32_e32 v4, 0xff0000, v4
	v_or_b32_e32 v3, v3, v4
	v_lshlrev_b32_e32 v4, 8, v18
	v_and_b32_e32 v4, 0xff00, v4
	v_and_b32_e32 v2, 0xff, v2
	v_or3_b32 v3, v3, v4, v2
	v_lshlrev_b32_e32 v2, 16, v16
	v_lshlrev_b32_e32 v4, 8, v8
	v_perm_b32 v2, v14, v2, s24
	v_and_or_b32 v2, v4, s17, v2
	v_or_b32_sdwa v2, v2, v10 dst_sel:DWORD dst_unused:UNUSED_PAD src0_sel:DWORD src1_sel:BYTE_0
	v_add_u32_e32 v35, 16, v35
	global_store_dwordx2 v[6:7], v[2:3], off
	v_add_co_u32_e32 v6, vcc, 0x80, v6
	v_cmp_ge_i32_e64 s[0:1], v35, v31
	v_add_u32_e32 v32, 0x100, v32
	s_or_b64 s[4:5], s[0:1], s[4:5]
	v_addc_co_u32_e32 v7, vcc, 0, v7, vcc
	s_andn2_b64 exec, exec, s[4:5]
	s_cbranch_execz .LBB32_100
.LBB32_37:                              ; =>This Inner Loop Header: Depth=1
	ds_read_b128 v[2:5], v32
	v_mov_b32_e32 v8, 0x80
	v_mov_b32_e32 v9, 0
	s_waitcnt lgkmcnt(0)
	v_lshlrev_b32_e32 v10, 16, v2
	v_div_scale_f32 v11, s[0:1], v0, v0, v10
	v_rcp_f32_e32 v14, v11
	v_div_scale_f32 v15, vcc, v10, v0, v10
	v_fma_f32 v16, -v11, v14, 1.0
	v_fmac_f32_e32 v14, v16, v14
	v_mul_f32_e32 v16, v15, v14
	v_fma_f32 v17, -v11, v16, v15
	v_fmac_f32_e32 v16, v17, v14
	v_fma_f32 v11, -v11, v16, v15
	v_div_fmas_f32 v11, v11, v14, v16
	v_div_fixup_f32 v10, v11, v0, v10
	v_max_f32_e32 v10, v10, v33
	v_min_f32_e32 v14, v10, v34
	v_and_b32_e32 v15, 0x7fffffff, v14
	v_cmp_gt_u32_e32 vcc, s12, v15
	v_pk_mov_b32 v[10:11], v[8:9], v[8:9] op_sel:[0,1]
	s_and_saveexec_b64 s[0:1], vcc
	s_cbranch_execz .LBB32_43
; %bb.38:                               ;   in Loop: Header=BB32_37 Depth=1
	v_cmp_lt_u32_e32 vcc, s13, v15
	s_mov_b64 s[6:7], 0
                                        ; implicit-def: $vgpr9
	s_and_saveexec_b64 s[8:9], vcc
	s_xor_b64 s[8:9], exec, s[8:9]
	s_cbranch_execnz .LBB32_83
; %bb.39:                               ;   in Loop: Header=BB32_37 Depth=1
	s_or_saveexec_b64 s[8:9], s[8:9]
                                        ; implicit-def: $sgpr10_sgpr11
	s_xor_b64 exec, exec, s[8:9]
	s_cbranch_execnz .LBB32_84
.LBB32_40:                              ;   in Loop: Header=BB32_37 Depth=1
	s_or_b64 exec, exec, s[8:9]
	v_pk_mov_b32 v[10:11], s[10:11], s[10:11] op_sel:[0,1]
	s_and_saveexec_b64 s[8:9], s[6:7]
.LBB32_41:                              ;   in Loop: Header=BB32_37 Depth=1
	v_lshrrev_b32_e32 v10, 24, v14
	v_and_or_b32 v10, v10, s16, v9
.LBB32_42:                              ;   in Loop: Header=BB32_37 Depth=1
	s_or_b64 exec, exec, s[8:9]
.LBB32_43:                              ;   in Loop: Header=BB32_37 Depth=1
	s_or_b64 exec, exec, s[0:1]
	v_and_b32_e32 v2, 0xffff0000, v2
	v_div_scale_f32 v9, s[0:1], v0, v0, v2
	v_rcp_f32_e32 v11, v9
	v_div_scale_f32 v14, vcc, v2, v0, v2
	v_fma_f32 v15, -v9, v11, 1.0
	v_fmac_f32_e32 v11, v15, v11
	v_mul_f32_e32 v15, v14, v11
	v_fma_f32 v16, -v9, v15, v14
	v_fmac_f32_e32 v15, v16, v11
	v_fma_f32 v9, -v9, v15, v14
	v_div_fmas_f32 v9, v9, v11, v15
	v_div_fixup_f32 v2, v9, v0, v2
	v_max_f32_e32 v2, v2, v33
	v_min_f32_e32 v2, v2, v34
	v_and_b32_e32 v9, 0x7fffffff, v2
	v_cmp_gt_u32_e32 vcc, s12, v9
	s_and_saveexec_b64 s[0:1], vcc
	s_cbranch_execz .LBB32_49
; %bb.44:                               ;   in Loop: Header=BB32_37 Depth=1
	v_cmp_lt_u32_e32 vcc, s13, v9
	s_mov_b64 s[6:7], 0
                                        ; implicit-def: $vgpr11
	s_and_saveexec_b64 s[8:9], vcc
	s_xor_b64 s[8:9], exec, s[8:9]
	s_cbranch_execnz .LBB32_85
; %bb.45:                               ;   in Loop: Header=BB32_37 Depth=1
	s_or_saveexec_b64 s[8:9], s[8:9]
                                        ; implicit-def: $sgpr10_sgpr11
	s_xor_b64 exec, exec, s[8:9]
	s_cbranch_execnz .LBB32_86
.LBB32_46:                              ;   in Loop: Header=BB32_37 Depth=1
	s_or_b64 exec, exec, s[8:9]
	v_pk_mov_b32 v[8:9], s[10:11], s[10:11] op_sel:[0,1]
	s_and_saveexec_b64 s[8:9], s[6:7]
.LBB32_47:                              ;   in Loop: Header=BB32_37 Depth=1
	v_lshrrev_b32_e32 v2, 24, v2
	v_and_or_b32 v8, v2, s16, v11
.LBB32_48:                              ;   in Loop: Header=BB32_37 Depth=1
	s_or_b64 exec, exec, s[8:9]
.LBB32_49:                              ;   in Loop: Header=BB32_37 Depth=1
	s_or_b64 exec, exec, s[0:1]
	v_lshlrev_b32_e32 v2, 16, v3
	v_div_scale_f32 v9, s[0:1], v0, v0, v2
	v_rcp_f32_e32 v11, v9
	v_div_scale_f32 v14, vcc, v2, v0, v2
	v_fma_f32 v15, -v9, v11, 1.0
	v_fmac_f32_e32 v11, v15, v11
	v_mul_f32_e32 v15, v14, v11
	v_fma_f32 v16, -v9, v15, v14
	v_fmac_f32_e32 v15, v16, v11
	v_fma_f32 v9, -v9, v15, v14
	v_div_fmas_f32 v9, v9, v11, v15
	v_div_fixup_f32 v2, v9, v0, v2
	v_max_f32_e32 v2, v2, v33
	v_min_f32_e32 v2, v2, v34
	v_mov_b32_e32 v14, 0x80
	v_and_b32_e32 v9, 0x7fffffff, v2
	v_mov_b32_e32 v15, 0
	v_cmp_gt_u32_e32 vcc, s12, v9
	v_pk_mov_b32 v[16:17], v[14:15], v[14:15] op_sel:[0,1]
	s_and_saveexec_b64 s[0:1], vcc
	s_cbranch_execz .LBB32_55
; %bb.50:                               ;   in Loop: Header=BB32_37 Depth=1
	v_cmp_lt_u32_e32 vcc, s13, v9
	s_mov_b64 s[6:7], 0
                                        ; implicit-def: $vgpr9
	s_and_saveexec_b64 s[8:9], vcc
	s_xor_b64 s[8:9], exec, s[8:9]
	s_cbranch_execnz .LBB32_87
; %bb.51:                               ;   in Loop: Header=BB32_37 Depth=1
	s_or_saveexec_b64 s[8:9], s[8:9]
                                        ; implicit-def: $sgpr10_sgpr11
	s_xor_b64 exec, exec, s[8:9]
	s_cbranch_execnz .LBB32_88
.LBB32_52:                              ;   in Loop: Header=BB32_37 Depth=1
	s_or_b64 exec, exec, s[8:9]
	v_pk_mov_b32 v[16:17], s[10:11], s[10:11] op_sel:[0,1]
	s_and_saveexec_b64 s[8:9], s[6:7]
.LBB32_53:                              ;   in Loop: Header=BB32_37 Depth=1
	v_lshrrev_b32_e32 v2, 24, v2
	v_and_or_b32 v16, v2, s16, v9
.LBB32_54:                              ;   in Loop: Header=BB32_37 Depth=1
	s_or_b64 exec, exec, s[8:9]
.LBB32_55:                              ;   in Loop: Header=BB32_37 Depth=1
	s_or_b64 exec, exec, s[0:1]
	v_and_b32_e32 v2, 0xffff0000, v3
	v_div_scale_f32 v3, s[0:1], v0, v0, v2
	v_rcp_f32_e32 v9, v3
	v_div_scale_f32 v11, vcc, v2, v0, v2
	v_fma_f32 v15, -v3, v9, 1.0
	v_fmac_f32_e32 v9, v15, v9
	v_mul_f32_e32 v15, v11, v9
	v_fma_f32 v17, -v3, v15, v11
	v_fmac_f32_e32 v15, v17, v9
	v_fma_f32 v3, -v3, v15, v11
	v_div_fmas_f32 v3, v3, v9, v15
	v_div_fixup_f32 v2, v3, v0, v2
	v_max_f32_e32 v2, v2, v33
	v_min_f32_e32 v2, v2, v34
	v_and_b32_e32 v3, 0x7fffffff, v2
	v_cmp_gt_u32_e32 vcc, s12, v3
	s_and_saveexec_b64 s[0:1], vcc
	s_cbranch_execz .LBB32_61
; %bb.56:                               ;   in Loop: Header=BB32_37 Depth=1
	v_cmp_lt_u32_e32 vcc, s13, v3
	s_mov_b64 s[6:7], 0
                                        ; implicit-def: $vgpr3
	s_and_saveexec_b64 s[8:9], vcc
	s_xor_b64 s[8:9], exec, s[8:9]
	s_cbranch_execnz .LBB32_89
; %bb.57:                               ;   in Loop: Header=BB32_37 Depth=1
	s_or_saveexec_b64 s[8:9], s[8:9]
                                        ; implicit-def: $sgpr10_sgpr11
	s_xor_b64 exec, exec, s[8:9]
	s_cbranch_execnz .LBB32_90
.LBB32_58:                              ;   in Loop: Header=BB32_37 Depth=1
	s_or_b64 exec, exec, s[8:9]
	v_pk_mov_b32 v[14:15], s[10:11], s[10:11] op_sel:[0,1]
	s_and_saveexec_b64 s[8:9], s[6:7]
.LBB32_59:                              ;   in Loop: Header=BB32_37 Depth=1
	v_lshrrev_b32_e32 v2, 24, v2
	v_and_or_b32 v14, v2, s16, v3
.LBB32_60:                              ;   in Loop: Header=BB32_37 Depth=1
	s_or_b64 exec, exec, s[8:9]
.LBB32_61:                              ;   in Loop: Header=BB32_37 Depth=1
	s_or_b64 exec, exec, s[0:1]
	v_lshlrev_b32_e32 v2, 16, v4
	v_div_scale_f32 v3, s[0:1], v0, v0, v2
	v_rcp_f32_e32 v9, v3
	v_div_scale_f32 v11, vcc, v2, v0, v2
	v_mov_b32_e32 v18, 0x80
	v_fma_f32 v15, -v3, v9, 1.0
	v_fmac_f32_e32 v9, v15, v9
	v_mul_f32_e32 v15, v11, v9
	v_fma_f32 v17, -v3, v15, v11
	v_fmac_f32_e32 v15, v17, v9
	v_fma_f32 v3, -v3, v15, v11
	v_div_fmas_f32 v3, v3, v9, v15
	v_div_fixup_f32 v2, v3, v0, v2
	v_max_f32_e32 v2, v2, v33
	v_min_f32_e32 v9, v2, v34
	v_and_b32_e32 v11, 0x7fffffff, v9
	v_mov_b32_e32 v19, 0
	v_cmp_gt_u32_e32 vcc, s12, v11
	v_pk_mov_b32 v[2:3], v[18:19], v[18:19] op_sel:[0,1]
	s_and_saveexec_b64 s[0:1], vcc
	s_cbranch_execz .LBB32_67
; %bb.62:                               ;   in Loop: Header=BB32_37 Depth=1
	v_cmp_lt_u32_e32 vcc, s13, v11
	s_mov_b64 s[6:7], 0
                                        ; implicit-def: $vgpr11
	s_and_saveexec_b64 s[8:9], vcc
	s_xor_b64 s[8:9], exec, s[8:9]
	s_cbranch_execnz .LBB32_91
; %bb.63:                               ;   in Loop: Header=BB32_37 Depth=1
	s_or_saveexec_b64 s[8:9], s[8:9]
                                        ; implicit-def: $sgpr10_sgpr11
	s_xor_b64 exec, exec, s[8:9]
	s_cbranch_execnz .LBB32_92
.LBB32_64:                              ;   in Loop: Header=BB32_37 Depth=1
	s_or_b64 exec, exec, s[8:9]
	v_pk_mov_b32 v[2:3], s[10:11], s[10:11] op_sel:[0,1]
	s_and_saveexec_b64 s[8:9], s[6:7]
.LBB32_65:                              ;   in Loop: Header=BB32_37 Depth=1
	v_lshrrev_b32_e32 v2, 24, v9
	v_and_or_b32 v2, v2, s16, v11
.LBB32_66:                              ;   in Loop: Header=BB32_37 Depth=1
	s_or_b64 exec, exec, s[8:9]
.LBB32_67:                              ;   in Loop: Header=BB32_37 Depth=1
	s_or_b64 exec, exec, s[0:1]
	v_and_b32_e32 v3, 0xffff0000, v4
	v_div_scale_f32 v4, s[0:1], v0, v0, v3
	v_rcp_f32_e32 v9, v4
	v_div_scale_f32 v11, vcc, v3, v0, v3
	v_fma_f32 v15, -v4, v9, 1.0
	v_fmac_f32_e32 v9, v15, v9
	v_mul_f32_e32 v15, v11, v9
	v_fma_f32 v17, -v4, v15, v11
	v_fmac_f32_e32 v15, v17, v9
	v_fma_f32 v4, -v4, v15, v11
	v_div_fmas_f32 v4, v4, v9, v15
	v_div_fixup_f32 v3, v4, v0, v3
	v_max_f32_e32 v3, v3, v33
	v_min_f32_e32 v3, v3, v34
	v_and_b32_e32 v4, 0x7fffffff, v3
	v_cmp_gt_u32_e32 vcc, s12, v4
	s_and_saveexec_b64 s[0:1], vcc
	s_cbranch_execz .LBB32_73
; %bb.68:                               ;   in Loop: Header=BB32_37 Depth=1
	v_cmp_lt_u32_e32 vcc, s13, v4
	s_mov_b64 s[6:7], 0
                                        ; implicit-def: $vgpr4
	s_and_saveexec_b64 s[8:9], vcc
	s_xor_b64 s[8:9], exec, s[8:9]
	s_cbranch_execnz .LBB32_93
; %bb.69:                               ;   in Loop: Header=BB32_37 Depth=1
	s_or_saveexec_b64 s[8:9], s[8:9]
                                        ; implicit-def: $sgpr10_sgpr11
	s_xor_b64 exec, exec, s[8:9]
	s_cbranch_execnz .LBB32_94
.LBB32_70:                              ;   in Loop: Header=BB32_37 Depth=1
	s_or_b64 exec, exec, s[8:9]
	v_pk_mov_b32 v[18:19], s[10:11], s[10:11] op_sel:[0,1]
	s_and_saveexec_b64 s[8:9], s[6:7]
.LBB32_71:                              ;   in Loop: Header=BB32_37 Depth=1
	v_lshrrev_b32_e32 v3, 24, v3
	v_and_or_b32 v18, v3, s16, v4
.LBB32_72:                              ;   in Loop: Header=BB32_37 Depth=1
	s_or_b64 exec, exec, s[8:9]
.LBB32_73:                              ;   in Loop: Header=BB32_37 Depth=1
	s_or_b64 exec, exec, s[0:1]
	v_lshlrev_b32_e32 v3, 16, v5
	v_div_scale_f32 v4, s[0:1], v0, v0, v3
	v_rcp_f32_e32 v9, v4
	v_div_scale_f32 v11, vcc, v3, v0, v3
	v_mov_b32_e32 v22, 0x80
	v_fma_f32 v15, -v4, v9, 1.0
	v_fmac_f32_e32 v9, v15, v9
	v_mul_f32_e32 v15, v11, v9
	v_fma_f32 v17, -v4, v15, v11
	v_fmac_f32_e32 v15, v17, v9
	v_fma_f32 v4, -v4, v15, v11
	v_div_fmas_f32 v4, v4, v9, v15
	v_div_fixup_f32 v3, v4, v0, v3
	v_max_f32_e32 v3, v3, v33
	v_min_f32_e32 v3, v3, v34
	v_and_b32_e32 v4, 0x7fffffff, v3
	v_mov_b32_e32 v23, 0
	v_cmp_gt_u32_e32 vcc, s12, v4
	v_pk_mov_b32 v[20:21], v[22:23], v[22:23] op_sel:[0,1]
	s_and_saveexec_b64 s[0:1], vcc
	s_cbranch_execz .LBB32_79
; %bb.74:                               ;   in Loop: Header=BB32_37 Depth=1
	v_cmp_lt_u32_e32 vcc, s13, v4
	s_mov_b64 s[6:7], 0
                                        ; implicit-def: $vgpr4
	s_and_saveexec_b64 s[8:9], vcc
	s_xor_b64 s[8:9], exec, s[8:9]
	s_cbranch_execnz .LBB32_95
; %bb.75:                               ;   in Loop: Header=BB32_37 Depth=1
	s_or_saveexec_b64 s[8:9], s[8:9]
                                        ; implicit-def: $sgpr10_sgpr11
	s_xor_b64 exec, exec, s[8:9]
	s_cbranch_execnz .LBB32_96
.LBB32_76:                              ;   in Loop: Header=BB32_37 Depth=1
	s_or_b64 exec, exec, s[8:9]
	v_pk_mov_b32 v[20:21], s[10:11], s[10:11] op_sel:[0,1]
	s_and_saveexec_b64 s[8:9], s[6:7]
.LBB32_77:                              ;   in Loop: Header=BB32_37 Depth=1
	v_lshrrev_b32_e32 v3, 24, v3
	v_and_or_b32 v20, v3, s16, v4
.LBB32_78:                              ;   in Loop: Header=BB32_37 Depth=1
	s_or_b64 exec, exec, s[8:9]
.LBB32_79:                              ;   in Loop: Header=BB32_37 Depth=1
	s_or_b64 exec, exec, s[0:1]
	v_and_b32_e32 v3, 0xffff0000, v5
	v_div_scale_f32 v4, s[0:1], v0, v0, v3
	v_rcp_f32_e32 v5, v4
	v_div_scale_f32 v9, vcc, v3, v0, v3
	v_fma_f32 v11, -v4, v5, 1.0
	v_fmac_f32_e32 v5, v11, v5
	v_mul_f32_e32 v11, v9, v5
	v_fma_f32 v15, -v4, v11, v9
	v_fmac_f32_e32 v11, v15, v5
	v_fma_f32 v4, -v4, v11, v9
	v_div_fmas_f32 v4, v4, v5, v11
	v_div_fixup_f32 v3, v4, v0, v3
	v_max_f32_e32 v3, v3, v33
	v_min_f32_e32 v3, v3, v34
	v_and_b32_e32 v4, 0x7fffffff, v3
	v_cmp_gt_u32_e32 vcc, s12, v4
	s_and_saveexec_b64 s[0:1], vcc
	s_cbranch_execz .LBB32_36
; %bb.80:                               ;   in Loop: Header=BB32_37 Depth=1
	v_cmp_lt_u32_e32 vcc, s13, v4
	s_mov_b64 s[6:7], 0
                                        ; implicit-def: $vgpr4
	s_and_saveexec_b64 s[8:9], vcc
	s_xor_b64 s[8:9], exec, s[8:9]
	s_cbranch_execnz .LBB32_97
; %bb.81:                               ;   in Loop: Header=BB32_37 Depth=1
	s_or_saveexec_b64 s[8:9], s[8:9]
                                        ; implicit-def: $sgpr10_sgpr11
	s_xor_b64 exec, exec, s[8:9]
	s_cbranch_execnz .LBB32_98
.LBB32_82:                              ;   in Loop: Header=BB32_37 Depth=1
	s_or_b64 exec, exec, s[8:9]
	v_pk_mov_b32 v[22:23], s[10:11], s[10:11] op_sel:[0,1]
	s_and_saveexec_b64 s[8:9], s[6:7]
	s_cbranch_execz .LBB32_35
	s_branch .LBB32_99
.LBB32_83:                              ;   in Loop: Header=BB32_37 Depth=1
	v_bfe_u32 v9, v14, 20, 1
	v_add3_u32 v9, v14, v9, s14
	s_mov_b64 s[6:7], exec
	v_lshrrev_b32_e32 v9, 20, v9
	s_or_saveexec_b64 s[8:9], s[8:9]
                                        ; implicit-def: $sgpr10_sgpr11
	s_xor_b64 exec, exec, s[8:9]
	s_cbranch_execz .LBB32_40
.LBB32_84:                              ;   in Loop: Header=BB32_37 Depth=1
	v_add_f32_e64 v9, |v14|, s15
	v_and_b32_e32 v9, 0xff, v9
	v_cmp_ne_u32_e32 vcc, 0, v9
	s_andn2_b64 s[6:7], s[6:7], exec
	s_and_b64 s[26:27], vcc, exec
	s_mov_b64 s[10:11], 0
	s_or_b64 s[6:7], s[6:7], s[26:27]
	s_or_b64 exec, exec, s[8:9]
	v_pk_mov_b32 v[10:11], s[10:11], s[10:11] op_sel:[0,1]
	s_and_saveexec_b64 s[8:9], s[6:7]
	s_cbranch_execnz .LBB32_41
	s_branch .LBB32_42
.LBB32_85:                              ;   in Loop: Header=BB32_37 Depth=1
	v_bfe_u32 v8, v2, 20, 1
	v_add3_u32 v8, v2, v8, s14
	s_mov_b64 s[6:7], exec
	v_lshrrev_b32_e32 v11, 20, v8
	s_or_saveexec_b64 s[8:9], s[8:9]
                                        ; implicit-def: $sgpr10_sgpr11
	s_xor_b64 exec, exec, s[8:9]
	s_cbranch_execz .LBB32_46
.LBB32_86:                              ;   in Loop: Header=BB32_37 Depth=1
	v_add_f32_e64 v8, |v2|, s15
	v_and_b32_e32 v11, 0xff, v8
	v_cmp_ne_u32_e32 vcc, 0, v11
	s_andn2_b64 s[6:7], s[6:7], exec
	s_and_b64 s[26:27], vcc, exec
	s_mov_b64 s[10:11], 0
	s_or_b64 s[6:7], s[6:7], s[26:27]
	s_or_b64 exec, exec, s[8:9]
	v_pk_mov_b32 v[8:9], s[10:11], s[10:11] op_sel:[0,1]
	s_and_saveexec_b64 s[8:9], s[6:7]
	s_cbranch_execnz .LBB32_47
	s_branch .LBB32_48
.LBB32_87:                              ;   in Loop: Header=BB32_37 Depth=1
	v_bfe_u32 v9, v2, 20, 1
	v_add3_u32 v9, v2, v9, s14
	s_mov_b64 s[6:7], exec
	v_lshrrev_b32_e32 v9, 20, v9
	s_or_saveexec_b64 s[8:9], s[8:9]
                                        ; implicit-def: $sgpr10_sgpr11
	s_xor_b64 exec, exec, s[8:9]
	s_cbranch_execz .LBB32_52
.LBB32_88:                              ;   in Loop: Header=BB32_37 Depth=1
	v_add_f32_e64 v9, |v2|, s15
	v_and_b32_e32 v9, 0xff, v9
	v_cmp_ne_u32_e32 vcc, 0, v9
	s_andn2_b64 s[6:7], s[6:7], exec
	s_and_b64 s[26:27], vcc, exec
	s_mov_b64 s[10:11], 0
	s_or_b64 s[6:7], s[6:7], s[26:27]
	s_or_b64 exec, exec, s[8:9]
	v_pk_mov_b32 v[16:17], s[10:11], s[10:11] op_sel:[0,1]
	s_and_saveexec_b64 s[8:9], s[6:7]
	s_cbranch_execnz .LBB32_53
	s_branch .LBB32_54
.LBB32_89:                              ;   in Loop: Header=BB32_37 Depth=1
	v_bfe_u32 v3, v2, 20, 1
	v_add3_u32 v3, v2, v3, s14
	s_mov_b64 s[6:7], exec
	v_lshrrev_b32_e32 v3, 20, v3
	s_or_saveexec_b64 s[8:9], s[8:9]
                                        ; implicit-def: $sgpr10_sgpr11
	s_xor_b64 exec, exec, s[8:9]
	s_cbranch_execz .LBB32_58
.LBB32_90:                              ;   in Loop: Header=BB32_37 Depth=1
	v_add_f32_e64 v3, |v2|, s15
	v_and_b32_e32 v3, 0xff, v3
	v_cmp_ne_u32_e32 vcc, 0, v3
	s_andn2_b64 s[6:7], s[6:7], exec
	s_and_b64 s[26:27], vcc, exec
	s_mov_b64 s[10:11], 0
	s_or_b64 s[6:7], s[6:7], s[26:27]
	s_or_b64 exec, exec, s[8:9]
	v_pk_mov_b32 v[14:15], s[10:11], s[10:11] op_sel:[0,1]
	s_and_saveexec_b64 s[8:9], s[6:7]
	s_cbranch_execnz .LBB32_59
	s_branch .LBB32_60
.LBB32_91:                              ;   in Loop: Header=BB32_37 Depth=1
	v_bfe_u32 v2, v9, 20, 1
	v_add3_u32 v2, v9, v2, s14
	s_mov_b64 s[6:7], exec
	v_lshrrev_b32_e32 v11, 20, v2
	s_or_saveexec_b64 s[8:9], s[8:9]
                                        ; implicit-def: $sgpr10_sgpr11
	s_xor_b64 exec, exec, s[8:9]
	s_cbranch_execz .LBB32_64
.LBB32_92:                              ;   in Loop: Header=BB32_37 Depth=1
	v_add_f32_e64 v2, |v9|, s15
	v_and_b32_e32 v11, 0xff, v2
	v_cmp_ne_u32_e32 vcc, 0, v11
	s_andn2_b64 s[6:7], s[6:7], exec
	s_and_b64 s[26:27], vcc, exec
	s_mov_b64 s[10:11], 0
	s_or_b64 s[6:7], s[6:7], s[26:27]
	s_or_b64 exec, exec, s[8:9]
	v_pk_mov_b32 v[2:3], s[10:11], s[10:11] op_sel:[0,1]
	s_and_saveexec_b64 s[8:9], s[6:7]
	s_cbranch_execnz .LBB32_65
	s_branch .LBB32_66
.LBB32_93:                              ;   in Loop: Header=BB32_37 Depth=1
	v_bfe_u32 v4, v3, 20, 1
	v_add3_u32 v4, v3, v4, s14
	s_mov_b64 s[6:7], exec
	v_lshrrev_b32_e32 v4, 20, v4
	s_or_saveexec_b64 s[8:9], s[8:9]
                                        ; implicit-def: $sgpr10_sgpr11
	s_xor_b64 exec, exec, s[8:9]
	s_cbranch_execz .LBB32_70
.LBB32_94:                              ;   in Loop: Header=BB32_37 Depth=1
	v_add_f32_e64 v4, |v3|, s15
	v_and_b32_e32 v4, 0xff, v4
	v_cmp_ne_u32_e32 vcc, 0, v4
	s_andn2_b64 s[6:7], s[6:7], exec
	s_and_b64 s[26:27], vcc, exec
	s_mov_b64 s[10:11], 0
	s_or_b64 s[6:7], s[6:7], s[26:27]
	s_or_b64 exec, exec, s[8:9]
	v_pk_mov_b32 v[18:19], s[10:11], s[10:11] op_sel:[0,1]
	s_and_saveexec_b64 s[8:9], s[6:7]
	s_cbranch_execnz .LBB32_71
	s_branch .LBB32_72
.LBB32_95:                              ;   in Loop: Header=BB32_37 Depth=1
	v_bfe_u32 v4, v3, 20, 1
	v_add3_u32 v4, v3, v4, s14
	s_mov_b64 s[6:7], exec
	v_lshrrev_b32_e32 v4, 20, v4
	s_or_saveexec_b64 s[8:9], s[8:9]
                                        ; implicit-def: $sgpr10_sgpr11
	s_xor_b64 exec, exec, s[8:9]
	s_cbranch_execz .LBB32_76
.LBB32_96:                              ;   in Loop: Header=BB32_37 Depth=1
	v_add_f32_e64 v4, |v3|, s15
	v_and_b32_e32 v4, 0xff, v4
	v_cmp_ne_u32_e32 vcc, 0, v4
	s_andn2_b64 s[6:7], s[6:7], exec
	s_and_b64 s[26:27], vcc, exec
	s_mov_b64 s[10:11], 0
	s_or_b64 s[6:7], s[6:7], s[26:27]
	s_or_b64 exec, exec, s[8:9]
	v_pk_mov_b32 v[20:21], s[10:11], s[10:11] op_sel:[0,1]
	s_and_saveexec_b64 s[8:9], s[6:7]
	s_cbranch_execnz .LBB32_77
	s_branch .LBB32_78
.LBB32_97:                              ;   in Loop: Header=BB32_37 Depth=1
	v_bfe_u32 v4, v3, 20, 1
	v_add3_u32 v4, v3, v4, s14
	s_mov_b64 s[6:7], exec
	v_lshrrev_b32_e32 v4, 20, v4
	s_or_saveexec_b64 s[8:9], s[8:9]
                                        ; implicit-def: $sgpr10_sgpr11
	s_xor_b64 exec, exec, s[8:9]
	s_cbranch_execz .LBB32_82
.LBB32_98:                              ;   in Loop: Header=BB32_37 Depth=1
	v_add_f32_e64 v4, |v3|, s15
	v_and_b32_e32 v4, 0xff, v4
	v_cmp_ne_u32_e32 vcc, 0, v4
	s_andn2_b64 s[6:7], s[6:7], exec
	s_and_b64 s[26:27], vcc, exec
	s_mov_b64 s[10:11], 0
	s_or_b64 s[6:7], s[6:7], s[26:27]
	s_or_b64 exec, exec, s[8:9]
	v_pk_mov_b32 v[22:23], s[10:11], s[10:11] op_sel:[0,1]
	s_and_saveexec_b64 s[8:9], s[6:7]
	s_cbranch_execz .LBB32_35
.LBB32_99:                              ;   in Loop: Header=BB32_37 Depth=1
	v_lshrrev_b32_e32 v3, 24, v3
	v_and_or_b32 v22, v3, s16, v4
	s_branch .LBB32_35
.LBB32_100:
	s_or_b64 exec, exec, s[2:3]
	v_lshlrev_b32_e32 v4, 3, v31
	v_add_u32_e32 v2, v4, v24
	v_cmp_lt_i32_e32 vcc, v2, v26
	s_and_saveexec_b64 s[24:25], vcc
	s_cbranch_execz .LBB32_118
; %bb.101:
	v_add_u32_e32 v3, 16, v2
	v_max_i32_e32 v5, v3, v26
	v_xad_u32 v5, v24, -1, v5
	v_sub_u32_e32 v4, v5, v4
	v_cmp_lt_u32_e32 vcc, 47, v4
	s_mov_b64 s[0:1], 0
                                        ; implicit-def: $vgpr20
	s_and_saveexec_b64 s[2:3], vcc
	s_xor_b64 s[26:27], exec, s[2:3]
	s_cbranch_execnz .LBB32_104
; %bb.102:
	s_andn2_saveexec_b64 s[2:3], s[26:27]
	s_cbranch_execnz .LBB32_107
.LBB32_103:
	s_or_b64 exec, exec, s[2:3]
	s_and_b64 exec, exec, s[0:1]
	s_cbranch_execnz .LBB32_108
	s_branch .LBB32_118
.LBB32_104:
	v_lshrrev_b32_e32 v4, 4, v4
	v_lshlrev_b32_e32 v20, 1, v25
	v_lshlrev_b32_e32 v8, 4, v31
	;; [unrolled: 1-line block ×3, first 2 shown]
	v_add_u32_e32 v21, 1, v4
	v_add_u32_e32 v5, 48, v2
	;; [unrolled: 1-line block ×3, first 2 shown]
	v_add3_u32 v8, v20, v8, v29
	v_lshlrev_b32_e32 v9, 1, v24
	v_add_co_u32_e32 v23, vcc, v1, v27
	v_and_b32_e32 v22, 0x1ffffffc, v21
	s_mov_b32 s0, s18
	s_mov_b32 s1, s18
	;; [unrolled: 1-line block ×8, first 2 shown]
	v_add3_u32 v24, v8, v9, 0
	v_pk_mov_b32 v[10:11], v[4:5], v[4:5] op_sel:[0,1]
	v_addc_co_u32_e32 v30, vcc, v30, v28, vcc
	v_mov_b32_e32 v1, v0
	v_mov_b32_e32 v6, v0
	;; [unrolled: 1-line block ×3, first 2 shown]
	s_mov_b64 s[28:29], 0
	v_max_f32_e64 v25, s3, s3
	v_max_f32_e64 v31, s2, s2
	;; [unrolled: 1-line block ×8, first 2 shown]
	s_mov_b32 s33, 0x43800000
	s_brev_b32 s34, 60
	s_mov_b32 s35, 0x487ffff
	s_mov_b32 s30, 0x46000000
	s_movk_i32 s36, 0x80
	v_mov_b32_e32 v38, 0xffffff80
	v_mov_b32_e32 v39, 0
	;; [unrolled: 1-line block ×3, first 2 shown]
	v_pk_mov_b32 v[8:9], v[2:3], v[2:3] op_sel:[0,1]
.LBB32_105:                             ; =>This Inner Loop Header: Depth=1
	ds_read_u16 v41, v24
	ds_read_u16 v42, v24 offset:32
	ds_read_u16 v43, v24 offset:64
	;; [unrolled: 1-line block ×3, first 2 shown]
	v_ashrrev_i32_e32 v3, 31, v11
	v_ashrrev_i32_e32 v15, 31, v10
	;; [unrolled: 1-line block ×4, first 2 shown]
	v_add_co_u32_e32 v4, vcc, v23, v9
	v_add_co_u32_e64 v14, s[0:1], v23, v10
	v_add_co_u32_e64 v16, s[2:3], v23, v11
	;; [unrolled: 1-line block ×3, first 2 shown]
	s_waitcnt lgkmcnt(3)
	v_lshlrev_b32_e32 v41, 16, v41
	v_addc_co_u32_e64 v19, s[4:5], v30, v17, s[4:5]
	v_addc_co_u32_e32 v5, vcc, v30, v5, vcc
	v_addc_co_u32_e64 v15, vcc, v30, v15, s[0:1]
	v_addc_co_u32_e64 v17, vcc, v30, v3, s[2:3]
	s_waitcnt lgkmcnt(0)
	v_lshlrev_b32_e32 v3, 16, v44
	v_lshlrev_b32_e32 v42, 16, v42
	v_div_scale_f32 v44, s[0:1], v0, v0, v41
	v_lshlrev_b32_e32 v43, 16, v43
	v_div_scale_f32 v46, s[0:1], v1, v1, v42
	v_div_scale_f32 v50, s[4:5], v7, v7, v3
	v_rcp_f32_e32 v51, v44
	v_div_scale_f32 v48, s[2:3], v6, v6, v43
	v_rcp_f32_e32 v52, v46
	v_rcp_f32_e32 v54, v50
	;; [unrolled: 1-line block ×3, first 2 shown]
	v_fma_f32 v55, -v44, v51, 1.0
	v_div_scale_f32 v45, vcc, v41, v0, v41
	v_fma_f32 v56, -v46, v52, 1.0
	v_fmac_f32_e32 v51, v55, v51
	v_fma_f32 v55, -v50, v54, 1.0
	v_div_scale_f32 v47, s[0:1], v42, v1, v42
	v_fma_f32 v57, -v48, v53, 1.0
	v_fmac_f32_e32 v52, v56, v52
	v_fmac_f32_e32 v54, v55, v54
	v_mul_f32_e32 v55, v45, v51
	v_fmac_f32_e32 v53, v57, v53
	v_mul_f32_e32 v56, v47, v52
	v_fma_f32 v57, -v44, v55, v45
	v_div_scale_f32 v49, s[2:3], v43, v6, v43
	v_fmac_f32_e32 v55, v57, v51
	v_fma_f32 v57, -v46, v56, v47
	v_fmac_f32_e32 v56, v57, v52
	v_mul_f32_e32 v57, v49, v53
	v_fma_f32 v58, -v48, v57, v49
	v_fmac_f32_e32 v57, v58, v53
	v_div_scale_f32 v58, s[4:5], v3, v7, v3
	v_mul_f32_e32 v59, v58, v54
	v_fma_f32 v44, -v44, v55, v45
	v_fma_f32 v60, -v50, v59, v58
	;; [unrolled: 1-line block ×3, first 2 shown]
	v_div_fmas_f32 v44, v44, v51, v55
	s_mov_b64 vcc, s[0:1]
	v_fmac_f32_e32 v59, v60, v54
	v_fma_f32 v46, -v48, v57, v49
	v_div_fixup_f32 v41, v44, v0, v41
	v_div_fmas_f32 v44, v45, v52, v56
	s_mov_b64 vcc, s[2:3]
	v_fma_f32 v47, -v50, v59, v58
	v_div_fixup_f32 v42, v44, v1, v42
	v_div_fmas_f32 v44, v46, v53, v57
	v_max_f32_e32 v41, v41, v33
	s_mov_b64 vcc, s[4:5]
	v_div_fixup_f32 v43, v44, v6, v43
	v_div_fmas_f32 v44, v47, v54, v59
	v_max_f32_e32 v42, v42, v32
	v_min_f32_e32 v41, v41, v34
	v_div_fixup_f32 v3, v44, v7, v3
	v_max_f32_e32 v43, v43, v31
	v_min_f32_e32 v45, v42, v35
	v_and_b32_e32 v42, 0x7fffffff, v41
	v_bfe_u32 v44, v41, 20, 1
	v_lshrrev_b32_e32 v46, 24, v41
	v_max_f32_e32 v3, v3, v25
	v_min_f32_e32 v47, v43, v36
	v_and_b32_e32 v43, 0x7fffffff, v45
	v_cmp_gt_u32_e32 vcc, s33, v42
	v_cmp_gt_u32_e64 s[0:1], s34, v42
	v_bfe_u32 v48, v45, 20, 1
	v_add3_u32 v41, v41, v44, s35
	v_min_f32_e32 v3, v3, v37
	v_and_b32_e32 v44, 0x7fffffff, v47
	v_cmp_gt_u32_e64 s[2:3], s33, v43
	v_cmp_gt_u32_e64 s[4:5], s34, v43
	v_bfe_u32 v50, v47, 20, 1
	v_add3_u32 v48, v45, v48, s35
	v_lshrrev_b32_e32 v41, 20, v41
	v_pk_add_f32 v[42:43], v[42:43], s[30:31] op_sel_hi:[1,0]
	s_xor_b64 s[8:9], s[0:1], vcc
	v_lshrrev_b32_e32 v49, 24, v45
	v_lshrrev_b32_e32 v51, 24, v47
	v_and_b32_e32 v45, 0x7fffffff, v3
	v_cmp_gt_u32_e64 s[10:11], s33, v44
	v_cmp_gt_u32_e64 s[12:13], s34, v44
	v_bfe_u32 v52, v3, 20, 1
	v_add3_u32 v47, v47, v50, s35
	v_lshrrev_b32_e32 v48, 20, v48
	v_cndmask_b32_e64 v41, v42, v41, s[8:9]
	s_xor_b64 s[8:9], s[4:5], s[2:3]
	v_cmp_eq_u32_sdwa s[38:39], v43, v39 src0_sel:BYTE_0 src1_sel:DWORD
	v_cmp_eq_u32_sdwa s[40:41], v42, v39 src0_sel:BYTE_0 src1_sel:DWORD
	v_lshrrev_b32_e32 v42, 24, v3
	v_cmp_gt_u32_e64 s[14:15], s33, v45
	v_cmp_gt_u32_e64 s[16:17], s34, v45
	v_add3_u32 v3, v3, v52, s35
	v_lshrrev_b32_e32 v47, 20, v47
	v_pk_add_f32 v[44:45], v[44:45], s[30:31] op_sel_hi:[1,0]
	v_cndmask_b32_e64 v43, v43, v48, s[8:9]
	v_and_or_b32 v41, v46, s36, v41
	s_xor_b64 s[8:9], s[12:13], s[10:11]
	v_lshrrev_b32_e32 v3, 20, v3
	v_cmp_eq_u32_sdwa s[44:45], v44, v39 src0_sel:BYTE_0 src1_sel:DWORD
	v_cndmask_b32_e64 v44, v44, v47, s[8:9]
	v_cndmask_b32_e32 v41, v38, v41, vcc
	s_xor_b64 vcc, s[16:17], s[14:15]
	s_and_b64 s[0:1], s[0:1], s[40:41]
	v_cndmask_b32_e32 v3, v45, v3, vcc
	v_and_or_b32 v44, v51, s36, v44
	v_cmp_eq_u32_sdwa s[42:43], v45, v39 src0_sel:BYTE_0 src1_sel:DWORD
	v_and_or_b32 v43, v49, s36, v43
	v_cndmask_b32_e64 v41, v41, 0, s[0:1]
	v_and_or_b32 v3, v42, s36, v3
	v_cndmask_b32_e64 v42, v38, v44, s[10:11]
	s_and_b64 s[0:1], s[12:13], s[44:45]
	v_cndmask_b32_e64 v43, v38, v43, s[2:3]
	s_and_b64 s[2:3], s[4:5], s[38:39]
	global_store_byte v[18:19], v41, off
	v_cndmask_b32_e64 v3, v38, v3, s[14:15]
	v_cndmask_b32_e64 v18, v42, 0, s[0:1]
	s_and_b64 s[0:1], s[16:17], s[42:43]
	v_cndmask_b32_e64 v43, v43, 0, s[2:3]
	v_cndmask_b32_e64 v3, v3, 0, s[0:1]
	v_add_u32_e32 v40, -4, v40
	v_lshlrev_b16_e32 v19, 8, v43
	v_lshlrev_b16_e32 v3, 8, v3
	v_cmp_eq_u32_e64 s[6:7], 0, v40
	v_lshrrev_b32_e32 v19, 8, v19
	v_or_b32_sdwa v3, v18, v3 dst_sel:DWORD dst_unused:UNUSED_PAD src0_sel:BYTE_0 src1_sel:DWORD
	v_add_u32_e32 v11, 64, v11
	v_add_u32_e32 v10, 64, v10
	;; [unrolled: 1-line block ×5, first 2 shown]
	s_or_b64 s[28:29], s[6:7], s[28:29]
	global_store_byte v[4:5], v19, off
	global_store_byte v[14:15], v3, off
	v_lshrrev_b32_e32 v3, 8, v3
	global_store_byte v[16:17], v3, off
	s_andn2_b64 exec, exec, s[28:29]
	s_cbranch_execnz .LBB32_105
; %bb.106:
	s_or_b64 exec, exec, s[28:29]
	v_cmp_ne_u32_e32 vcc, v21, v22
	v_lshl_add_u32 v2, v22, 4, v2
	s_and_b64 s[0:1], vcc, exec
                                        ; implicit-def: $vgpr25
	s_andn2_saveexec_b64 s[2:3], s[26:27]
	s_cbranch_execz .LBB32_103
.LBB32_107:
	v_lshlrev_b32_e32 v20, 1, v25
	s_or_b64 s[0:1], s[0:1], exec
	s_or_b64 exec, exec, s[2:3]
	s_and_b64 exec, exec, s[0:1]
	s_cbranch_execz .LBB32_118
.LBB32_108:
	v_add_co_u32_e32 v3, vcc, v27, v12
	v_addc_co_u32_e32 v4, vcc, v28, v13, vcc
	v_ashrrev_i32_e32 v5, 31, v2
	v_add_co_u32_e32 v3, vcc, v3, v2
	v_addc_co_u32_e32 v5, vcc, v4, v5, vcc
	v_lshl_add_u32 v1, v2, 1, v20
	v_mov_b32_e32 v6, s21
	v_add_co_u32_e32 v4, vcc, s20, v3
	v_add3_u32 v1, v1, v29, 0
	v_addc_co_u32_e32 v5, vcc, v6, v5, vcc
	s_mov_b64 s[0:1], 0
	v_max_f32_e64 v3, s18, s18
	v_max_f32_e64 v6, s19, s19
	s_mov_b32 s8, 0x43800000
	s_mov_b32 s9, 0x3bffffff
	;; [unrolled: 1-line block ×4, first 2 shown]
	s_movk_i32 s12, 0x80
	s_branch .LBB32_111
.LBB32_109:                             ;   in Loop: Header=BB32_111 Depth=1
	s_or_b64 exec, exec, s[6:7]
.LBB32_110:                             ;   in Loop: Header=BB32_111 Depth=1
	s_or_b64 exec, exec, s[2:3]
	v_add_u32_e32 v2, 16, v2
	v_cmp_ge_i32_e32 vcc, v2, v26
	global_store_byte v[4:5], v9, off
	s_or_b64 s[0:1], vcc, s[0:1]
	v_add_co_u32_e32 v4, vcc, 16, v4
	v_add_u32_e32 v1, 32, v1
	v_addc_co_u32_e32 v5, vcc, 0, v5, vcc
	s_andn2_b64 exec, exec, s[0:1]
	s_cbranch_execz .LBB32_118
.LBB32_111:                             ; =>This Inner Loop Header: Depth=1
	ds_read_u16 v7, v1
	s_waitcnt lgkmcnt(0)
	v_lshlrev_b32_e32 v7, 16, v7
	v_div_scale_f32 v8, s[2:3], v0, v0, v7
	v_rcp_f32_e32 v9, v8
	v_div_scale_f32 v10, vcc, v7, v0, v7
	v_fma_f32 v11, -v8, v9, 1.0
	v_fmac_f32_e32 v9, v11, v9
	v_mul_f32_e32 v11, v10, v9
	v_fma_f32 v12, -v8, v11, v10
	v_fmac_f32_e32 v11, v12, v9
	v_fma_f32 v8, -v8, v11, v10
	v_div_fmas_f32 v8, v8, v9, v11
	v_div_fixup_f32 v7, v8, v0, v7
	v_max_f32_e32 v7, v7, v3
	v_min_f32_e32 v7, v7, v6
	v_and_b32_e32 v8, 0x7fffffff, v7
	v_cmp_gt_u32_e32 vcc, s8, v8
	v_mov_b32_e32 v9, 0x80
	s_and_saveexec_b64 s[2:3], vcc
	s_cbranch_execz .LBB32_110
; %bb.112:                              ;   in Loop: Header=BB32_111 Depth=1
	v_cmp_lt_u32_e32 vcc, s9, v8
	s_mov_b64 s[4:5], 0
                                        ; implicit-def: $vgpr8
	s_and_saveexec_b64 s[6:7], vcc
	s_xor_b64 s[6:7], exec, s[6:7]
	s_cbranch_execnz .LBB32_115
; %bb.113:                              ;   in Loop: Header=BB32_111 Depth=1
	s_or_saveexec_b64 s[6:7], s[6:7]
                                        ; implicit-def: $sgpr13
	s_xor_b64 exec, exec, s[6:7]
	s_cbranch_execnz .LBB32_116
.LBB32_114:                             ;   in Loop: Header=BB32_111 Depth=1
	s_or_b64 exec, exec, s[6:7]
	v_mov_b32_e32 v9, s13
	s_and_saveexec_b64 s[6:7], s[4:5]
	s_cbranch_execz .LBB32_109
	s_branch .LBB32_117
.LBB32_115:                             ;   in Loop: Header=BB32_111 Depth=1
	v_bfe_u32 v8, v7, 20, 1
	v_add3_u32 v8, v7, v8, s10
	s_mov_b64 s[4:5], exec
	v_lshrrev_b32_e32 v8, 20, v8
	s_or_saveexec_b64 s[6:7], s[6:7]
                                        ; implicit-def: $sgpr13
	s_xor_b64 exec, exec, s[6:7]
	s_cbranch_execz .LBB32_114
.LBB32_116:                             ;   in Loop: Header=BB32_111 Depth=1
	v_add_f32_e64 v8, |v7|, s11
	v_and_b32_e32 v8, 0xff, v8
	v_cmp_ne_u32_e32 vcc, 0, v8
	s_andn2_b64 s[4:5], s[4:5], exec
	s_and_b64 s[14:15], vcc, exec
	s_mov_b32 s13, 0
	s_or_b64 s[4:5], s[4:5], s[14:15]
	s_or_b64 exec, exec, s[6:7]
	v_mov_b32_e32 v9, s13
	s_and_saveexec_b64 s[6:7], s[4:5]
	s_cbranch_execz .LBB32_109
.LBB32_117:                             ;   in Loop: Header=BB32_111 Depth=1
	v_lshrrev_b32_e32 v7, 24, v7
	v_and_or_b32 v9, v7, s12, v8
	s_branch .LBB32_109
.LBB32_118:
	s_or_b64 exec, exec, s[24:25]
                                        ; implicit-def: $vgpr24
                                        ; implicit-def: $vgpr0
                                        ; implicit-def: $vgpr25
                                        ; implicit-def: $vgpr12_vgpr13
.LBB32_119:
	s_andn2_saveexec_b64 s[0:1], s[22:23]
	s_cbranch_execz .LBB32_187
; %bb.120:
	s_ashr_i32 s10, s31, 3
	v_cmp_gt_i32_e32 vcc, s10, v24
	s_and_saveexec_b64 s[0:1], vcc
	s_cbranch_execz .LBB32_187
; %bb.121:
	v_lshlrev_b32_e32 v1, 1, v25
	v_lshlrev_b32_e32 v2, 4, v24
	v_add3_u32 v1, v1, v2, 0
	v_lshlrev_b32_e32 v2, 3, v24
	v_add_co_u32_e32 v2, vcc, v12, v2
	v_addc_co_u32_e32 v3, vcc, 0, v13, vcc
	v_mov_b32_e32 v4, s21
	v_add_co_u32_e32 v6, vcc, s20, v2
	v_addc_co_u32_e32 v7, vcc, v4, v3, vcc
	s_mov_b64 s[2:3], 0
	v_max_f32_e64 v22, s18, s18
	v_max_f32_e64 v23, s19, s19
	s_mov_b32 s11, 0x43800000
	s_mov_b32 s12, 0x3bffffff
	;; [unrolled: 1-line block ×4, first 2 shown]
	s_movk_i32 s15, 0x80
	s_mov_b32 s16, 0xff00
	s_mov_b32 s17, 0x4020c0c
	s_branch .LBB32_124
.LBB32_122:                             ;   in Loop: Header=BB32_124 Depth=1
	s_or_b64 exec, exec, s[6:7]
.LBB32_123:                             ;   in Loop: Header=BB32_124 Depth=1
	s_or_b64 exec, exec, s[0:1]
	v_lshlrev_b32_e32 v4, 16, v18
	v_lshlrev_b32_e32 v3, 24, v20
	v_and_b32_e32 v4, 0xff0000, v4
	v_or_b32_e32 v3, v3, v4
	v_lshlrev_b32_e32 v4, 8, v16
	v_and_b32_e32 v4, 0xff00, v4
	v_and_b32_e32 v2, 0xff, v2
	v_or3_b32 v3, v3, v4, v2
	v_lshlrev_b32_e32 v2, 16, v14
	v_lshlrev_b32_e32 v4, 8, v8
	v_perm_b32 v2, v12, v2, s17
	v_and_or_b32 v2, v4, s16, v2
	v_or_b32_sdwa v2, v2, v10 dst_sel:DWORD dst_unused:UNUSED_PAD src0_sel:DWORD src1_sel:BYTE_0
	v_add_u32_e32 v24, 16, v24
	global_store_dwordx2 v[6:7], v[2:3], off
	v_add_co_u32_e32 v6, vcc, 0x80, v6
	v_cmp_le_i32_e64 s[0:1], s10, v24
	v_add_u32_e32 v1, 0x100, v1
	s_or_b64 s[2:3], s[0:1], s[2:3]
	v_addc_co_u32_e32 v7, vcc, 0, v7, vcc
	s_andn2_b64 exec, exec, s[2:3]
	s_cbranch_execz .LBB32_187
.LBB32_124:                             ; =>This Inner Loop Header: Depth=1
	ds_read_b128 v[2:5], v1
	v_mov_b32_e32 v8, 0x80
	v_mov_b32_e32 v9, 0
	s_waitcnt lgkmcnt(0)
	v_lshlrev_b32_e32 v10, 16, v2
	v_div_scale_f32 v11, s[0:1], v0, v0, v10
	v_rcp_f32_e32 v12, v11
	v_div_scale_f32 v13, vcc, v10, v0, v10
	v_fma_f32 v14, -v11, v12, 1.0
	v_fmac_f32_e32 v12, v14, v12
	v_mul_f32_e32 v14, v13, v12
	v_fma_f32 v15, -v11, v14, v13
	v_fmac_f32_e32 v14, v15, v12
	v_fma_f32 v11, -v11, v14, v13
	v_div_fmas_f32 v11, v11, v12, v14
	v_div_fixup_f32 v10, v11, v0, v10
	v_max_f32_e32 v10, v10, v22
	v_min_f32_e32 v12, v10, v23
	v_and_b32_e32 v13, 0x7fffffff, v12
	v_cmp_gt_u32_e32 vcc, s11, v13
	v_pk_mov_b32 v[10:11], v[8:9], v[8:9] op_sel:[0,1]
	s_and_saveexec_b64 s[0:1], vcc
	s_cbranch_execz .LBB32_130
; %bb.125:                              ;   in Loop: Header=BB32_124 Depth=1
	v_cmp_lt_u32_e32 vcc, s12, v13
	s_mov_b64 s[4:5], 0
                                        ; implicit-def: $vgpr9
	s_and_saveexec_b64 s[6:7], vcc
	s_xor_b64 s[6:7], exec, s[6:7]
	s_cbranch_execnz .LBB32_170
; %bb.126:                              ;   in Loop: Header=BB32_124 Depth=1
	s_or_saveexec_b64 s[6:7], s[6:7]
                                        ; implicit-def: $sgpr8_sgpr9
	s_xor_b64 exec, exec, s[6:7]
	s_cbranch_execnz .LBB32_171
.LBB32_127:                             ;   in Loop: Header=BB32_124 Depth=1
	s_or_b64 exec, exec, s[6:7]
	v_pk_mov_b32 v[10:11], s[8:9], s[8:9] op_sel:[0,1]
	s_and_saveexec_b64 s[6:7], s[4:5]
.LBB32_128:                             ;   in Loop: Header=BB32_124 Depth=1
	v_lshrrev_b32_e32 v10, 24, v12
	v_and_or_b32 v10, v10, s15, v9
.LBB32_129:                             ;   in Loop: Header=BB32_124 Depth=1
	s_or_b64 exec, exec, s[6:7]
.LBB32_130:                             ;   in Loop: Header=BB32_124 Depth=1
	s_or_b64 exec, exec, s[0:1]
	v_and_b32_e32 v2, 0xffff0000, v2
	v_div_scale_f32 v9, s[0:1], v0, v0, v2
	v_rcp_f32_e32 v11, v9
	v_div_scale_f32 v12, vcc, v2, v0, v2
	v_fma_f32 v13, -v9, v11, 1.0
	v_fmac_f32_e32 v11, v13, v11
	v_mul_f32_e32 v13, v12, v11
	v_fma_f32 v14, -v9, v13, v12
	v_fmac_f32_e32 v13, v14, v11
	v_fma_f32 v9, -v9, v13, v12
	v_div_fmas_f32 v9, v9, v11, v13
	v_div_fixup_f32 v2, v9, v0, v2
	v_max_f32_e32 v2, v2, v22
	v_min_f32_e32 v2, v2, v23
	v_and_b32_e32 v9, 0x7fffffff, v2
	v_cmp_gt_u32_e32 vcc, s11, v9
	s_and_saveexec_b64 s[0:1], vcc
	s_cbranch_execz .LBB32_136
; %bb.131:                              ;   in Loop: Header=BB32_124 Depth=1
	v_cmp_lt_u32_e32 vcc, s12, v9
	s_mov_b64 s[4:5], 0
                                        ; implicit-def: $vgpr11
	s_and_saveexec_b64 s[6:7], vcc
	s_xor_b64 s[6:7], exec, s[6:7]
	s_cbranch_execnz .LBB32_172
; %bb.132:                              ;   in Loop: Header=BB32_124 Depth=1
	s_or_saveexec_b64 s[6:7], s[6:7]
                                        ; implicit-def: $sgpr8_sgpr9
	s_xor_b64 exec, exec, s[6:7]
	s_cbranch_execnz .LBB32_173
.LBB32_133:                             ;   in Loop: Header=BB32_124 Depth=1
	s_or_b64 exec, exec, s[6:7]
	v_pk_mov_b32 v[8:9], s[8:9], s[8:9] op_sel:[0,1]
	s_and_saveexec_b64 s[6:7], s[4:5]
.LBB32_134:                             ;   in Loop: Header=BB32_124 Depth=1
	v_lshrrev_b32_e32 v2, 24, v2
	v_and_or_b32 v8, v2, s15, v11
.LBB32_135:                             ;   in Loop: Header=BB32_124 Depth=1
	s_or_b64 exec, exec, s[6:7]
.LBB32_136:                             ;   in Loop: Header=BB32_124 Depth=1
	s_or_b64 exec, exec, s[0:1]
	v_lshlrev_b32_e32 v2, 16, v3
	v_div_scale_f32 v9, s[0:1], v0, v0, v2
	v_rcp_f32_e32 v11, v9
	v_div_scale_f32 v12, vcc, v2, v0, v2
	v_fma_f32 v13, -v9, v11, 1.0
	v_fmac_f32_e32 v11, v13, v11
	v_mul_f32_e32 v13, v12, v11
	v_fma_f32 v14, -v9, v13, v12
	v_fmac_f32_e32 v13, v14, v11
	v_fma_f32 v9, -v9, v13, v12
	v_div_fmas_f32 v9, v9, v11, v13
	v_div_fixup_f32 v2, v9, v0, v2
	v_max_f32_e32 v2, v2, v22
	v_min_f32_e32 v2, v2, v23
	v_mov_b32_e32 v12, 0x80
	v_and_b32_e32 v9, 0x7fffffff, v2
	v_mov_b32_e32 v13, 0
	v_cmp_gt_u32_e32 vcc, s11, v9
	v_pk_mov_b32 v[14:15], v[12:13], v[12:13] op_sel:[0,1]
	s_and_saveexec_b64 s[0:1], vcc
	s_cbranch_execz .LBB32_142
; %bb.137:                              ;   in Loop: Header=BB32_124 Depth=1
	v_cmp_lt_u32_e32 vcc, s12, v9
	s_mov_b64 s[4:5], 0
                                        ; implicit-def: $vgpr9
	s_and_saveexec_b64 s[6:7], vcc
	s_xor_b64 s[6:7], exec, s[6:7]
	s_cbranch_execnz .LBB32_174
; %bb.138:                              ;   in Loop: Header=BB32_124 Depth=1
	s_or_saveexec_b64 s[6:7], s[6:7]
                                        ; implicit-def: $sgpr8_sgpr9
	s_xor_b64 exec, exec, s[6:7]
	s_cbranch_execnz .LBB32_175
.LBB32_139:                             ;   in Loop: Header=BB32_124 Depth=1
	s_or_b64 exec, exec, s[6:7]
	v_pk_mov_b32 v[14:15], s[8:9], s[8:9] op_sel:[0,1]
	s_and_saveexec_b64 s[6:7], s[4:5]
.LBB32_140:                             ;   in Loop: Header=BB32_124 Depth=1
	v_lshrrev_b32_e32 v2, 24, v2
	v_and_or_b32 v14, v2, s15, v9
.LBB32_141:                             ;   in Loop: Header=BB32_124 Depth=1
	s_or_b64 exec, exec, s[6:7]
.LBB32_142:                             ;   in Loop: Header=BB32_124 Depth=1
	s_or_b64 exec, exec, s[0:1]
	v_and_b32_e32 v2, 0xffff0000, v3
	v_div_scale_f32 v3, s[0:1], v0, v0, v2
	v_rcp_f32_e32 v9, v3
	v_div_scale_f32 v11, vcc, v2, v0, v2
	v_fma_f32 v13, -v3, v9, 1.0
	v_fmac_f32_e32 v9, v13, v9
	v_mul_f32_e32 v13, v11, v9
	v_fma_f32 v15, -v3, v13, v11
	v_fmac_f32_e32 v13, v15, v9
	v_fma_f32 v3, -v3, v13, v11
	v_div_fmas_f32 v3, v3, v9, v13
	v_div_fixup_f32 v2, v3, v0, v2
	v_max_f32_e32 v2, v2, v22
	v_min_f32_e32 v2, v2, v23
	v_and_b32_e32 v3, 0x7fffffff, v2
	v_cmp_gt_u32_e32 vcc, s11, v3
	s_and_saveexec_b64 s[0:1], vcc
	s_cbranch_execz .LBB32_148
; %bb.143:                              ;   in Loop: Header=BB32_124 Depth=1
	v_cmp_lt_u32_e32 vcc, s12, v3
	s_mov_b64 s[4:5], 0
                                        ; implicit-def: $vgpr3
	s_and_saveexec_b64 s[6:7], vcc
	s_xor_b64 s[6:7], exec, s[6:7]
	s_cbranch_execnz .LBB32_176
; %bb.144:                              ;   in Loop: Header=BB32_124 Depth=1
	s_or_saveexec_b64 s[6:7], s[6:7]
                                        ; implicit-def: $sgpr8_sgpr9
	s_xor_b64 exec, exec, s[6:7]
	s_cbranch_execnz .LBB32_177
.LBB32_145:                             ;   in Loop: Header=BB32_124 Depth=1
	s_or_b64 exec, exec, s[6:7]
	v_pk_mov_b32 v[12:13], s[8:9], s[8:9] op_sel:[0,1]
	s_and_saveexec_b64 s[6:7], s[4:5]
.LBB32_146:                             ;   in Loop: Header=BB32_124 Depth=1
	v_lshrrev_b32_e32 v2, 24, v2
	v_and_or_b32 v12, v2, s15, v3
.LBB32_147:                             ;   in Loop: Header=BB32_124 Depth=1
	s_or_b64 exec, exec, s[6:7]
.LBB32_148:                             ;   in Loop: Header=BB32_124 Depth=1
	s_or_b64 exec, exec, s[0:1]
	v_lshlrev_b32_e32 v2, 16, v4
	v_div_scale_f32 v3, s[0:1], v0, v0, v2
	v_rcp_f32_e32 v9, v3
	v_div_scale_f32 v11, vcc, v2, v0, v2
	v_mov_b32_e32 v16, 0x80
	v_fma_f32 v13, -v3, v9, 1.0
	v_fmac_f32_e32 v9, v13, v9
	v_mul_f32_e32 v13, v11, v9
	v_fma_f32 v15, -v3, v13, v11
	v_fmac_f32_e32 v13, v15, v9
	v_fma_f32 v3, -v3, v13, v11
	v_div_fmas_f32 v3, v3, v9, v13
	v_div_fixup_f32 v2, v3, v0, v2
	v_max_f32_e32 v2, v2, v22
	v_min_f32_e32 v9, v2, v23
	v_and_b32_e32 v11, 0x7fffffff, v9
	v_mov_b32_e32 v17, 0
	v_cmp_gt_u32_e32 vcc, s11, v11
	v_pk_mov_b32 v[2:3], v[16:17], v[16:17] op_sel:[0,1]
	s_and_saveexec_b64 s[0:1], vcc
	s_cbranch_execz .LBB32_154
; %bb.149:                              ;   in Loop: Header=BB32_124 Depth=1
	v_cmp_lt_u32_e32 vcc, s12, v11
	s_mov_b64 s[4:5], 0
                                        ; implicit-def: $vgpr11
	s_and_saveexec_b64 s[6:7], vcc
	s_xor_b64 s[6:7], exec, s[6:7]
	s_cbranch_execnz .LBB32_178
; %bb.150:                              ;   in Loop: Header=BB32_124 Depth=1
	s_or_saveexec_b64 s[6:7], s[6:7]
                                        ; implicit-def: $sgpr8_sgpr9
	s_xor_b64 exec, exec, s[6:7]
	s_cbranch_execnz .LBB32_179
.LBB32_151:                             ;   in Loop: Header=BB32_124 Depth=1
	s_or_b64 exec, exec, s[6:7]
	v_pk_mov_b32 v[2:3], s[8:9], s[8:9] op_sel:[0,1]
	s_and_saveexec_b64 s[6:7], s[4:5]
.LBB32_152:                             ;   in Loop: Header=BB32_124 Depth=1
	v_lshrrev_b32_e32 v2, 24, v9
	v_and_or_b32 v2, v2, s15, v11
.LBB32_153:                             ;   in Loop: Header=BB32_124 Depth=1
	s_or_b64 exec, exec, s[6:7]
.LBB32_154:                             ;   in Loop: Header=BB32_124 Depth=1
	s_or_b64 exec, exec, s[0:1]
	v_and_b32_e32 v3, 0xffff0000, v4
	v_div_scale_f32 v4, s[0:1], v0, v0, v3
	v_rcp_f32_e32 v9, v4
	v_div_scale_f32 v11, vcc, v3, v0, v3
	v_fma_f32 v13, -v4, v9, 1.0
	v_fmac_f32_e32 v9, v13, v9
	v_mul_f32_e32 v13, v11, v9
	v_fma_f32 v15, -v4, v13, v11
	v_fmac_f32_e32 v13, v15, v9
	v_fma_f32 v4, -v4, v13, v11
	v_div_fmas_f32 v4, v4, v9, v13
	v_div_fixup_f32 v3, v4, v0, v3
	v_max_f32_e32 v3, v3, v22
	v_min_f32_e32 v3, v3, v23
	v_and_b32_e32 v4, 0x7fffffff, v3
	v_cmp_gt_u32_e32 vcc, s11, v4
	s_and_saveexec_b64 s[0:1], vcc
	s_cbranch_execz .LBB32_160
; %bb.155:                              ;   in Loop: Header=BB32_124 Depth=1
	v_cmp_lt_u32_e32 vcc, s12, v4
	s_mov_b64 s[4:5], 0
                                        ; implicit-def: $vgpr4
	s_and_saveexec_b64 s[6:7], vcc
	s_xor_b64 s[6:7], exec, s[6:7]
	s_cbranch_execnz .LBB32_180
; %bb.156:                              ;   in Loop: Header=BB32_124 Depth=1
	s_or_saveexec_b64 s[6:7], s[6:7]
                                        ; implicit-def: $sgpr8_sgpr9
	s_xor_b64 exec, exec, s[6:7]
	s_cbranch_execnz .LBB32_181
.LBB32_157:                             ;   in Loop: Header=BB32_124 Depth=1
	s_or_b64 exec, exec, s[6:7]
	v_pk_mov_b32 v[16:17], s[8:9], s[8:9] op_sel:[0,1]
	s_and_saveexec_b64 s[6:7], s[4:5]
.LBB32_158:                             ;   in Loop: Header=BB32_124 Depth=1
	v_lshrrev_b32_e32 v3, 24, v3
	v_and_or_b32 v16, v3, s15, v4
.LBB32_159:                             ;   in Loop: Header=BB32_124 Depth=1
	s_or_b64 exec, exec, s[6:7]
.LBB32_160:                             ;   in Loop: Header=BB32_124 Depth=1
	s_or_b64 exec, exec, s[0:1]
	v_lshlrev_b32_e32 v3, 16, v5
	v_div_scale_f32 v4, s[0:1], v0, v0, v3
	v_rcp_f32_e32 v9, v4
	v_div_scale_f32 v11, vcc, v3, v0, v3
	v_mov_b32_e32 v20, 0x80
	v_fma_f32 v13, -v4, v9, 1.0
	v_fmac_f32_e32 v9, v13, v9
	v_mul_f32_e32 v13, v11, v9
	v_fma_f32 v15, -v4, v13, v11
	v_fmac_f32_e32 v13, v15, v9
	v_fma_f32 v4, -v4, v13, v11
	v_div_fmas_f32 v4, v4, v9, v13
	v_div_fixup_f32 v3, v4, v0, v3
	v_max_f32_e32 v3, v3, v22
	v_min_f32_e32 v3, v3, v23
	v_and_b32_e32 v4, 0x7fffffff, v3
	v_mov_b32_e32 v21, 0
	v_cmp_gt_u32_e32 vcc, s11, v4
	v_pk_mov_b32 v[18:19], v[20:21], v[20:21] op_sel:[0,1]
	s_and_saveexec_b64 s[0:1], vcc
	s_cbranch_execz .LBB32_166
; %bb.161:                              ;   in Loop: Header=BB32_124 Depth=1
	v_cmp_lt_u32_e32 vcc, s12, v4
	s_mov_b64 s[4:5], 0
                                        ; implicit-def: $vgpr4
	s_and_saveexec_b64 s[6:7], vcc
	s_xor_b64 s[6:7], exec, s[6:7]
	s_cbranch_execnz .LBB32_182
; %bb.162:                              ;   in Loop: Header=BB32_124 Depth=1
	s_or_saveexec_b64 s[6:7], s[6:7]
                                        ; implicit-def: $sgpr8_sgpr9
	s_xor_b64 exec, exec, s[6:7]
	s_cbranch_execnz .LBB32_183
.LBB32_163:                             ;   in Loop: Header=BB32_124 Depth=1
	s_or_b64 exec, exec, s[6:7]
	v_pk_mov_b32 v[18:19], s[8:9], s[8:9] op_sel:[0,1]
	s_and_saveexec_b64 s[6:7], s[4:5]
.LBB32_164:                             ;   in Loop: Header=BB32_124 Depth=1
	v_lshrrev_b32_e32 v3, 24, v3
	v_and_or_b32 v18, v3, s15, v4
.LBB32_165:                             ;   in Loop: Header=BB32_124 Depth=1
	s_or_b64 exec, exec, s[6:7]
.LBB32_166:                             ;   in Loop: Header=BB32_124 Depth=1
	s_or_b64 exec, exec, s[0:1]
	v_and_b32_e32 v3, 0xffff0000, v5
	v_div_scale_f32 v4, s[0:1], v0, v0, v3
	v_rcp_f32_e32 v5, v4
	v_div_scale_f32 v9, vcc, v3, v0, v3
	v_fma_f32 v11, -v4, v5, 1.0
	v_fmac_f32_e32 v5, v11, v5
	v_mul_f32_e32 v11, v9, v5
	v_fma_f32 v13, -v4, v11, v9
	v_fmac_f32_e32 v11, v13, v5
	v_fma_f32 v4, -v4, v11, v9
	v_div_fmas_f32 v4, v4, v5, v11
	v_div_fixup_f32 v3, v4, v0, v3
	v_max_f32_e32 v3, v3, v22
	v_min_f32_e32 v3, v3, v23
	v_and_b32_e32 v4, 0x7fffffff, v3
	v_cmp_gt_u32_e32 vcc, s11, v4
	s_and_saveexec_b64 s[0:1], vcc
	s_cbranch_execz .LBB32_123
; %bb.167:                              ;   in Loop: Header=BB32_124 Depth=1
	v_cmp_lt_u32_e32 vcc, s12, v4
	s_mov_b64 s[4:5], 0
                                        ; implicit-def: $vgpr4
	s_and_saveexec_b64 s[6:7], vcc
	s_xor_b64 s[6:7], exec, s[6:7]
	s_cbranch_execnz .LBB32_184
; %bb.168:                              ;   in Loop: Header=BB32_124 Depth=1
	s_or_saveexec_b64 s[6:7], s[6:7]
                                        ; implicit-def: $sgpr8_sgpr9
	s_xor_b64 exec, exec, s[6:7]
	s_cbranch_execnz .LBB32_185
.LBB32_169:                             ;   in Loop: Header=BB32_124 Depth=1
	s_or_b64 exec, exec, s[6:7]
	v_pk_mov_b32 v[20:21], s[8:9], s[8:9] op_sel:[0,1]
	s_and_saveexec_b64 s[6:7], s[4:5]
	s_cbranch_execz .LBB32_122
	s_branch .LBB32_186
.LBB32_170:                             ;   in Loop: Header=BB32_124 Depth=1
	v_bfe_u32 v9, v12, 20, 1
	v_add3_u32 v9, v12, v9, s13
	s_mov_b64 s[4:5], exec
	v_lshrrev_b32_e32 v9, 20, v9
	s_or_saveexec_b64 s[6:7], s[6:7]
                                        ; implicit-def: $sgpr8_sgpr9
	s_xor_b64 exec, exec, s[6:7]
	s_cbranch_execz .LBB32_127
.LBB32_171:                             ;   in Loop: Header=BB32_124 Depth=1
	v_add_f32_e64 v9, |v12|, s14
	v_and_b32_e32 v9, 0xff, v9
	v_cmp_ne_u32_e32 vcc, 0, v9
	s_andn2_b64 s[4:5], s[4:5], exec
	s_and_b64 s[18:19], vcc, exec
	s_mov_b64 s[8:9], 0
	s_or_b64 s[4:5], s[4:5], s[18:19]
	s_or_b64 exec, exec, s[6:7]
	v_pk_mov_b32 v[10:11], s[8:9], s[8:9] op_sel:[0,1]
	s_and_saveexec_b64 s[6:7], s[4:5]
	s_cbranch_execnz .LBB32_128
	s_branch .LBB32_129
.LBB32_172:                             ;   in Loop: Header=BB32_124 Depth=1
	v_bfe_u32 v8, v2, 20, 1
	v_add3_u32 v8, v2, v8, s13
	s_mov_b64 s[4:5], exec
	v_lshrrev_b32_e32 v11, 20, v8
	s_or_saveexec_b64 s[6:7], s[6:7]
                                        ; implicit-def: $sgpr8_sgpr9
	s_xor_b64 exec, exec, s[6:7]
	s_cbranch_execz .LBB32_133
.LBB32_173:                             ;   in Loop: Header=BB32_124 Depth=1
	v_add_f32_e64 v8, |v2|, s14
	v_and_b32_e32 v11, 0xff, v8
	v_cmp_ne_u32_e32 vcc, 0, v11
	s_andn2_b64 s[4:5], s[4:5], exec
	s_and_b64 s[18:19], vcc, exec
	s_mov_b64 s[8:9], 0
	s_or_b64 s[4:5], s[4:5], s[18:19]
	s_or_b64 exec, exec, s[6:7]
	v_pk_mov_b32 v[8:9], s[8:9], s[8:9] op_sel:[0,1]
	s_and_saveexec_b64 s[6:7], s[4:5]
	s_cbranch_execnz .LBB32_134
	s_branch .LBB32_135
.LBB32_174:                             ;   in Loop: Header=BB32_124 Depth=1
	v_bfe_u32 v9, v2, 20, 1
	v_add3_u32 v9, v2, v9, s13
	s_mov_b64 s[4:5], exec
	v_lshrrev_b32_e32 v9, 20, v9
	s_or_saveexec_b64 s[6:7], s[6:7]
                                        ; implicit-def: $sgpr8_sgpr9
	s_xor_b64 exec, exec, s[6:7]
	s_cbranch_execz .LBB32_139
.LBB32_175:                             ;   in Loop: Header=BB32_124 Depth=1
	v_add_f32_e64 v9, |v2|, s14
	v_and_b32_e32 v9, 0xff, v9
	v_cmp_ne_u32_e32 vcc, 0, v9
	s_andn2_b64 s[4:5], s[4:5], exec
	s_and_b64 s[18:19], vcc, exec
	s_mov_b64 s[8:9], 0
	s_or_b64 s[4:5], s[4:5], s[18:19]
	s_or_b64 exec, exec, s[6:7]
	v_pk_mov_b32 v[14:15], s[8:9], s[8:9] op_sel:[0,1]
	s_and_saveexec_b64 s[6:7], s[4:5]
	s_cbranch_execnz .LBB32_140
	s_branch .LBB32_141
.LBB32_176:                             ;   in Loop: Header=BB32_124 Depth=1
	v_bfe_u32 v3, v2, 20, 1
	v_add3_u32 v3, v2, v3, s13
	s_mov_b64 s[4:5], exec
	v_lshrrev_b32_e32 v3, 20, v3
	s_or_saveexec_b64 s[6:7], s[6:7]
                                        ; implicit-def: $sgpr8_sgpr9
	s_xor_b64 exec, exec, s[6:7]
	s_cbranch_execz .LBB32_145
.LBB32_177:                             ;   in Loop: Header=BB32_124 Depth=1
	v_add_f32_e64 v3, |v2|, s14
	v_and_b32_e32 v3, 0xff, v3
	v_cmp_ne_u32_e32 vcc, 0, v3
	s_andn2_b64 s[4:5], s[4:5], exec
	s_and_b64 s[18:19], vcc, exec
	s_mov_b64 s[8:9], 0
	s_or_b64 s[4:5], s[4:5], s[18:19]
	s_or_b64 exec, exec, s[6:7]
	v_pk_mov_b32 v[12:13], s[8:9], s[8:9] op_sel:[0,1]
	s_and_saveexec_b64 s[6:7], s[4:5]
	s_cbranch_execnz .LBB32_146
	s_branch .LBB32_147
.LBB32_178:                             ;   in Loop: Header=BB32_124 Depth=1
	v_bfe_u32 v2, v9, 20, 1
	v_add3_u32 v2, v9, v2, s13
	s_mov_b64 s[4:5], exec
	v_lshrrev_b32_e32 v11, 20, v2
	s_or_saveexec_b64 s[6:7], s[6:7]
                                        ; implicit-def: $sgpr8_sgpr9
	s_xor_b64 exec, exec, s[6:7]
	s_cbranch_execz .LBB32_151
.LBB32_179:                             ;   in Loop: Header=BB32_124 Depth=1
	v_add_f32_e64 v2, |v9|, s14
	v_and_b32_e32 v11, 0xff, v2
	v_cmp_ne_u32_e32 vcc, 0, v11
	s_andn2_b64 s[4:5], s[4:5], exec
	s_and_b64 s[18:19], vcc, exec
	s_mov_b64 s[8:9], 0
	s_or_b64 s[4:5], s[4:5], s[18:19]
	s_or_b64 exec, exec, s[6:7]
	v_pk_mov_b32 v[2:3], s[8:9], s[8:9] op_sel:[0,1]
	s_and_saveexec_b64 s[6:7], s[4:5]
	s_cbranch_execnz .LBB32_152
	s_branch .LBB32_153
.LBB32_180:                             ;   in Loop: Header=BB32_124 Depth=1
	v_bfe_u32 v4, v3, 20, 1
	v_add3_u32 v4, v3, v4, s13
	s_mov_b64 s[4:5], exec
	v_lshrrev_b32_e32 v4, 20, v4
	s_or_saveexec_b64 s[6:7], s[6:7]
                                        ; implicit-def: $sgpr8_sgpr9
	s_xor_b64 exec, exec, s[6:7]
	s_cbranch_execz .LBB32_157
.LBB32_181:                             ;   in Loop: Header=BB32_124 Depth=1
	v_add_f32_e64 v4, |v3|, s14
	v_and_b32_e32 v4, 0xff, v4
	v_cmp_ne_u32_e32 vcc, 0, v4
	s_andn2_b64 s[4:5], s[4:5], exec
	s_and_b64 s[18:19], vcc, exec
	s_mov_b64 s[8:9], 0
	s_or_b64 s[4:5], s[4:5], s[18:19]
	s_or_b64 exec, exec, s[6:7]
	v_pk_mov_b32 v[16:17], s[8:9], s[8:9] op_sel:[0,1]
	s_and_saveexec_b64 s[6:7], s[4:5]
	s_cbranch_execnz .LBB32_158
	s_branch .LBB32_159
.LBB32_182:                             ;   in Loop: Header=BB32_124 Depth=1
	v_bfe_u32 v4, v3, 20, 1
	v_add3_u32 v4, v3, v4, s13
	s_mov_b64 s[4:5], exec
	v_lshrrev_b32_e32 v4, 20, v4
	s_or_saveexec_b64 s[6:7], s[6:7]
                                        ; implicit-def: $sgpr8_sgpr9
	s_xor_b64 exec, exec, s[6:7]
	s_cbranch_execz .LBB32_163
.LBB32_183:                             ;   in Loop: Header=BB32_124 Depth=1
	v_add_f32_e64 v4, |v3|, s14
	v_and_b32_e32 v4, 0xff, v4
	v_cmp_ne_u32_e32 vcc, 0, v4
	s_andn2_b64 s[4:5], s[4:5], exec
	s_and_b64 s[18:19], vcc, exec
	s_mov_b64 s[8:9], 0
	s_or_b64 s[4:5], s[4:5], s[18:19]
	s_or_b64 exec, exec, s[6:7]
	v_pk_mov_b32 v[18:19], s[8:9], s[8:9] op_sel:[0,1]
	s_and_saveexec_b64 s[6:7], s[4:5]
	s_cbranch_execnz .LBB32_164
	s_branch .LBB32_165
.LBB32_184:                             ;   in Loop: Header=BB32_124 Depth=1
	v_bfe_u32 v4, v3, 20, 1
	v_add3_u32 v4, v3, v4, s13
	s_mov_b64 s[4:5], exec
	v_lshrrev_b32_e32 v4, 20, v4
	s_or_saveexec_b64 s[6:7], s[6:7]
                                        ; implicit-def: $sgpr8_sgpr9
	s_xor_b64 exec, exec, s[6:7]
	s_cbranch_execz .LBB32_169
.LBB32_185:                             ;   in Loop: Header=BB32_124 Depth=1
	v_add_f32_e64 v4, |v3|, s14
	v_and_b32_e32 v4, 0xff, v4
	v_cmp_ne_u32_e32 vcc, 0, v4
	s_andn2_b64 s[4:5], s[4:5], exec
	s_and_b64 s[18:19], vcc, exec
	s_mov_b64 s[8:9], 0
	s_or_b64 s[4:5], s[4:5], s[18:19]
	s_or_b64 exec, exec, s[6:7]
	v_pk_mov_b32 v[20:21], s[8:9], s[8:9] op_sel:[0,1]
	s_and_saveexec_b64 s[6:7], s[4:5]
	s_cbranch_execz .LBB32_122
.LBB32_186:                             ;   in Loop: Header=BB32_124 Depth=1
	v_lshrrev_b32_e32 v3, 24, v3
	v_and_or_b32 v20, v3, s15, v4
	s_branch .LBB32_122
.LBB32_187:
	s_endpgm
.LBB32_188:
	v_bfe_u32 v3, v2, 20, 1
	s_mov_b32 s8, 0x487ffff
	v_add3_u32 v3, v2, v3, s8
	s_mov_b64 s[4:5], exec
	v_lshrrev_b32_e32 v3, 20, v3
	s_or_saveexec_b64 s[6:7], s[6:7]
                                        ; implicit-def: $sgpr8
	s_xor_b64 exec, exec, s[6:7]
	s_cbranch_execz .LBB32_29
.LBB32_189:
	s_mov_b32 s8, 0x46000000
	v_add_f32_e64 v3, |v2|, s8
	v_and_b32_e32 v3, 0xff, v3
	v_cmp_ne_u32_e32 vcc, 0, v3
	s_andn2_b64 s[4:5], s[4:5], exec
	s_and_b64 s[10:11], vcc, exec
	s_mov_b32 s8, 0
	s_or_b64 s[4:5], s[4:5], s[10:11]
	s_or_b64 exec, exec, s[6:7]
	v_mov_b32_e32 v4, s8
	s_and_saveexec_b64 s[6:7], s[4:5]
	s_cbranch_execnz .LBB32_30
	s_branch .LBB32_31
	.section	.rodata,"a",@progbits
	.p2align	6, 0x0
	.amdhsa_kernel _Z33per_token_group_quant_8bit_kernelIN3c108BFloat16ENS0_15Float8_e4m3fnuzELb1ELb1EfEvPKT_PvPT3_iiifffii
		.amdhsa_group_segment_fixed_size 0
		.amdhsa_private_segment_fixed_size 0
		.amdhsa_kernarg_size 56
		.amdhsa_user_sgpr_count 6
		.amdhsa_user_sgpr_private_segment_buffer 1
		.amdhsa_user_sgpr_dispatch_ptr 0
		.amdhsa_user_sgpr_queue_ptr 0
		.amdhsa_user_sgpr_kernarg_segment_ptr 1
		.amdhsa_user_sgpr_dispatch_id 0
		.amdhsa_user_sgpr_flat_scratch_init 0
		.amdhsa_user_sgpr_kernarg_preload_length 0
		.amdhsa_user_sgpr_kernarg_preload_offset 0
		.amdhsa_user_sgpr_private_segment_size 0
		.amdhsa_uses_dynamic_stack 0
		.amdhsa_system_sgpr_private_segment_wavefront_offset 0
		.amdhsa_system_sgpr_workgroup_id_x 1
		.amdhsa_system_sgpr_workgroup_id_y 0
		.amdhsa_system_sgpr_workgroup_id_z 0
		.amdhsa_system_sgpr_workgroup_info 0
		.amdhsa_system_vgpr_workitem_id 0
		.amdhsa_next_free_vgpr 61
		.amdhsa_next_free_sgpr 46
		.amdhsa_accum_offset 64
		.amdhsa_reserve_vcc 1
		.amdhsa_reserve_flat_scratch 0
		.amdhsa_float_round_mode_32 0
		.amdhsa_float_round_mode_16_64 0
		.amdhsa_float_denorm_mode_32 3
		.amdhsa_float_denorm_mode_16_64 3
		.amdhsa_dx10_clamp 1
		.amdhsa_ieee_mode 1
		.amdhsa_fp16_overflow 0
		.amdhsa_tg_split 0
		.amdhsa_exception_fp_ieee_invalid_op 0
		.amdhsa_exception_fp_denorm_src 0
		.amdhsa_exception_fp_ieee_div_zero 0
		.amdhsa_exception_fp_ieee_overflow 0
		.amdhsa_exception_fp_ieee_underflow 0
		.amdhsa_exception_fp_ieee_inexact 0
		.amdhsa_exception_int_div_zero 0
	.end_amdhsa_kernel
	.section	.text._Z33per_token_group_quant_8bit_kernelIN3c108BFloat16ENS0_15Float8_e4m3fnuzELb1ELb1EfEvPKT_PvPT3_iiifffii,"axG",@progbits,_Z33per_token_group_quant_8bit_kernelIN3c108BFloat16ENS0_15Float8_e4m3fnuzELb1ELb1EfEvPKT_PvPT3_iiifffii,comdat
.Lfunc_end32:
	.size	_Z33per_token_group_quant_8bit_kernelIN3c108BFloat16ENS0_15Float8_e4m3fnuzELb1ELb1EfEvPKT_PvPT3_iiifffii, .Lfunc_end32-_Z33per_token_group_quant_8bit_kernelIN3c108BFloat16ENS0_15Float8_e4m3fnuzELb1ELb1EfEvPKT_PvPT3_iiifffii
                                        ; -- End function
	.section	.AMDGPU.csdata,"",@progbits
; Kernel info:
; codeLenInByte = 9448
; NumSgprs: 50
; NumVgprs: 61
; NumAgprs: 0
; TotalNumVgprs: 61
; ScratchSize: 0
; MemoryBound: 0
; FloatMode: 240
; IeeeMode: 1
; LDSByteSize: 0 bytes/workgroup (compile time only)
; SGPRBlocks: 6
; VGPRBlocks: 7
; NumSGPRsForWavesPerEU: 50
; NumVGPRsForWavesPerEU: 61
; AccumOffset: 64
; Occupancy: 8
; WaveLimiterHint : 0
; COMPUTE_PGM_RSRC2:SCRATCH_EN: 0
; COMPUTE_PGM_RSRC2:USER_SGPR: 6
; COMPUTE_PGM_RSRC2:TRAP_HANDLER: 0
; COMPUTE_PGM_RSRC2:TGID_X_EN: 1
; COMPUTE_PGM_RSRC2:TGID_Y_EN: 0
; COMPUTE_PGM_RSRC2:TGID_Z_EN: 0
; COMPUTE_PGM_RSRC2:TIDIG_COMP_CNT: 0
; COMPUTE_PGM_RSRC3_GFX90A:ACCUM_OFFSET: 15
; COMPUTE_PGM_RSRC3_GFX90A:TG_SPLIT: 0
	.section	.text._Z33per_token_group_quant_8bit_kernelIN3c108BFloat16ENS0_15Float8_e4m3fnuzELb1ELb0EfEvPKT_PvPT3_iiifffii,"axG",@progbits,_Z33per_token_group_quant_8bit_kernelIN3c108BFloat16ENS0_15Float8_e4m3fnuzELb1ELb0EfEvPKT_PvPT3_iiifffii,comdat
	.protected	_Z33per_token_group_quant_8bit_kernelIN3c108BFloat16ENS0_15Float8_e4m3fnuzELb1ELb0EfEvPKT_PvPT3_iiifffii ; -- Begin function _Z33per_token_group_quant_8bit_kernelIN3c108BFloat16ENS0_15Float8_e4m3fnuzELb1ELb0EfEvPKT_PvPT3_iiifffii
	.globl	_Z33per_token_group_quant_8bit_kernelIN3c108BFloat16ENS0_15Float8_e4m3fnuzELb1ELb0EfEvPKT_PvPT3_iiifffii
	.p2align	8
	.type	_Z33per_token_group_quant_8bit_kernelIN3c108BFloat16ENS0_15Float8_e4m3fnuzELb1ELb0EfEvPKT_PvPT3_iiifffii,@function
_Z33per_token_group_quant_8bit_kernelIN3c108BFloat16ENS0_15Float8_e4m3fnuzELb1ELb0EfEvPKT_PvPT3_iiifffii: ; @_Z33per_token_group_quant_8bit_kernelIN3c108BFloat16ENS0_15Float8_e4m3fnuzELb1ELb0EfEvPKT_PvPT3_iiifffii
; %bb.0:
	s_load_dword s31, s[4:5], 0x18
	s_load_dwordx2 s[0:1], s[4:5], 0x0
	s_load_dwordx4 s[16:19], s[4:5], 0x20
	s_load_dwordx2 s[2:3], s[4:5], 0x30
	v_lshrrev_b32_e32 v2, 4, v0
	s_waitcnt lgkmcnt(0)
	s_ashr_i32 s8, s31, 31
	v_and_b32_e32 v24, 15, v0
	s_mul_i32 s6, s6, s16
	v_add_co_u32_e32 v7, vcc, s6, v2
	v_addc_co_u32_e64 v8, s[6:7], 0, 0, vcc
	v_mul_lo_u32 v0, v8, s31
	v_mul_lo_u32 v1, v7, s8
	v_mad_u64_u32 v[12:13], s[6:7], v7, s31, 0
	v_add3_u32 v13, v13, v1, v0
	v_lshlrev_b64 v[0:1], 1, v[12:13]
	s_and_b32 s8, s31, 7
	v_mov_b32_e32 v4, s1
	v_add_co_u32_e32 v3, vcc, s0, v0
	s_cmp_eq_u32 s8, 0
	v_addc_co_u32_e32 v4, vcc, v4, v1, vcc
	v_mov_b32_e32 v11, 0
	v_and_b32_e32 v10, 15, v3
	s_cselect_b64 s[6:7], -1, 0
	s_cmp_lg_u32 s8, 0
	v_mul_lo_u32 v25, v2, s31
	v_cmp_ne_u64_e32 vcc, 0, v[10:11]
	s_cselect_b64 s[8:9], -1, 0
	v_lshl_add_u32 v6, v25, 1, 0
	s_or_b64 s[8:9], s[8:9], vcc
                                        ; implicit-def: $vgpr9
	s_and_saveexec_b64 s[10:11], s[8:9]
	s_xor_b64 s[8:9], exec, s[10:11]
	s_cbranch_execz .LBB33_12
; %bb.1:
	v_sub_u32_e32 v2, 0, v3
	v_bfe_u32 v2, v2, 1, 3
	v_min_i32_e32 v2, s31, v2
	v_cmp_gt_i32_e32 vcc, v2, v24
	v_mov_b32_e32 v9, s17
	s_and_saveexec_b64 s[10:11], vcc
	s_cbranch_execz .LBB33_3
; %bb.2:
	v_lshlrev_b32_e32 v5, 1, v24
	v_add_co_u32_e32 v10, vcc, v3, v5
	v_addc_co_u32_e32 v11, vcc, 0, v4, vcc
	global_load_ushort v3, v[10:11], off
	v_max_f32_e64 v4, s17, s17
	v_add_u32_e32 v5, v6, v5
	s_waitcnt vmcnt(0)
	v_lshlrev_b32_e32 v9, 16, v3
	v_max_f32_e64 v9, |v9|, |v9|
	v_max_f32_e32 v9, v4, v9
	ds_write_b16 v5, v3
.LBB33_3:
	s_or_b64 exec, exec, s[10:11]
	v_sub_u32_e32 v10, s31, v2
	v_ashrrev_i32_e32 v4, 31, v10
	v_lshrrev_b32_e32 v4, 29, v4
	v_add_u32_e32 v4, v10, v4
	v_ashrrev_i32_e32 v3, 31, v2
	v_ashrrev_i32_e32 v11, 3, v4
	v_cmp_gt_i32_e32 vcc, v11, v24
	v_lshlrev_b32_e32 v14, 1, v2
	v_lshlrev_b64 v[2:3], 1, v[2:3]
	s_and_saveexec_b64 s[10:11], vcc
	s_cbranch_execz .LBB33_7
; %bb.4:
	v_lshlrev_b32_e32 v4, 4, v24
	v_lshl_add_u32 v5, v25, 1, v4
	v_add_co_u32_e32 v4, vcc, v0, v4
	v_add3_u32 v15, v5, v14, 0
	v_addc_co_u32_e32 v5, vcc, 0, v1, vcc
	v_add_co_u32_e32 v4, vcc, v4, v2
	v_addc_co_u32_e32 v5, vcc, v5, v3, vcc
	v_mov_b32_e32 v16, s1
	v_add_co_u32_e32 v4, vcc, s0, v4
	v_addc_co_u32_e32 v5, vcc, v5, v16, vcc
	v_add_co_u32_e32 v4, vcc, 8, v4
	v_addc_co_u32_e32 v5, vcc, 0, v5, vcc
	s_mov_b64 s[12:13], 0
	v_mov_b32_e32 v16, v24
.LBB33_5:                               ; =>This Inner Loop Header: Depth=1
	global_load_dwordx4 v[18:21], v[4:5], off offset:-8
	v_add_co_u32_e32 v4, vcc, 0x100, v4
	v_add_u32_e32 v16, 16, v16
	v_addc_co_u32_e32 v5, vcc, 0, v5, vcc
	v_cmp_ge_i32_e32 vcc, v16, v11
	s_or_b64 s[12:13], vcc, s[12:13]
	s_waitcnt vmcnt(0)
	v_lshlrev_b32_e32 v17, 16, v18
	v_and_b32_e32 v22, 0xffff0000, v18
	v_lshlrev_b32_e32 v23, 16, v19
	v_and_b32_e32 v26, 0xffff0000, v19
	v_max3_f32 v9, v9, |v17|, |v22|
	v_lshlrev_b32_e32 v27, 16, v20
	v_and_b32_e32 v28, 0xffff0000, v20
	v_max3_f32 v9, v9, |v23|, |v26|
	;; [unrolled: 3-line block ×3, first 2 shown]
	ds_write_b128 v15, v[18:21]
	v_add_u32_e32 v15, 0x100, v15
	v_max3_f32 v9, v9, |v29|, |v30|
	s_andn2_b64 exec, exec, s[12:13]
	s_cbranch_execnz .LBB33_5
; %bb.6:
	s_or_b64 exec, exec, s[12:13]
.LBB33_7:
	s_or_b64 exec, exec, s[10:11]
	v_lshl_add_u32 v4, v11, 3, v24
	v_cmp_lt_i32_e32 vcc, v4, v10
	s_and_saveexec_b64 s[10:11], vcc
	s_cbranch_execz .LBB33_11
; %bb.8:
	v_lshlrev_b32_e32 v5, 1, v25
	v_lshlrev_b32_e32 v11, 4, v11
	v_add3_u32 v5, v5, v11, v14
	v_lshlrev_b32_e32 v11, 1, v24
	v_add3_u32 v11, v5, v11, 0
	v_add_co_u32_e32 v2, vcc, v0, v2
	v_ashrrev_i32_e32 v5, 31, v4
	v_addc_co_u32_e32 v3, vcc, v1, v3, vcc
	v_lshlrev_b64 v[0:1], 1, v[4:5]
	v_add_co_u32_e32 v0, vcc, v2, v0
	v_addc_co_u32_e32 v1, vcc, v3, v1, vcc
	v_mov_b32_e32 v2, s1
	v_add_co_u32_e32 v0, vcc, s0, v0
	v_addc_co_u32_e32 v1, vcc, v2, v1, vcc
	s_mov_b64 s[12:13], 0
.LBB33_9:                               ; =>This Inner Loop Header: Depth=1
	global_load_ushort v2, v[0:1], off
	v_add_co_u32_e32 v0, vcc, 32, v0
	v_add_u32_e32 v4, 16, v4
	v_addc_co_u32_e32 v1, vcc, 0, v1, vcc
	v_max_f32_e32 v3, v9, v9
	v_cmp_ge_i32_e32 vcc, v4, v10
	s_or_b64 s[12:13], vcc, s[12:13]
	s_waitcnt vmcnt(0)
	v_lshlrev_b32_e32 v5, 16, v2
	ds_write_b16 v11, v2
	v_max_f32_e64 v2, |v5|, |v5|
	v_add_u32_e32 v11, 32, v11
	v_max_f32_e32 v9, v3, v2
	s_andn2_b64 exec, exec, s[12:13]
	s_cbranch_execnz .LBB33_9
; %bb.10:
	s_or_b64 exec, exec, s[12:13]
.LBB33_11:
	s_or_b64 exec, exec, s[10:11]
                                        ; implicit-def: $vgpr0_vgpr1
.LBB33_12:
	s_andn2_saveexec_b64 s[8:9], s[8:9]
	s_cbranch_execz .LBB33_18
; %bb.13:
	s_ashr_i32 s12, s31, 3
	v_cmp_gt_i32_e32 vcc, s12, v24
	v_mov_b32_e32 v9, s17
	s_and_saveexec_b64 s[10:11], vcc
	s_cbranch_execz .LBB33_17
; %bb.14:
	v_lshlrev_b32_e32 v3, 4, v24
	v_add_co_u32_e32 v0, vcc, v0, v3
	v_lshlrev_b32_e32 v2, 1, v25
	v_addc_co_u32_e32 v1, vcc, 0, v1, vcc
	v_add3_u32 v2, v2, v3, 0
	v_mov_b32_e32 v3, s1
	v_add_co_u32_e32 v0, vcc, s0, v0
	v_addc_co_u32_e32 v1, vcc, v1, v3, vcc
	v_add_co_u32_e32 v0, vcc, 8, v0
	v_addc_co_u32_e32 v1, vcc, 0, v1, vcc
	s_mov_b64 s[0:1], 0
	v_mov_b32_e32 v9, s17
	v_mov_b32_e32 v3, v24
.LBB33_15:                              ; =>This Inner Loop Header: Depth=1
	global_load_dwordx4 v[14:17], v[0:1], off offset:-8
	v_add_co_u32_e32 v0, vcc, 0x100, v0
	v_add_u32_e32 v3, 16, v3
	v_addc_co_u32_e32 v1, vcc, 0, v1, vcc
	v_cmp_le_i32_e32 vcc, s12, v3
	s_or_b64 s[0:1], vcc, s[0:1]
	s_waitcnt vmcnt(0)
	v_lshlrev_b32_e32 v4, 16, v14
	v_and_b32_e32 v5, 0xffff0000, v14
	v_lshlrev_b32_e32 v10, 16, v15
	v_and_b32_e32 v11, 0xffff0000, v15
	v_max3_f32 v4, v9, |v4|, |v5|
	v_lshlrev_b32_e32 v18, 16, v16
	v_and_b32_e32 v19, 0xffff0000, v16
	v_max3_f32 v4, v4, |v10|, |v11|
	;; [unrolled: 3-line block ×3, first 2 shown]
	ds_write_b128 v2, v[14:17]
	v_add_u32_e32 v2, 0x100, v2
	v_max3_f32 v9, v4, |v20|, |v21|
	s_andn2_b64 exec, exec, s[0:1]
	s_cbranch_execnz .LBB33_15
; %bb.16:
	s_or_b64 exec, exec, s[0:1]
.LBB33_17:
	s_or_b64 exec, exec, s[10:11]
.LBB33_18:
	s_or_b64 exec, exec, s[8:9]
	v_mbcnt_lo_u32_b32 v0, -1, 0
	v_mbcnt_hi_u32_b32 v0, -1, v0
	v_and_b32_e32 v2, 0x70, v0
	v_xor_b32_e32 v1, 8, v0
	v_add_u32_e32 v2, 16, v2
	v_cmp_lt_i32_e32 vcc, v1, v2
	v_cndmask_b32_e32 v1, v0, v1, vcc
	v_lshlrev_b32_e32 v1, 2, v1
	ds_bpermute_b32 v1, v1, v9
	v_xor_b32_e32 v4, 4, v0
	v_max_f32_e32 v3, v9, v9
	v_cmp_lt_i32_e32 vcc, v4, v2
	s_load_dwordx2 s[20:21], s[4:5], 0x8
	s_waitcnt lgkmcnt(0)
	v_max_f32_e32 v1, v1, v1
	v_max_f32_e32 v1, v3, v1
	v_cndmask_b32_e32 v3, v0, v4, vcc
	v_lshlrev_b32_e32 v3, 2, v3
	ds_bpermute_b32 v3, v3, v1
	v_xor_b32_e32 v4, 2, v0
	v_cmp_lt_i32_e32 vcc, v4, v2
	s_waitcnt lgkmcnt(0)
	v_max_f32_e32 v3, v3, v3
	v_max_f32_e32 v1, v1, v3
	v_cndmask_b32_e32 v3, v0, v4, vcc
	v_lshlrev_b32_e32 v3, 2, v3
	ds_bpermute_b32 v3, v3, v1
	v_xor_b32_e32 v4, 1, v0
	v_cmp_lt_i32_e32 vcc, v4, v2
	v_cndmask_b32_e32 v0, v0, v4, vcc
	v_lshlrev_b32_e32 v0, 2, v0
	s_waitcnt lgkmcnt(0)
	v_max_f32_e32 v3, v3, v3
	v_max_f32_e32 v1, v1, v3
	ds_bpermute_b32 v0, v0, v1
	s_waitcnt lgkmcnt(0)
	v_max_f32_e32 v0, v0, v0
	v_max_f32_e32 v0, v1, v0
	v_div_scale_f32 v1, s[0:1], s19, s19, v0
	v_rcp_f32_e32 v2, v1
	v_div_scale_f32 v3, vcc, v0, s19, v0
	v_fma_f32 v4, -v1, v2, 1.0
	v_fmac_f32_e32 v2, v4, v2
	v_mul_f32_e32 v4, v3, v2
	v_fma_f32 v5, -v1, v4, v3
	v_fmac_f32_e32 v4, v5, v2
	v_fma_f32 v1, -v1, v4, v3
	v_div_fmas_f32 v1, v1, v2, v4
	v_div_fixup_f32 v0, v1, s19, v0
	v_cmp_eq_u32_e32 vcc, 0, v24
	s_and_saveexec_b64 s[8:9], vcc
	s_cbranch_execz .LBB33_24
; %bb.19:
	s_load_dwordx2 s[4:5], s[4:5], 0x10
	s_ashr_i32 s0, s2, 31
	v_or_b32_e32 v3, s0, v8
	v_mov_b32_e32 v2, 0
	v_cmp_ne_u64_e32 vcc, 0, v[2:3]
                                        ; implicit-def: $vgpr2_vgpr3
	s_and_saveexec_b64 s[10:11], vcc
	s_xor_b64 s[10:11], exec, s[10:11]
	s_cbranch_execz .LBB33_21
; %bb.20:
	s_add_u32 s14, s2, s0
	s_mov_b32 s12, s0
	s_mov_b32 s13, s0
	s_addc_u32 s15, s0, s0
	s_xor_b64 s[14:15], s[14:15], s[12:13]
	v_cvt_f32_u32_e32 v1, s14
	v_cvt_f32_u32_e32 v2, s15
	s_sub_u32 s0, 0, s14
	s_subb_u32 s1, 0, s15
	v_madmk_f32 v1, v2, 0x4f800000, v1
	v_rcp_f32_e32 v1, v1
	v_mul_f32_e32 v1, 0x5f7ffffc, v1
	v_mul_f32_e32 v2, 0x2f800000, v1
	v_trunc_f32_e32 v2, v2
	v_madmk_f32 v1, v2, 0xcf800000, v1
	v_cvt_u32_f32_e32 v2, v2
	v_cvt_u32_f32_e32 v1, v1
	v_mul_lo_u32 v3, s0, v2
	v_mul_hi_u32 v5, s0, v1
	v_mul_lo_u32 v4, s1, v1
	v_add_u32_e32 v3, v5, v3
	v_mul_lo_u32 v9, s0, v1
	v_add_u32_e32 v3, v3, v4
	v_mul_lo_u32 v5, v1, v3
	v_mul_hi_u32 v10, v1, v9
	v_mul_hi_u32 v4, v1, v3
	v_add_co_u32_e32 v5, vcc, v10, v5
	v_addc_co_u32_e32 v4, vcc, 0, v4, vcc
	v_mul_hi_u32 v11, v2, v9
	v_mul_lo_u32 v9, v2, v9
	v_add_co_u32_e32 v5, vcc, v5, v9
	v_mul_hi_u32 v10, v2, v3
	v_addc_co_u32_e32 v4, vcc, v4, v11, vcc
	v_addc_co_u32_e32 v5, vcc, 0, v10, vcc
	v_mul_lo_u32 v3, v2, v3
	v_add_co_u32_e32 v3, vcc, v4, v3
	v_addc_co_u32_e32 v4, vcc, 0, v5, vcc
	v_add_co_u32_e32 v1, vcc, v1, v3
	v_addc_co_u32_e32 v2, vcc, v2, v4, vcc
	v_mul_lo_u32 v3, s0, v2
	v_mul_hi_u32 v4, s0, v1
	v_add_u32_e32 v3, v4, v3
	v_mul_lo_u32 v4, s1, v1
	v_add_u32_e32 v3, v3, v4
	v_mul_lo_u32 v5, s0, v1
	v_mul_hi_u32 v9, v2, v5
	v_mul_lo_u32 v10, v2, v5
	v_mul_lo_u32 v14, v1, v3
	v_mul_hi_u32 v5, v1, v5
	v_mul_hi_u32 v11, v1, v3
	v_add_co_u32_e32 v5, vcc, v5, v14
	v_addc_co_u32_e32 v11, vcc, 0, v11, vcc
	v_add_co_u32_e32 v5, vcc, v5, v10
	v_mul_hi_u32 v4, v2, v3
	v_addc_co_u32_e32 v5, vcc, v11, v9, vcc
	v_addc_co_u32_e32 v4, vcc, 0, v4, vcc
	v_mul_lo_u32 v3, v2, v3
	v_add_co_u32_e32 v3, vcc, v5, v3
	v_addc_co_u32_e32 v4, vcc, 0, v4, vcc
	v_add_co_u32_e32 v1, vcc, v1, v3
	v_addc_co_u32_e32 v4, vcc, v2, v4, vcc
	v_mad_u64_u32 v[2:3], s[0:1], v7, v4, 0
	v_mul_hi_u32 v5, v7, v1
	v_add_co_u32_e32 v9, vcc, v5, v2
	v_addc_co_u32_e32 v10, vcc, 0, v3, vcc
	v_mad_u64_u32 v[2:3], s[0:1], v8, v4, 0
	v_mad_u64_u32 v[4:5], s[0:1], v8, v1, 0
	v_add_co_u32_e32 v1, vcc, v9, v4
	v_addc_co_u32_e32 v1, vcc, v10, v5, vcc
	v_addc_co_u32_e32 v3, vcc, 0, v3, vcc
	v_add_co_u32_e32 v1, vcc, v1, v2
	v_addc_co_u32_e32 v2, vcc, 0, v3, vcc
	v_mul_lo_u32 v4, s15, v1
	v_mul_lo_u32 v5, s14, v2
	v_mad_u64_u32 v[2:3], s[0:1], s14, v1, 0
	v_add3_u32 v3, v3, v5, v4
	v_sub_u32_e32 v4, v8, v3
	v_mov_b32_e32 v5, s15
	v_sub_co_u32_e32 v2, vcc, v7, v2
	v_subb_co_u32_e64 v4, s[0:1], v4, v5, vcc
	v_subrev_co_u32_e64 v5, s[0:1], s14, v2
	v_subbrev_co_u32_e64 v4, s[0:1], 0, v4, s[0:1]
	v_cmp_le_u32_e64 s[0:1], s15, v4
	v_subb_co_u32_e32 v3, vcc, v8, v3, vcc
	v_cndmask_b32_e64 v9, 0, -1, s[0:1]
	v_cmp_le_u32_e64 s[0:1], s14, v5
	v_cmp_le_u32_e32 vcc, s15, v3
	v_cndmask_b32_e64 v5, 0, -1, s[0:1]
	v_cmp_eq_u32_e64 s[0:1], s15, v4
	v_cndmask_b32_e64 v8, 0, -1, vcc
	v_cmp_le_u32_e32 vcc, s14, v2
	v_cndmask_b32_e64 v4, v9, v5, s[0:1]
	v_cndmask_b32_e64 v2, 0, -1, vcc
	v_cmp_eq_u32_e32 vcc, s15, v3
	v_add_co_u32_e64 v5, s[0:1], 2, v1
	v_add_co_u32_e64 v9, s[0:1], 1, v1
	v_cndmask_b32_e32 v2, v8, v2, vcc
	v_cmp_ne_u32_e32 vcc, 0, v4
	v_cndmask_b32_e32 v3, v9, v5, vcc
	v_cmp_ne_u32_e32 vcc, 0, v2
	v_cndmask_b32_e32 v1, v1, v3, vcc
	v_xor_b32_e32 v1, s12, v1
	v_subrev_co_u32_e32 v2, vcc, s12, v1
.LBB33_21:
	s_andn2_saveexec_b64 s[0:1], s[10:11]
	s_cbranch_execz .LBB33_23
; %bb.22:
	v_cvt_f32_u32_e32 v1, s2
	s_sub_i32 s10, 0, s2
	v_rcp_iflag_f32_e32 v1, v1
	v_mul_f32_e32 v1, 0x4f7ffffe, v1
	v_cvt_u32_f32_e32 v1, v1
	v_mul_lo_u32 v2, s10, v1
	v_mul_hi_u32 v2, v1, v2
	v_add_u32_e32 v1, v1, v2
	v_mul_hi_u32 v1, v7, v1
	v_mul_lo_u32 v2, v1, s2
	v_sub_u32_e32 v2, v7, v2
	v_add_u32_e32 v3, 1, v1
	v_subrev_u32_e32 v4, s2, v2
	v_cmp_le_u32_e32 vcc, s2, v2
	v_cndmask_b32_e32 v2, v2, v4, vcc
	v_cndmask_b32_e32 v1, v1, v3, vcc
	v_add_u32_e32 v3, 1, v1
	v_cmp_le_u32_e32 vcc, s2, v2
	v_cndmask_b32_e32 v2, v1, v3, vcc
.LBB33_23:
	s_or_b64 exec, exec, s[0:1]
	v_mul_lo_u32 v1, v2, s2
	v_sub_u32_e32 v1, v7, v1
	v_mad_u64_u32 v[2:3], s[0:1], v1, s3, v[2:3]
	v_ashrrev_i32_e32 v3, 31, v2
	v_lshlrev_b64 v[2:3], 2, v[2:3]
	s_waitcnt lgkmcnt(0)
	v_mov_b32_e32 v1, s5
	v_add_co_u32_e32 v2, vcc, s4, v2
	v_addc_co_u32_e32 v3, vcc, v1, v3, vcc
	global_store_dword v[2:3], v0, off
.LBB33_24:
	s_or_b64 exec, exec, s[8:9]
	v_and_b32_e32 v2, 15, v6
	v_mov_b32_e32 v3, 0
	v_cmp_ne_u64_e32 vcc, 0, v[2:3]
	s_xor_b64 s[0:1], s[6:7], -1
	s_or_b64 s[0:1], s[0:1], vcc
	s_barrier
	s_and_saveexec_b64 s[2:3], s[0:1]
	s_xor_b64 s[22:23], exec, s[2:3]
	s_cbranch_execz .LBB33_119
; %bb.25:
	v_mov_b32_e32 v2, s21
	v_add_co_u32_e32 v1, vcc, s20, v12
	v_addc_co_u32_e32 v30, vcc, v2, v13, vcc
	v_sub_u32_e32 v2, 0, v6
	v_bfe_u32 v2, v2, 1, 3
	v_min_i32_e32 v27, s31, v2
	v_cmp_gt_i32_e32 vcc, v27, v24
	s_and_saveexec_b64 s[0:1], vcc
	s_cbranch_execz .LBB33_33
; %bb.26:
	v_lshl_add_u32 v2, v24, 1, v6
	ds_read_u16 v2, v2
	v_max_f32_e64 v3, s18, s18
	v_max_f32_e64 v4, s19, s19
	s_waitcnt lgkmcnt(0)
	v_lshlrev_b32_e32 v2, 16, v2
	v_div_scale_f32 v5, s[2:3], v0, v0, v2
	v_rcp_f32_e32 v6, v5
	v_div_scale_f32 v7, vcc, v2, v0, v2
	s_mov_b32 s2, 0x43800000
	v_fma_f32 v8, -v5, v6, 1.0
	v_fmac_f32_e32 v6, v8, v6
	v_mul_f32_e32 v8, v7, v6
	v_fma_f32 v9, -v5, v8, v7
	v_fmac_f32_e32 v8, v9, v6
	v_fma_f32 v5, -v5, v8, v7
	v_div_fmas_f32 v5, v5, v6, v8
	v_div_fixup_f32 v2, v5, v0, v2
	v_max_f32_e32 v2, v2, v3
	v_min_f32_e32 v2, v2, v4
	v_and_b32_e32 v3, 0x7fffffff, v2
	v_cmp_gt_u32_e32 vcc, s2, v3
	v_mov_b32_e32 v4, 0x80
	s_and_saveexec_b64 s[2:3], vcc
	s_cbranch_execz .LBB33_32
; %bb.27:
	s_mov_b32 s4, 0x3bffffff
	v_cmp_lt_u32_e32 vcc, s4, v3
	s_mov_b64 s[4:5], 0
                                        ; implicit-def: $vgpr3
	s_and_saveexec_b64 s[6:7], vcc
	s_xor_b64 s[6:7], exec, s[6:7]
	s_cbranch_execnz .LBB33_188
; %bb.28:
	s_or_saveexec_b64 s[6:7], s[6:7]
                                        ; implicit-def: $sgpr8
	s_xor_b64 exec, exec, s[6:7]
	s_cbranch_execnz .LBB33_189
.LBB33_29:
	s_or_b64 exec, exec, s[6:7]
	v_mov_b32_e32 v4, s8
	s_and_saveexec_b64 s[6:7], s[4:5]
.LBB33_30:
	v_lshrrev_b32_e32 v2, 24, v2
	s_movk_i32 s4, 0x80
	v_and_or_b32 v4, v2, s4, v3
.LBB33_31:
	s_or_b64 exec, exec, s[6:7]
.LBB33_32:
	s_or_b64 exec, exec, s[2:3]
	v_add_co_u32_e32 v2, vcc, v1, v24
	v_addc_co_u32_e32 v3, vcc, 0, v30, vcc
	global_store_byte v[2:3], v4, off
.LBB33_33:
	s_or_b64 exec, exec, s[0:1]
	v_sub_u32_e32 v26, s31, v27
	v_ashrrev_i32_e32 v2, 31, v26
	v_lshrrev_b32_e32 v2, 29, v2
	v_add_u32_e32 v2, v26, v2
	v_ashrrev_i32_e32 v31, 3, v2
	v_ashrrev_i32_e32 v28, 31, v27
	v_cmp_gt_i32_e32 vcc, v31, v24
	v_lshlrev_b32_e32 v29, 1, v27
	s_and_saveexec_b64 s[2:3], vcc
	s_cbranch_execz .LBB33_100
; %bb.34:
	v_lshlrev_b32_e32 v2, 4, v24
	v_lshl_add_u32 v2, v25, 1, v2
	v_lshlrev_b32_e32 v3, 1, v27
	v_add3_u32 v32, v2, v3, 0
	v_add_co_u32_e32 v2, vcc, v27, v12
	v_addc_co_u32_e32 v3, vcc, v28, v13, vcc
	v_lshlrev_b32_e32 v4, 3, v24
	v_add_co_u32_e32 v2, vcc, v2, v4
	v_addc_co_u32_e32 v3, vcc, 0, v3, vcc
	v_mov_b32_e32 v4, s21
	v_add_co_u32_e32 v6, vcc, s20, v2
	v_addc_co_u32_e32 v7, vcc, v4, v3, vcc
	s_mov_b64 s[4:5], 0
	v_max_f32_e64 v33, s18, s18
	v_max_f32_e64 v34, s19, s19
	s_mov_b32 s12, 0x43800000
	s_mov_b32 s13, 0x3bffffff
	;; [unrolled: 1-line block ×4, first 2 shown]
	s_movk_i32 s16, 0x80
	s_mov_b32 s17, 0xff00
	s_mov_b32 s24, 0x4020c0c
	v_mov_b32_e32 v35, v24
	s_branch .LBB33_37
.LBB33_35:                              ;   in Loop: Header=BB33_37 Depth=1
	s_or_b64 exec, exec, s[8:9]
.LBB33_36:                              ;   in Loop: Header=BB33_37 Depth=1
	s_or_b64 exec, exec, s[0:1]
	v_lshlrev_b32_e32 v4, 16, v20
	v_lshlrev_b32_e32 v3, 24, v22
	v_and_b32_e32 v4, 0xff0000, v4
	v_or_b32_e32 v3, v3, v4
	v_lshlrev_b32_e32 v4, 8, v18
	v_and_b32_e32 v4, 0xff00, v4
	v_and_b32_e32 v2, 0xff, v2
	v_or3_b32 v3, v3, v4, v2
	v_lshlrev_b32_e32 v2, 16, v16
	v_lshlrev_b32_e32 v4, 8, v8
	v_perm_b32 v2, v14, v2, s24
	v_and_or_b32 v2, v4, s17, v2
	v_or_b32_sdwa v2, v2, v10 dst_sel:DWORD dst_unused:UNUSED_PAD src0_sel:DWORD src1_sel:BYTE_0
	v_add_u32_e32 v35, 16, v35
	global_store_dwordx2 v[6:7], v[2:3], off
	v_add_co_u32_e32 v6, vcc, 0x80, v6
	v_cmp_ge_i32_e64 s[0:1], v35, v31
	v_add_u32_e32 v32, 0x100, v32
	s_or_b64 s[4:5], s[0:1], s[4:5]
	v_addc_co_u32_e32 v7, vcc, 0, v7, vcc
	s_andn2_b64 exec, exec, s[4:5]
	s_cbranch_execz .LBB33_100
.LBB33_37:                              ; =>This Inner Loop Header: Depth=1
	ds_read_b128 v[2:5], v32
	v_mov_b32_e32 v8, 0x80
	v_mov_b32_e32 v9, 0
	s_waitcnt lgkmcnt(0)
	v_lshlrev_b32_e32 v10, 16, v2
	v_div_scale_f32 v11, s[0:1], v0, v0, v10
	v_rcp_f32_e32 v14, v11
	v_div_scale_f32 v15, vcc, v10, v0, v10
	v_fma_f32 v16, -v11, v14, 1.0
	v_fmac_f32_e32 v14, v16, v14
	v_mul_f32_e32 v16, v15, v14
	v_fma_f32 v17, -v11, v16, v15
	v_fmac_f32_e32 v16, v17, v14
	v_fma_f32 v11, -v11, v16, v15
	v_div_fmas_f32 v11, v11, v14, v16
	v_div_fixup_f32 v10, v11, v0, v10
	v_max_f32_e32 v10, v10, v33
	v_min_f32_e32 v14, v10, v34
	v_and_b32_e32 v15, 0x7fffffff, v14
	v_cmp_gt_u32_e32 vcc, s12, v15
	v_pk_mov_b32 v[10:11], v[8:9], v[8:9] op_sel:[0,1]
	s_and_saveexec_b64 s[0:1], vcc
	s_cbranch_execz .LBB33_43
; %bb.38:                               ;   in Loop: Header=BB33_37 Depth=1
	v_cmp_lt_u32_e32 vcc, s13, v15
	s_mov_b64 s[6:7], 0
                                        ; implicit-def: $vgpr9
	s_and_saveexec_b64 s[8:9], vcc
	s_xor_b64 s[8:9], exec, s[8:9]
	s_cbranch_execnz .LBB33_83
; %bb.39:                               ;   in Loop: Header=BB33_37 Depth=1
	s_or_saveexec_b64 s[8:9], s[8:9]
                                        ; implicit-def: $sgpr10_sgpr11
	s_xor_b64 exec, exec, s[8:9]
	s_cbranch_execnz .LBB33_84
.LBB33_40:                              ;   in Loop: Header=BB33_37 Depth=1
	s_or_b64 exec, exec, s[8:9]
	v_pk_mov_b32 v[10:11], s[10:11], s[10:11] op_sel:[0,1]
	s_and_saveexec_b64 s[8:9], s[6:7]
.LBB33_41:                              ;   in Loop: Header=BB33_37 Depth=1
	v_lshrrev_b32_e32 v10, 24, v14
	v_and_or_b32 v10, v10, s16, v9
.LBB33_42:                              ;   in Loop: Header=BB33_37 Depth=1
	s_or_b64 exec, exec, s[8:9]
.LBB33_43:                              ;   in Loop: Header=BB33_37 Depth=1
	s_or_b64 exec, exec, s[0:1]
	v_and_b32_e32 v2, 0xffff0000, v2
	v_div_scale_f32 v9, s[0:1], v0, v0, v2
	v_rcp_f32_e32 v11, v9
	v_div_scale_f32 v14, vcc, v2, v0, v2
	v_fma_f32 v15, -v9, v11, 1.0
	v_fmac_f32_e32 v11, v15, v11
	v_mul_f32_e32 v15, v14, v11
	v_fma_f32 v16, -v9, v15, v14
	v_fmac_f32_e32 v15, v16, v11
	v_fma_f32 v9, -v9, v15, v14
	v_div_fmas_f32 v9, v9, v11, v15
	v_div_fixup_f32 v2, v9, v0, v2
	v_max_f32_e32 v2, v2, v33
	v_min_f32_e32 v2, v2, v34
	v_and_b32_e32 v9, 0x7fffffff, v2
	v_cmp_gt_u32_e32 vcc, s12, v9
	s_and_saveexec_b64 s[0:1], vcc
	s_cbranch_execz .LBB33_49
; %bb.44:                               ;   in Loop: Header=BB33_37 Depth=1
	v_cmp_lt_u32_e32 vcc, s13, v9
	s_mov_b64 s[6:7], 0
                                        ; implicit-def: $vgpr11
	s_and_saveexec_b64 s[8:9], vcc
	s_xor_b64 s[8:9], exec, s[8:9]
	s_cbranch_execnz .LBB33_85
; %bb.45:                               ;   in Loop: Header=BB33_37 Depth=1
	s_or_saveexec_b64 s[8:9], s[8:9]
                                        ; implicit-def: $sgpr10_sgpr11
	s_xor_b64 exec, exec, s[8:9]
	s_cbranch_execnz .LBB33_86
.LBB33_46:                              ;   in Loop: Header=BB33_37 Depth=1
	s_or_b64 exec, exec, s[8:9]
	v_pk_mov_b32 v[8:9], s[10:11], s[10:11] op_sel:[0,1]
	s_and_saveexec_b64 s[8:9], s[6:7]
.LBB33_47:                              ;   in Loop: Header=BB33_37 Depth=1
	v_lshrrev_b32_e32 v2, 24, v2
	v_and_or_b32 v8, v2, s16, v11
.LBB33_48:                              ;   in Loop: Header=BB33_37 Depth=1
	s_or_b64 exec, exec, s[8:9]
.LBB33_49:                              ;   in Loop: Header=BB33_37 Depth=1
	s_or_b64 exec, exec, s[0:1]
	v_lshlrev_b32_e32 v2, 16, v3
	v_div_scale_f32 v9, s[0:1], v0, v0, v2
	v_rcp_f32_e32 v11, v9
	v_div_scale_f32 v14, vcc, v2, v0, v2
	v_fma_f32 v15, -v9, v11, 1.0
	v_fmac_f32_e32 v11, v15, v11
	v_mul_f32_e32 v15, v14, v11
	v_fma_f32 v16, -v9, v15, v14
	v_fmac_f32_e32 v15, v16, v11
	v_fma_f32 v9, -v9, v15, v14
	v_div_fmas_f32 v9, v9, v11, v15
	v_div_fixup_f32 v2, v9, v0, v2
	v_max_f32_e32 v2, v2, v33
	v_min_f32_e32 v2, v2, v34
	v_mov_b32_e32 v14, 0x80
	v_and_b32_e32 v9, 0x7fffffff, v2
	v_mov_b32_e32 v15, 0
	v_cmp_gt_u32_e32 vcc, s12, v9
	v_pk_mov_b32 v[16:17], v[14:15], v[14:15] op_sel:[0,1]
	s_and_saveexec_b64 s[0:1], vcc
	s_cbranch_execz .LBB33_55
; %bb.50:                               ;   in Loop: Header=BB33_37 Depth=1
	v_cmp_lt_u32_e32 vcc, s13, v9
	s_mov_b64 s[6:7], 0
                                        ; implicit-def: $vgpr9
	s_and_saveexec_b64 s[8:9], vcc
	s_xor_b64 s[8:9], exec, s[8:9]
	s_cbranch_execnz .LBB33_87
; %bb.51:                               ;   in Loop: Header=BB33_37 Depth=1
	s_or_saveexec_b64 s[8:9], s[8:9]
                                        ; implicit-def: $sgpr10_sgpr11
	s_xor_b64 exec, exec, s[8:9]
	s_cbranch_execnz .LBB33_88
.LBB33_52:                              ;   in Loop: Header=BB33_37 Depth=1
	s_or_b64 exec, exec, s[8:9]
	v_pk_mov_b32 v[16:17], s[10:11], s[10:11] op_sel:[0,1]
	s_and_saveexec_b64 s[8:9], s[6:7]
.LBB33_53:                              ;   in Loop: Header=BB33_37 Depth=1
	v_lshrrev_b32_e32 v2, 24, v2
	v_and_or_b32 v16, v2, s16, v9
.LBB33_54:                              ;   in Loop: Header=BB33_37 Depth=1
	s_or_b64 exec, exec, s[8:9]
.LBB33_55:                              ;   in Loop: Header=BB33_37 Depth=1
	s_or_b64 exec, exec, s[0:1]
	v_and_b32_e32 v2, 0xffff0000, v3
	v_div_scale_f32 v3, s[0:1], v0, v0, v2
	v_rcp_f32_e32 v9, v3
	v_div_scale_f32 v11, vcc, v2, v0, v2
	v_fma_f32 v15, -v3, v9, 1.0
	v_fmac_f32_e32 v9, v15, v9
	v_mul_f32_e32 v15, v11, v9
	v_fma_f32 v17, -v3, v15, v11
	v_fmac_f32_e32 v15, v17, v9
	v_fma_f32 v3, -v3, v15, v11
	v_div_fmas_f32 v3, v3, v9, v15
	v_div_fixup_f32 v2, v3, v0, v2
	v_max_f32_e32 v2, v2, v33
	v_min_f32_e32 v2, v2, v34
	v_and_b32_e32 v3, 0x7fffffff, v2
	v_cmp_gt_u32_e32 vcc, s12, v3
	s_and_saveexec_b64 s[0:1], vcc
	s_cbranch_execz .LBB33_61
; %bb.56:                               ;   in Loop: Header=BB33_37 Depth=1
	v_cmp_lt_u32_e32 vcc, s13, v3
	s_mov_b64 s[6:7], 0
                                        ; implicit-def: $vgpr3
	s_and_saveexec_b64 s[8:9], vcc
	s_xor_b64 s[8:9], exec, s[8:9]
	s_cbranch_execnz .LBB33_89
; %bb.57:                               ;   in Loop: Header=BB33_37 Depth=1
	s_or_saveexec_b64 s[8:9], s[8:9]
                                        ; implicit-def: $sgpr10_sgpr11
	s_xor_b64 exec, exec, s[8:9]
	s_cbranch_execnz .LBB33_90
.LBB33_58:                              ;   in Loop: Header=BB33_37 Depth=1
	s_or_b64 exec, exec, s[8:9]
	v_pk_mov_b32 v[14:15], s[10:11], s[10:11] op_sel:[0,1]
	s_and_saveexec_b64 s[8:9], s[6:7]
.LBB33_59:                              ;   in Loop: Header=BB33_37 Depth=1
	v_lshrrev_b32_e32 v2, 24, v2
	v_and_or_b32 v14, v2, s16, v3
.LBB33_60:                              ;   in Loop: Header=BB33_37 Depth=1
	s_or_b64 exec, exec, s[8:9]
.LBB33_61:                              ;   in Loop: Header=BB33_37 Depth=1
	s_or_b64 exec, exec, s[0:1]
	v_lshlrev_b32_e32 v2, 16, v4
	v_div_scale_f32 v3, s[0:1], v0, v0, v2
	v_rcp_f32_e32 v9, v3
	v_div_scale_f32 v11, vcc, v2, v0, v2
	v_mov_b32_e32 v18, 0x80
	v_fma_f32 v15, -v3, v9, 1.0
	v_fmac_f32_e32 v9, v15, v9
	v_mul_f32_e32 v15, v11, v9
	v_fma_f32 v17, -v3, v15, v11
	v_fmac_f32_e32 v15, v17, v9
	v_fma_f32 v3, -v3, v15, v11
	v_div_fmas_f32 v3, v3, v9, v15
	v_div_fixup_f32 v2, v3, v0, v2
	v_max_f32_e32 v2, v2, v33
	v_min_f32_e32 v9, v2, v34
	v_and_b32_e32 v11, 0x7fffffff, v9
	v_mov_b32_e32 v19, 0
	v_cmp_gt_u32_e32 vcc, s12, v11
	v_pk_mov_b32 v[2:3], v[18:19], v[18:19] op_sel:[0,1]
	s_and_saveexec_b64 s[0:1], vcc
	s_cbranch_execz .LBB33_67
; %bb.62:                               ;   in Loop: Header=BB33_37 Depth=1
	v_cmp_lt_u32_e32 vcc, s13, v11
	s_mov_b64 s[6:7], 0
                                        ; implicit-def: $vgpr11
	s_and_saveexec_b64 s[8:9], vcc
	s_xor_b64 s[8:9], exec, s[8:9]
	s_cbranch_execnz .LBB33_91
; %bb.63:                               ;   in Loop: Header=BB33_37 Depth=1
	s_or_saveexec_b64 s[8:9], s[8:9]
                                        ; implicit-def: $sgpr10_sgpr11
	s_xor_b64 exec, exec, s[8:9]
	s_cbranch_execnz .LBB33_92
.LBB33_64:                              ;   in Loop: Header=BB33_37 Depth=1
	s_or_b64 exec, exec, s[8:9]
	v_pk_mov_b32 v[2:3], s[10:11], s[10:11] op_sel:[0,1]
	s_and_saveexec_b64 s[8:9], s[6:7]
.LBB33_65:                              ;   in Loop: Header=BB33_37 Depth=1
	v_lshrrev_b32_e32 v2, 24, v9
	v_and_or_b32 v2, v2, s16, v11
.LBB33_66:                              ;   in Loop: Header=BB33_37 Depth=1
	s_or_b64 exec, exec, s[8:9]
.LBB33_67:                              ;   in Loop: Header=BB33_37 Depth=1
	s_or_b64 exec, exec, s[0:1]
	v_and_b32_e32 v3, 0xffff0000, v4
	v_div_scale_f32 v4, s[0:1], v0, v0, v3
	v_rcp_f32_e32 v9, v4
	v_div_scale_f32 v11, vcc, v3, v0, v3
	v_fma_f32 v15, -v4, v9, 1.0
	v_fmac_f32_e32 v9, v15, v9
	v_mul_f32_e32 v15, v11, v9
	v_fma_f32 v17, -v4, v15, v11
	v_fmac_f32_e32 v15, v17, v9
	v_fma_f32 v4, -v4, v15, v11
	v_div_fmas_f32 v4, v4, v9, v15
	v_div_fixup_f32 v3, v4, v0, v3
	v_max_f32_e32 v3, v3, v33
	v_min_f32_e32 v3, v3, v34
	v_and_b32_e32 v4, 0x7fffffff, v3
	v_cmp_gt_u32_e32 vcc, s12, v4
	s_and_saveexec_b64 s[0:1], vcc
	s_cbranch_execz .LBB33_73
; %bb.68:                               ;   in Loop: Header=BB33_37 Depth=1
	v_cmp_lt_u32_e32 vcc, s13, v4
	s_mov_b64 s[6:7], 0
                                        ; implicit-def: $vgpr4
	s_and_saveexec_b64 s[8:9], vcc
	s_xor_b64 s[8:9], exec, s[8:9]
	s_cbranch_execnz .LBB33_93
; %bb.69:                               ;   in Loop: Header=BB33_37 Depth=1
	s_or_saveexec_b64 s[8:9], s[8:9]
                                        ; implicit-def: $sgpr10_sgpr11
	s_xor_b64 exec, exec, s[8:9]
	s_cbranch_execnz .LBB33_94
.LBB33_70:                              ;   in Loop: Header=BB33_37 Depth=1
	s_or_b64 exec, exec, s[8:9]
	v_pk_mov_b32 v[18:19], s[10:11], s[10:11] op_sel:[0,1]
	s_and_saveexec_b64 s[8:9], s[6:7]
.LBB33_71:                              ;   in Loop: Header=BB33_37 Depth=1
	v_lshrrev_b32_e32 v3, 24, v3
	v_and_or_b32 v18, v3, s16, v4
.LBB33_72:                              ;   in Loop: Header=BB33_37 Depth=1
	s_or_b64 exec, exec, s[8:9]
.LBB33_73:                              ;   in Loop: Header=BB33_37 Depth=1
	s_or_b64 exec, exec, s[0:1]
	v_lshlrev_b32_e32 v3, 16, v5
	v_div_scale_f32 v4, s[0:1], v0, v0, v3
	v_rcp_f32_e32 v9, v4
	v_div_scale_f32 v11, vcc, v3, v0, v3
	v_mov_b32_e32 v22, 0x80
	v_fma_f32 v15, -v4, v9, 1.0
	v_fmac_f32_e32 v9, v15, v9
	v_mul_f32_e32 v15, v11, v9
	v_fma_f32 v17, -v4, v15, v11
	v_fmac_f32_e32 v15, v17, v9
	v_fma_f32 v4, -v4, v15, v11
	v_div_fmas_f32 v4, v4, v9, v15
	v_div_fixup_f32 v3, v4, v0, v3
	v_max_f32_e32 v3, v3, v33
	v_min_f32_e32 v3, v3, v34
	v_and_b32_e32 v4, 0x7fffffff, v3
	v_mov_b32_e32 v23, 0
	v_cmp_gt_u32_e32 vcc, s12, v4
	v_pk_mov_b32 v[20:21], v[22:23], v[22:23] op_sel:[0,1]
	s_and_saveexec_b64 s[0:1], vcc
	s_cbranch_execz .LBB33_79
; %bb.74:                               ;   in Loop: Header=BB33_37 Depth=1
	v_cmp_lt_u32_e32 vcc, s13, v4
	s_mov_b64 s[6:7], 0
                                        ; implicit-def: $vgpr4
	s_and_saveexec_b64 s[8:9], vcc
	s_xor_b64 s[8:9], exec, s[8:9]
	s_cbranch_execnz .LBB33_95
; %bb.75:                               ;   in Loop: Header=BB33_37 Depth=1
	s_or_saveexec_b64 s[8:9], s[8:9]
                                        ; implicit-def: $sgpr10_sgpr11
	s_xor_b64 exec, exec, s[8:9]
	s_cbranch_execnz .LBB33_96
.LBB33_76:                              ;   in Loop: Header=BB33_37 Depth=1
	s_or_b64 exec, exec, s[8:9]
	v_pk_mov_b32 v[20:21], s[10:11], s[10:11] op_sel:[0,1]
	s_and_saveexec_b64 s[8:9], s[6:7]
.LBB33_77:                              ;   in Loop: Header=BB33_37 Depth=1
	v_lshrrev_b32_e32 v3, 24, v3
	v_and_or_b32 v20, v3, s16, v4
.LBB33_78:                              ;   in Loop: Header=BB33_37 Depth=1
	s_or_b64 exec, exec, s[8:9]
.LBB33_79:                              ;   in Loop: Header=BB33_37 Depth=1
	s_or_b64 exec, exec, s[0:1]
	v_and_b32_e32 v3, 0xffff0000, v5
	v_div_scale_f32 v4, s[0:1], v0, v0, v3
	v_rcp_f32_e32 v5, v4
	v_div_scale_f32 v9, vcc, v3, v0, v3
	v_fma_f32 v11, -v4, v5, 1.0
	v_fmac_f32_e32 v5, v11, v5
	v_mul_f32_e32 v11, v9, v5
	v_fma_f32 v15, -v4, v11, v9
	v_fmac_f32_e32 v11, v15, v5
	v_fma_f32 v4, -v4, v11, v9
	v_div_fmas_f32 v4, v4, v5, v11
	v_div_fixup_f32 v3, v4, v0, v3
	v_max_f32_e32 v3, v3, v33
	v_min_f32_e32 v3, v3, v34
	v_and_b32_e32 v4, 0x7fffffff, v3
	v_cmp_gt_u32_e32 vcc, s12, v4
	s_and_saveexec_b64 s[0:1], vcc
	s_cbranch_execz .LBB33_36
; %bb.80:                               ;   in Loop: Header=BB33_37 Depth=1
	v_cmp_lt_u32_e32 vcc, s13, v4
	s_mov_b64 s[6:7], 0
                                        ; implicit-def: $vgpr4
	s_and_saveexec_b64 s[8:9], vcc
	s_xor_b64 s[8:9], exec, s[8:9]
	s_cbranch_execnz .LBB33_97
; %bb.81:                               ;   in Loop: Header=BB33_37 Depth=1
	s_or_saveexec_b64 s[8:9], s[8:9]
                                        ; implicit-def: $sgpr10_sgpr11
	s_xor_b64 exec, exec, s[8:9]
	s_cbranch_execnz .LBB33_98
.LBB33_82:                              ;   in Loop: Header=BB33_37 Depth=1
	s_or_b64 exec, exec, s[8:9]
	v_pk_mov_b32 v[22:23], s[10:11], s[10:11] op_sel:[0,1]
	s_and_saveexec_b64 s[8:9], s[6:7]
	s_cbranch_execz .LBB33_35
	s_branch .LBB33_99
.LBB33_83:                              ;   in Loop: Header=BB33_37 Depth=1
	v_bfe_u32 v9, v14, 20, 1
	v_add3_u32 v9, v14, v9, s14
	s_mov_b64 s[6:7], exec
	v_lshrrev_b32_e32 v9, 20, v9
	s_or_saveexec_b64 s[8:9], s[8:9]
                                        ; implicit-def: $sgpr10_sgpr11
	s_xor_b64 exec, exec, s[8:9]
	s_cbranch_execz .LBB33_40
.LBB33_84:                              ;   in Loop: Header=BB33_37 Depth=1
	v_add_f32_e64 v9, |v14|, s15
	v_and_b32_e32 v9, 0xff, v9
	v_cmp_ne_u32_e32 vcc, 0, v9
	s_andn2_b64 s[6:7], s[6:7], exec
	s_and_b64 s[26:27], vcc, exec
	s_mov_b64 s[10:11], 0
	s_or_b64 s[6:7], s[6:7], s[26:27]
	s_or_b64 exec, exec, s[8:9]
	v_pk_mov_b32 v[10:11], s[10:11], s[10:11] op_sel:[0,1]
	s_and_saveexec_b64 s[8:9], s[6:7]
	s_cbranch_execnz .LBB33_41
	s_branch .LBB33_42
.LBB33_85:                              ;   in Loop: Header=BB33_37 Depth=1
	v_bfe_u32 v8, v2, 20, 1
	v_add3_u32 v8, v2, v8, s14
	s_mov_b64 s[6:7], exec
	v_lshrrev_b32_e32 v11, 20, v8
	s_or_saveexec_b64 s[8:9], s[8:9]
                                        ; implicit-def: $sgpr10_sgpr11
	s_xor_b64 exec, exec, s[8:9]
	s_cbranch_execz .LBB33_46
.LBB33_86:                              ;   in Loop: Header=BB33_37 Depth=1
	v_add_f32_e64 v8, |v2|, s15
	v_and_b32_e32 v11, 0xff, v8
	v_cmp_ne_u32_e32 vcc, 0, v11
	s_andn2_b64 s[6:7], s[6:7], exec
	s_and_b64 s[26:27], vcc, exec
	s_mov_b64 s[10:11], 0
	s_or_b64 s[6:7], s[6:7], s[26:27]
	s_or_b64 exec, exec, s[8:9]
	v_pk_mov_b32 v[8:9], s[10:11], s[10:11] op_sel:[0,1]
	s_and_saveexec_b64 s[8:9], s[6:7]
	s_cbranch_execnz .LBB33_47
	s_branch .LBB33_48
.LBB33_87:                              ;   in Loop: Header=BB33_37 Depth=1
	v_bfe_u32 v9, v2, 20, 1
	v_add3_u32 v9, v2, v9, s14
	s_mov_b64 s[6:7], exec
	v_lshrrev_b32_e32 v9, 20, v9
	s_or_saveexec_b64 s[8:9], s[8:9]
                                        ; implicit-def: $sgpr10_sgpr11
	s_xor_b64 exec, exec, s[8:9]
	s_cbranch_execz .LBB33_52
.LBB33_88:                              ;   in Loop: Header=BB33_37 Depth=1
	v_add_f32_e64 v9, |v2|, s15
	v_and_b32_e32 v9, 0xff, v9
	v_cmp_ne_u32_e32 vcc, 0, v9
	s_andn2_b64 s[6:7], s[6:7], exec
	s_and_b64 s[26:27], vcc, exec
	s_mov_b64 s[10:11], 0
	s_or_b64 s[6:7], s[6:7], s[26:27]
	s_or_b64 exec, exec, s[8:9]
	v_pk_mov_b32 v[16:17], s[10:11], s[10:11] op_sel:[0,1]
	s_and_saveexec_b64 s[8:9], s[6:7]
	s_cbranch_execnz .LBB33_53
	s_branch .LBB33_54
.LBB33_89:                              ;   in Loop: Header=BB33_37 Depth=1
	v_bfe_u32 v3, v2, 20, 1
	v_add3_u32 v3, v2, v3, s14
	s_mov_b64 s[6:7], exec
	v_lshrrev_b32_e32 v3, 20, v3
	s_or_saveexec_b64 s[8:9], s[8:9]
                                        ; implicit-def: $sgpr10_sgpr11
	s_xor_b64 exec, exec, s[8:9]
	s_cbranch_execz .LBB33_58
.LBB33_90:                              ;   in Loop: Header=BB33_37 Depth=1
	v_add_f32_e64 v3, |v2|, s15
	v_and_b32_e32 v3, 0xff, v3
	v_cmp_ne_u32_e32 vcc, 0, v3
	s_andn2_b64 s[6:7], s[6:7], exec
	s_and_b64 s[26:27], vcc, exec
	s_mov_b64 s[10:11], 0
	s_or_b64 s[6:7], s[6:7], s[26:27]
	s_or_b64 exec, exec, s[8:9]
	v_pk_mov_b32 v[14:15], s[10:11], s[10:11] op_sel:[0,1]
	s_and_saveexec_b64 s[8:9], s[6:7]
	s_cbranch_execnz .LBB33_59
	s_branch .LBB33_60
.LBB33_91:                              ;   in Loop: Header=BB33_37 Depth=1
	v_bfe_u32 v2, v9, 20, 1
	v_add3_u32 v2, v9, v2, s14
	s_mov_b64 s[6:7], exec
	v_lshrrev_b32_e32 v11, 20, v2
	s_or_saveexec_b64 s[8:9], s[8:9]
                                        ; implicit-def: $sgpr10_sgpr11
	s_xor_b64 exec, exec, s[8:9]
	s_cbranch_execz .LBB33_64
.LBB33_92:                              ;   in Loop: Header=BB33_37 Depth=1
	v_add_f32_e64 v2, |v9|, s15
	v_and_b32_e32 v11, 0xff, v2
	v_cmp_ne_u32_e32 vcc, 0, v11
	s_andn2_b64 s[6:7], s[6:7], exec
	s_and_b64 s[26:27], vcc, exec
	s_mov_b64 s[10:11], 0
	s_or_b64 s[6:7], s[6:7], s[26:27]
	s_or_b64 exec, exec, s[8:9]
	v_pk_mov_b32 v[2:3], s[10:11], s[10:11] op_sel:[0,1]
	s_and_saveexec_b64 s[8:9], s[6:7]
	s_cbranch_execnz .LBB33_65
	s_branch .LBB33_66
.LBB33_93:                              ;   in Loop: Header=BB33_37 Depth=1
	v_bfe_u32 v4, v3, 20, 1
	v_add3_u32 v4, v3, v4, s14
	s_mov_b64 s[6:7], exec
	v_lshrrev_b32_e32 v4, 20, v4
	s_or_saveexec_b64 s[8:9], s[8:9]
                                        ; implicit-def: $sgpr10_sgpr11
	s_xor_b64 exec, exec, s[8:9]
	s_cbranch_execz .LBB33_70
.LBB33_94:                              ;   in Loop: Header=BB33_37 Depth=1
	v_add_f32_e64 v4, |v3|, s15
	v_and_b32_e32 v4, 0xff, v4
	v_cmp_ne_u32_e32 vcc, 0, v4
	s_andn2_b64 s[6:7], s[6:7], exec
	s_and_b64 s[26:27], vcc, exec
	s_mov_b64 s[10:11], 0
	s_or_b64 s[6:7], s[6:7], s[26:27]
	s_or_b64 exec, exec, s[8:9]
	v_pk_mov_b32 v[18:19], s[10:11], s[10:11] op_sel:[0,1]
	s_and_saveexec_b64 s[8:9], s[6:7]
	s_cbranch_execnz .LBB33_71
	s_branch .LBB33_72
.LBB33_95:                              ;   in Loop: Header=BB33_37 Depth=1
	v_bfe_u32 v4, v3, 20, 1
	v_add3_u32 v4, v3, v4, s14
	s_mov_b64 s[6:7], exec
	v_lshrrev_b32_e32 v4, 20, v4
	s_or_saveexec_b64 s[8:9], s[8:9]
                                        ; implicit-def: $sgpr10_sgpr11
	s_xor_b64 exec, exec, s[8:9]
	s_cbranch_execz .LBB33_76
.LBB33_96:                              ;   in Loop: Header=BB33_37 Depth=1
	v_add_f32_e64 v4, |v3|, s15
	v_and_b32_e32 v4, 0xff, v4
	v_cmp_ne_u32_e32 vcc, 0, v4
	s_andn2_b64 s[6:7], s[6:7], exec
	s_and_b64 s[26:27], vcc, exec
	s_mov_b64 s[10:11], 0
	s_or_b64 s[6:7], s[6:7], s[26:27]
	s_or_b64 exec, exec, s[8:9]
	v_pk_mov_b32 v[20:21], s[10:11], s[10:11] op_sel:[0,1]
	s_and_saveexec_b64 s[8:9], s[6:7]
	s_cbranch_execnz .LBB33_77
	s_branch .LBB33_78
.LBB33_97:                              ;   in Loop: Header=BB33_37 Depth=1
	v_bfe_u32 v4, v3, 20, 1
	v_add3_u32 v4, v3, v4, s14
	s_mov_b64 s[6:7], exec
	v_lshrrev_b32_e32 v4, 20, v4
	s_or_saveexec_b64 s[8:9], s[8:9]
                                        ; implicit-def: $sgpr10_sgpr11
	s_xor_b64 exec, exec, s[8:9]
	s_cbranch_execz .LBB33_82
.LBB33_98:                              ;   in Loop: Header=BB33_37 Depth=1
	v_add_f32_e64 v4, |v3|, s15
	v_and_b32_e32 v4, 0xff, v4
	v_cmp_ne_u32_e32 vcc, 0, v4
	s_andn2_b64 s[6:7], s[6:7], exec
	s_and_b64 s[26:27], vcc, exec
	s_mov_b64 s[10:11], 0
	s_or_b64 s[6:7], s[6:7], s[26:27]
	s_or_b64 exec, exec, s[8:9]
	v_pk_mov_b32 v[22:23], s[10:11], s[10:11] op_sel:[0,1]
	s_and_saveexec_b64 s[8:9], s[6:7]
	s_cbranch_execz .LBB33_35
.LBB33_99:                              ;   in Loop: Header=BB33_37 Depth=1
	v_lshrrev_b32_e32 v3, 24, v3
	v_and_or_b32 v22, v3, s16, v4
	s_branch .LBB33_35
.LBB33_100:
	s_or_b64 exec, exec, s[2:3]
	v_lshlrev_b32_e32 v4, 3, v31
	v_add_u32_e32 v2, v4, v24
	v_cmp_lt_i32_e32 vcc, v2, v26
	s_and_saveexec_b64 s[24:25], vcc
	s_cbranch_execz .LBB33_118
; %bb.101:
	v_add_u32_e32 v3, 16, v2
	v_max_i32_e32 v5, v3, v26
	v_xad_u32 v5, v24, -1, v5
	v_sub_u32_e32 v4, v5, v4
	v_cmp_lt_u32_e32 vcc, 47, v4
	s_mov_b64 s[0:1], 0
                                        ; implicit-def: $vgpr20
	s_and_saveexec_b64 s[2:3], vcc
	s_xor_b64 s[26:27], exec, s[2:3]
	s_cbranch_execnz .LBB33_104
; %bb.102:
	s_andn2_saveexec_b64 s[2:3], s[26:27]
	s_cbranch_execnz .LBB33_107
.LBB33_103:
	s_or_b64 exec, exec, s[2:3]
	s_and_b64 exec, exec, s[0:1]
	s_cbranch_execnz .LBB33_108
	s_branch .LBB33_118
.LBB33_104:
	v_lshrrev_b32_e32 v4, 4, v4
	v_lshlrev_b32_e32 v20, 1, v25
	v_lshlrev_b32_e32 v8, 4, v31
	;; [unrolled: 1-line block ×3, first 2 shown]
	v_add_u32_e32 v21, 1, v4
	v_add_u32_e32 v5, 48, v2
	;; [unrolled: 1-line block ×3, first 2 shown]
	v_add3_u32 v8, v20, v8, v29
	v_lshlrev_b32_e32 v9, 1, v24
	v_add_co_u32_e32 v23, vcc, v1, v27
	v_and_b32_e32 v22, 0x1ffffffc, v21
	s_mov_b32 s0, s18
	s_mov_b32 s1, s18
	s_mov_b32 s2, s18
	s_mov_b32 s3, s18
	s_mov_b32 s4, s19
	s_mov_b32 s5, s19
	s_mov_b32 s6, s19
	s_mov_b32 s7, s19
	v_add3_u32 v24, v8, v9, 0
	v_pk_mov_b32 v[10:11], v[4:5], v[4:5] op_sel:[0,1]
	v_addc_co_u32_e32 v30, vcc, v30, v28, vcc
	v_mov_b32_e32 v1, v0
	v_mov_b32_e32 v6, v0
	v_mov_b32_e32 v7, v0
	s_mov_b64 s[28:29], 0
	v_max_f32_e64 v25, s3, s3
	v_max_f32_e64 v31, s2, s2
	;; [unrolled: 1-line block ×8, first 2 shown]
	s_mov_b32 s33, 0x43800000
	s_brev_b32 s34, 60
	s_mov_b32 s35, 0x487ffff
	s_mov_b32 s30, 0x46000000
	s_movk_i32 s36, 0x80
	v_mov_b32_e32 v38, 0xffffff80
	v_mov_b32_e32 v39, 0
	;; [unrolled: 1-line block ×3, first 2 shown]
	v_pk_mov_b32 v[8:9], v[2:3], v[2:3] op_sel:[0,1]
.LBB33_105:                             ; =>This Inner Loop Header: Depth=1
	ds_read_u16 v41, v24
	ds_read_u16 v42, v24 offset:32
	ds_read_u16 v43, v24 offset:64
	;; [unrolled: 1-line block ×3, first 2 shown]
	v_ashrrev_i32_e32 v3, 31, v11
	v_ashrrev_i32_e32 v15, 31, v10
	;; [unrolled: 1-line block ×4, first 2 shown]
	v_add_co_u32_e32 v4, vcc, v23, v9
	v_add_co_u32_e64 v14, s[0:1], v23, v10
	v_add_co_u32_e64 v16, s[2:3], v23, v11
	;; [unrolled: 1-line block ×3, first 2 shown]
	s_waitcnt lgkmcnt(3)
	v_lshlrev_b32_e32 v41, 16, v41
	v_addc_co_u32_e64 v19, s[4:5], v30, v17, s[4:5]
	v_addc_co_u32_e32 v5, vcc, v30, v5, vcc
	v_addc_co_u32_e64 v15, vcc, v30, v15, s[0:1]
	v_addc_co_u32_e64 v17, vcc, v30, v3, s[2:3]
	s_waitcnt lgkmcnt(0)
	v_lshlrev_b32_e32 v3, 16, v44
	v_lshlrev_b32_e32 v42, 16, v42
	v_div_scale_f32 v44, s[0:1], v0, v0, v41
	v_lshlrev_b32_e32 v43, 16, v43
	v_div_scale_f32 v46, s[0:1], v1, v1, v42
	v_div_scale_f32 v50, s[4:5], v7, v7, v3
	v_rcp_f32_e32 v51, v44
	v_div_scale_f32 v48, s[2:3], v6, v6, v43
	v_rcp_f32_e32 v52, v46
	v_rcp_f32_e32 v54, v50
	;; [unrolled: 1-line block ×3, first 2 shown]
	v_fma_f32 v55, -v44, v51, 1.0
	v_div_scale_f32 v45, vcc, v41, v0, v41
	v_fma_f32 v56, -v46, v52, 1.0
	v_fmac_f32_e32 v51, v55, v51
	v_fma_f32 v55, -v50, v54, 1.0
	v_div_scale_f32 v47, s[0:1], v42, v1, v42
	v_fma_f32 v57, -v48, v53, 1.0
	v_fmac_f32_e32 v52, v56, v52
	v_fmac_f32_e32 v54, v55, v54
	v_mul_f32_e32 v55, v45, v51
	v_fmac_f32_e32 v53, v57, v53
	v_mul_f32_e32 v56, v47, v52
	v_fma_f32 v57, -v44, v55, v45
	v_div_scale_f32 v49, s[2:3], v43, v6, v43
	v_fmac_f32_e32 v55, v57, v51
	v_fma_f32 v57, -v46, v56, v47
	v_fmac_f32_e32 v56, v57, v52
	v_mul_f32_e32 v57, v49, v53
	v_fma_f32 v58, -v48, v57, v49
	v_fmac_f32_e32 v57, v58, v53
	v_div_scale_f32 v58, s[4:5], v3, v7, v3
	v_mul_f32_e32 v59, v58, v54
	v_fma_f32 v44, -v44, v55, v45
	v_fma_f32 v60, -v50, v59, v58
	;; [unrolled: 1-line block ×3, first 2 shown]
	v_div_fmas_f32 v44, v44, v51, v55
	s_mov_b64 vcc, s[0:1]
	v_fmac_f32_e32 v59, v60, v54
	v_fma_f32 v46, -v48, v57, v49
	v_div_fixup_f32 v41, v44, v0, v41
	v_div_fmas_f32 v44, v45, v52, v56
	s_mov_b64 vcc, s[2:3]
	v_fma_f32 v47, -v50, v59, v58
	v_div_fixup_f32 v42, v44, v1, v42
	v_div_fmas_f32 v44, v46, v53, v57
	v_max_f32_e32 v41, v41, v33
	s_mov_b64 vcc, s[4:5]
	v_div_fixup_f32 v43, v44, v6, v43
	v_div_fmas_f32 v44, v47, v54, v59
	v_max_f32_e32 v42, v42, v32
	v_min_f32_e32 v41, v41, v34
	v_div_fixup_f32 v3, v44, v7, v3
	v_max_f32_e32 v43, v43, v31
	v_min_f32_e32 v45, v42, v35
	v_and_b32_e32 v42, 0x7fffffff, v41
	v_bfe_u32 v44, v41, 20, 1
	v_lshrrev_b32_e32 v46, 24, v41
	v_max_f32_e32 v3, v3, v25
	v_min_f32_e32 v47, v43, v36
	v_and_b32_e32 v43, 0x7fffffff, v45
	v_cmp_gt_u32_e32 vcc, s33, v42
	v_cmp_gt_u32_e64 s[0:1], s34, v42
	v_bfe_u32 v48, v45, 20, 1
	v_add3_u32 v41, v41, v44, s35
	v_min_f32_e32 v3, v3, v37
	v_and_b32_e32 v44, 0x7fffffff, v47
	v_cmp_gt_u32_e64 s[2:3], s33, v43
	v_cmp_gt_u32_e64 s[4:5], s34, v43
	v_bfe_u32 v50, v47, 20, 1
	v_add3_u32 v48, v45, v48, s35
	v_lshrrev_b32_e32 v41, 20, v41
	v_pk_add_f32 v[42:43], v[42:43], s[30:31] op_sel_hi:[1,0]
	s_xor_b64 s[8:9], s[0:1], vcc
	v_lshrrev_b32_e32 v49, 24, v45
	v_lshrrev_b32_e32 v51, 24, v47
	v_and_b32_e32 v45, 0x7fffffff, v3
	v_cmp_gt_u32_e64 s[10:11], s33, v44
	v_cmp_gt_u32_e64 s[12:13], s34, v44
	v_bfe_u32 v52, v3, 20, 1
	v_add3_u32 v47, v47, v50, s35
	v_lshrrev_b32_e32 v48, 20, v48
	v_cndmask_b32_e64 v41, v42, v41, s[8:9]
	s_xor_b64 s[8:9], s[4:5], s[2:3]
	v_cmp_eq_u32_sdwa s[38:39], v43, v39 src0_sel:BYTE_0 src1_sel:DWORD
	v_cmp_eq_u32_sdwa s[40:41], v42, v39 src0_sel:BYTE_0 src1_sel:DWORD
	v_lshrrev_b32_e32 v42, 24, v3
	v_cmp_gt_u32_e64 s[14:15], s33, v45
	v_cmp_gt_u32_e64 s[16:17], s34, v45
	v_add3_u32 v3, v3, v52, s35
	v_lshrrev_b32_e32 v47, 20, v47
	v_pk_add_f32 v[44:45], v[44:45], s[30:31] op_sel_hi:[1,0]
	v_cndmask_b32_e64 v43, v43, v48, s[8:9]
	v_and_or_b32 v41, v46, s36, v41
	s_xor_b64 s[8:9], s[12:13], s[10:11]
	v_lshrrev_b32_e32 v3, 20, v3
	v_cmp_eq_u32_sdwa s[44:45], v44, v39 src0_sel:BYTE_0 src1_sel:DWORD
	v_cndmask_b32_e64 v44, v44, v47, s[8:9]
	v_cndmask_b32_e32 v41, v38, v41, vcc
	s_xor_b64 vcc, s[16:17], s[14:15]
	s_and_b64 s[0:1], s[0:1], s[40:41]
	v_cndmask_b32_e32 v3, v45, v3, vcc
	v_and_or_b32 v44, v51, s36, v44
	v_cmp_eq_u32_sdwa s[42:43], v45, v39 src0_sel:BYTE_0 src1_sel:DWORD
	v_and_or_b32 v43, v49, s36, v43
	v_cndmask_b32_e64 v41, v41, 0, s[0:1]
	v_and_or_b32 v3, v42, s36, v3
	v_cndmask_b32_e64 v42, v38, v44, s[10:11]
	s_and_b64 s[0:1], s[12:13], s[44:45]
	v_cndmask_b32_e64 v43, v38, v43, s[2:3]
	s_and_b64 s[2:3], s[4:5], s[38:39]
	global_store_byte v[18:19], v41, off
	v_cndmask_b32_e64 v3, v38, v3, s[14:15]
	v_cndmask_b32_e64 v18, v42, 0, s[0:1]
	s_and_b64 s[0:1], s[16:17], s[42:43]
	v_cndmask_b32_e64 v43, v43, 0, s[2:3]
	v_cndmask_b32_e64 v3, v3, 0, s[0:1]
	v_add_u32_e32 v40, -4, v40
	v_lshlrev_b16_e32 v19, 8, v43
	v_lshlrev_b16_e32 v3, 8, v3
	v_cmp_eq_u32_e64 s[6:7], 0, v40
	v_lshrrev_b32_e32 v19, 8, v19
	v_or_b32_sdwa v3, v18, v3 dst_sel:DWORD dst_unused:UNUSED_PAD src0_sel:BYTE_0 src1_sel:DWORD
	v_add_u32_e32 v11, 64, v11
	v_add_u32_e32 v10, 64, v10
	;; [unrolled: 1-line block ×5, first 2 shown]
	s_or_b64 s[28:29], s[6:7], s[28:29]
	global_store_byte v[4:5], v19, off
	global_store_byte v[14:15], v3, off
	v_lshrrev_b32_e32 v3, 8, v3
	global_store_byte v[16:17], v3, off
	s_andn2_b64 exec, exec, s[28:29]
	s_cbranch_execnz .LBB33_105
; %bb.106:
	s_or_b64 exec, exec, s[28:29]
	v_cmp_ne_u32_e32 vcc, v21, v22
	v_lshl_add_u32 v2, v22, 4, v2
	s_and_b64 s[0:1], vcc, exec
                                        ; implicit-def: $vgpr25
	s_andn2_saveexec_b64 s[2:3], s[26:27]
	s_cbranch_execz .LBB33_103
.LBB33_107:
	v_lshlrev_b32_e32 v20, 1, v25
	s_or_b64 s[0:1], s[0:1], exec
	s_or_b64 exec, exec, s[2:3]
	s_and_b64 exec, exec, s[0:1]
	s_cbranch_execz .LBB33_118
.LBB33_108:
	v_add_co_u32_e32 v3, vcc, v27, v12
	v_addc_co_u32_e32 v4, vcc, v28, v13, vcc
	v_ashrrev_i32_e32 v5, 31, v2
	v_add_co_u32_e32 v3, vcc, v3, v2
	v_addc_co_u32_e32 v5, vcc, v4, v5, vcc
	v_lshl_add_u32 v1, v2, 1, v20
	v_mov_b32_e32 v6, s21
	v_add_co_u32_e32 v4, vcc, s20, v3
	v_add3_u32 v1, v1, v29, 0
	v_addc_co_u32_e32 v5, vcc, v6, v5, vcc
	s_mov_b64 s[0:1], 0
	v_max_f32_e64 v3, s18, s18
	v_max_f32_e64 v6, s19, s19
	s_mov_b32 s8, 0x43800000
	s_mov_b32 s9, 0x3bffffff
	;; [unrolled: 1-line block ×4, first 2 shown]
	s_movk_i32 s12, 0x80
	s_branch .LBB33_111
.LBB33_109:                             ;   in Loop: Header=BB33_111 Depth=1
	s_or_b64 exec, exec, s[6:7]
.LBB33_110:                             ;   in Loop: Header=BB33_111 Depth=1
	s_or_b64 exec, exec, s[2:3]
	v_add_u32_e32 v2, 16, v2
	v_cmp_ge_i32_e32 vcc, v2, v26
	global_store_byte v[4:5], v9, off
	s_or_b64 s[0:1], vcc, s[0:1]
	v_add_co_u32_e32 v4, vcc, 16, v4
	v_add_u32_e32 v1, 32, v1
	v_addc_co_u32_e32 v5, vcc, 0, v5, vcc
	s_andn2_b64 exec, exec, s[0:1]
	s_cbranch_execz .LBB33_118
.LBB33_111:                             ; =>This Inner Loop Header: Depth=1
	ds_read_u16 v7, v1
	s_waitcnt lgkmcnt(0)
	v_lshlrev_b32_e32 v7, 16, v7
	v_div_scale_f32 v8, s[2:3], v0, v0, v7
	v_rcp_f32_e32 v9, v8
	v_div_scale_f32 v10, vcc, v7, v0, v7
	v_fma_f32 v11, -v8, v9, 1.0
	v_fmac_f32_e32 v9, v11, v9
	v_mul_f32_e32 v11, v10, v9
	v_fma_f32 v12, -v8, v11, v10
	v_fmac_f32_e32 v11, v12, v9
	v_fma_f32 v8, -v8, v11, v10
	v_div_fmas_f32 v8, v8, v9, v11
	v_div_fixup_f32 v7, v8, v0, v7
	v_max_f32_e32 v7, v7, v3
	v_min_f32_e32 v7, v7, v6
	v_and_b32_e32 v8, 0x7fffffff, v7
	v_cmp_gt_u32_e32 vcc, s8, v8
	v_mov_b32_e32 v9, 0x80
	s_and_saveexec_b64 s[2:3], vcc
	s_cbranch_execz .LBB33_110
; %bb.112:                              ;   in Loop: Header=BB33_111 Depth=1
	v_cmp_lt_u32_e32 vcc, s9, v8
	s_mov_b64 s[4:5], 0
                                        ; implicit-def: $vgpr8
	s_and_saveexec_b64 s[6:7], vcc
	s_xor_b64 s[6:7], exec, s[6:7]
	s_cbranch_execnz .LBB33_115
; %bb.113:                              ;   in Loop: Header=BB33_111 Depth=1
	s_or_saveexec_b64 s[6:7], s[6:7]
                                        ; implicit-def: $sgpr13
	s_xor_b64 exec, exec, s[6:7]
	s_cbranch_execnz .LBB33_116
.LBB33_114:                             ;   in Loop: Header=BB33_111 Depth=1
	s_or_b64 exec, exec, s[6:7]
	v_mov_b32_e32 v9, s13
	s_and_saveexec_b64 s[6:7], s[4:5]
	s_cbranch_execz .LBB33_109
	s_branch .LBB33_117
.LBB33_115:                             ;   in Loop: Header=BB33_111 Depth=1
	v_bfe_u32 v8, v7, 20, 1
	v_add3_u32 v8, v7, v8, s10
	s_mov_b64 s[4:5], exec
	v_lshrrev_b32_e32 v8, 20, v8
	s_or_saveexec_b64 s[6:7], s[6:7]
                                        ; implicit-def: $sgpr13
	s_xor_b64 exec, exec, s[6:7]
	s_cbranch_execz .LBB33_114
.LBB33_116:                             ;   in Loop: Header=BB33_111 Depth=1
	v_add_f32_e64 v8, |v7|, s11
	v_and_b32_e32 v8, 0xff, v8
	v_cmp_ne_u32_e32 vcc, 0, v8
	s_andn2_b64 s[4:5], s[4:5], exec
	s_and_b64 s[14:15], vcc, exec
	s_mov_b32 s13, 0
	s_or_b64 s[4:5], s[4:5], s[14:15]
	s_or_b64 exec, exec, s[6:7]
	v_mov_b32_e32 v9, s13
	s_and_saveexec_b64 s[6:7], s[4:5]
	s_cbranch_execz .LBB33_109
.LBB33_117:                             ;   in Loop: Header=BB33_111 Depth=1
	v_lshrrev_b32_e32 v7, 24, v7
	v_and_or_b32 v9, v7, s12, v8
	s_branch .LBB33_109
.LBB33_118:
	s_or_b64 exec, exec, s[24:25]
                                        ; implicit-def: $vgpr24
                                        ; implicit-def: $vgpr0
                                        ; implicit-def: $vgpr25
                                        ; implicit-def: $vgpr12_vgpr13
.LBB33_119:
	s_andn2_saveexec_b64 s[0:1], s[22:23]
	s_cbranch_execz .LBB33_187
; %bb.120:
	s_ashr_i32 s10, s31, 3
	v_cmp_gt_i32_e32 vcc, s10, v24
	s_and_saveexec_b64 s[0:1], vcc
	s_cbranch_execz .LBB33_187
; %bb.121:
	v_lshlrev_b32_e32 v1, 1, v25
	v_lshlrev_b32_e32 v2, 4, v24
	v_add3_u32 v1, v1, v2, 0
	v_lshlrev_b32_e32 v2, 3, v24
	v_add_co_u32_e32 v2, vcc, v12, v2
	v_addc_co_u32_e32 v3, vcc, 0, v13, vcc
	v_mov_b32_e32 v4, s21
	v_add_co_u32_e32 v6, vcc, s20, v2
	v_addc_co_u32_e32 v7, vcc, v4, v3, vcc
	s_mov_b64 s[2:3], 0
	v_max_f32_e64 v22, s18, s18
	v_max_f32_e64 v23, s19, s19
	s_mov_b32 s11, 0x43800000
	s_mov_b32 s12, 0x3bffffff
	;; [unrolled: 1-line block ×4, first 2 shown]
	s_movk_i32 s15, 0x80
	s_mov_b32 s16, 0xff00
	s_mov_b32 s17, 0x4020c0c
	s_branch .LBB33_124
.LBB33_122:                             ;   in Loop: Header=BB33_124 Depth=1
	s_or_b64 exec, exec, s[6:7]
.LBB33_123:                             ;   in Loop: Header=BB33_124 Depth=1
	s_or_b64 exec, exec, s[0:1]
	v_lshlrev_b32_e32 v4, 16, v18
	v_lshlrev_b32_e32 v3, 24, v20
	v_and_b32_e32 v4, 0xff0000, v4
	v_or_b32_e32 v3, v3, v4
	v_lshlrev_b32_e32 v4, 8, v16
	v_and_b32_e32 v4, 0xff00, v4
	v_and_b32_e32 v2, 0xff, v2
	v_or3_b32 v3, v3, v4, v2
	v_lshlrev_b32_e32 v2, 16, v14
	v_lshlrev_b32_e32 v4, 8, v8
	v_perm_b32 v2, v12, v2, s17
	v_and_or_b32 v2, v4, s16, v2
	v_or_b32_sdwa v2, v2, v10 dst_sel:DWORD dst_unused:UNUSED_PAD src0_sel:DWORD src1_sel:BYTE_0
	v_add_u32_e32 v24, 16, v24
	global_store_dwordx2 v[6:7], v[2:3], off
	v_add_co_u32_e32 v6, vcc, 0x80, v6
	v_cmp_le_i32_e64 s[0:1], s10, v24
	v_add_u32_e32 v1, 0x100, v1
	s_or_b64 s[2:3], s[0:1], s[2:3]
	v_addc_co_u32_e32 v7, vcc, 0, v7, vcc
	s_andn2_b64 exec, exec, s[2:3]
	s_cbranch_execz .LBB33_187
.LBB33_124:                             ; =>This Inner Loop Header: Depth=1
	ds_read_b128 v[2:5], v1
	v_mov_b32_e32 v8, 0x80
	v_mov_b32_e32 v9, 0
	s_waitcnt lgkmcnt(0)
	v_lshlrev_b32_e32 v10, 16, v2
	v_div_scale_f32 v11, s[0:1], v0, v0, v10
	v_rcp_f32_e32 v12, v11
	v_div_scale_f32 v13, vcc, v10, v0, v10
	v_fma_f32 v14, -v11, v12, 1.0
	v_fmac_f32_e32 v12, v14, v12
	v_mul_f32_e32 v14, v13, v12
	v_fma_f32 v15, -v11, v14, v13
	v_fmac_f32_e32 v14, v15, v12
	v_fma_f32 v11, -v11, v14, v13
	v_div_fmas_f32 v11, v11, v12, v14
	v_div_fixup_f32 v10, v11, v0, v10
	v_max_f32_e32 v10, v10, v22
	v_min_f32_e32 v12, v10, v23
	v_and_b32_e32 v13, 0x7fffffff, v12
	v_cmp_gt_u32_e32 vcc, s11, v13
	v_pk_mov_b32 v[10:11], v[8:9], v[8:9] op_sel:[0,1]
	s_and_saveexec_b64 s[0:1], vcc
	s_cbranch_execz .LBB33_130
; %bb.125:                              ;   in Loop: Header=BB33_124 Depth=1
	v_cmp_lt_u32_e32 vcc, s12, v13
	s_mov_b64 s[4:5], 0
                                        ; implicit-def: $vgpr9
	s_and_saveexec_b64 s[6:7], vcc
	s_xor_b64 s[6:7], exec, s[6:7]
	s_cbranch_execnz .LBB33_170
; %bb.126:                              ;   in Loop: Header=BB33_124 Depth=1
	s_or_saveexec_b64 s[6:7], s[6:7]
                                        ; implicit-def: $sgpr8_sgpr9
	s_xor_b64 exec, exec, s[6:7]
	s_cbranch_execnz .LBB33_171
.LBB33_127:                             ;   in Loop: Header=BB33_124 Depth=1
	s_or_b64 exec, exec, s[6:7]
	v_pk_mov_b32 v[10:11], s[8:9], s[8:9] op_sel:[0,1]
	s_and_saveexec_b64 s[6:7], s[4:5]
.LBB33_128:                             ;   in Loop: Header=BB33_124 Depth=1
	v_lshrrev_b32_e32 v10, 24, v12
	v_and_or_b32 v10, v10, s15, v9
.LBB33_129:                             ;   in Loop: Header=BB33_124 Depth=1
	s_or_b64 exec, exec, s[6:7]
.LBB33_130:                             ;   in Loop: Header=BB33_124 Depth=1
	s_or_b64 exec, exec, s[0:1]
	v_and_b32_e32 v2, 0xffff0000, v2
	v_div_scale_f32 v9, s[0:1], v0, v0, v2
	v_rcp_f32_e32 v11, v9
	v_div_scale_f32 v12, vcc, v2, v0, v2
	v_fma_f32 v13, -v9, v11, 1.0
	v_fmac_f32_e32 v11, v13, v11
	v_mul_f32_e32 v13, v12, v11
	v_fma_f32 v14, -v9, v13, v12
	v_fmac_f32_e32 v13, v14, v11
	v_fma_f32 v9, -v9, v13, v12
	v_div_fmas_f32 v9, v9, v11, v13
	v_div_fixup_f32 v2, v9, v0, v2
	v_max_f32_e32 v2, v2, v22
	v_min_f32_e32 v2, v2, v23
	v_and_b32_e32 v9, 0x7fffffff, v2
	v_cmp_gt_u32_e32 vcc, s11, v9
	s_and_saveexec_b64 s[0:1], vcc
	s_cbranch_execz .LBB33_136
; %bb.131:                              ;   in Loop: Header=BB33_124 Depth=1
	v_cmp_lt_u32_e32 vcc, s12, v9
	s_mov_b64 s[4:5], 0
                                        ; implicit-def: $vgpr11
	s_and_saveexec_b64 s[6:7], vcc
	s_xor_b64 s[6:7], exec, s[6:7]
	s_cbranch_execnz .LBB33_172
; %bb.132:                              ;   in Loop: Header=BB33_124 Depth=1
	s_or_saveexec_b64 s[6:7], s[6:7]
                                        ; implicit-def: $sgpr8_sgpr9
	s_xor_b64 exec, exec, s[6:7]
	s_cbranch_execnz .LBB33_173
.LBB33_133:                             ;   in Loop: Header=BB33_124 Depth=1
	s_or_b64 exec, exec, s[6:7]
	v_pk_mov_b32 v[8:9], s[8:9], s[8:9] op_sel:[0,1]
	s_and_saveexec_b64 s[6:7], s[4:5]
.LBB33_134:                             ;   in Loop: Header=BB33_124 Depth=1
	v_lshrrev_b32_e32 v2, 24, v2
	v_and_or_b32 v8, v2, s15, v11
.LBB33_135:                             ;   in Loop: Header=BB33_124 Depth=1
	s_or_b64 exec, exec, s[6:7]
.LBB33_136:                             ;   in Loop: Header=BB33_124 Depth=1
	s_or_b64 exec, exec, s[0:1]
	v_lshlrev_b32_e32 v2, 16, v3
	v_div_scale_f32 v9, s[0:1], v0, v0, v2
	v_rcp_f32_e32 v11, v9
	v_div_scale_f32 v12, vcc, v2, v0, v2
	v_fma_f32 v13, -v9, v11, 1.0
	v_fmac_f32_e32 v11, v13, v11
	v_mul_f32_e32 v13, v12, v11
	v_fma_f32 v14, -v9, v13, v12
	v_fmac_f32_e32 v13, v14, v11
	v_fma_f32 v9, -v9, v13, v12
	v_div_fmas_f32 v9, v9, v11, v13
	v_div_fixup_f32 v2, v9, v0, v2
	v_max_f32_e32 v2, v2, v22
	v_min_f32_e32 v2, v2, v23
	v_mov_b32_e32 v12, 0x80
	v_and_b32_e32 v9, 0x7fffffff, v2
	v_mov_b32_e32 v13, 0
	v_cmp_gt_u32_e32 vcc, s11, v9
	v_pk_mov_b32 v[14:15], v[12:13], v[12:13] op_sel:[0,1]
	s_and_saveexec_b64 s[0:1], vcc
	s_cbranch_execz .LBB33_142
; %bb.137:                              ;   in Loop: Header=BB33_124 Depth=1
	v_cmp_lt_u32_e32 vcc, s12, v9
	s_mov_b64 s[4:5], 0
                                        ; implicit-def: $vgpr9
	s_and_saveexec_b64 s[6:7], vcc
	s_xor_b64 s[6:7], exec, s[6:7]
	s_cbranch_execnz .LBB33_174
; %bb.138:                              ;   in Loop: Header=BB33_124 Depth=1
	s_or_saveexec_b64 s[6:7], s[6:7]
                                        ; implicit-def: $sgpr8_sgpr9
	s_xor_b64 exec, exec, s[6:7]
	s_cbranch_execnz .LBB33_175
.LBB33_139:                             ;   in Loop: Header=BB33_124 Depth=1
	s_or_b64 exec, exec, s[6:7]
	v_pk_mov_b32 v[14:15], s[8:9], s[8:9] op_sel:[0,1]
	s_and_saveexec_b64 s[6:7], s[4:5]
.LBB33_140:                             ;   in Loop: Header=BB33_124 Depth=1
	v_lshrrev_b32_e32 v2, 24, v2
	v_and_or_b32 v14, v2, s15, v9
.LBB33_141:                             ;   in Loop: Header=BB33_124 Depth=1
	s_or_b64 exec, exec, s[6:7]
.LBB33_142:                             ;   in Loop: Header=BB33_124 Depth=1
	s_or_b64 exec, exec, s[0:1]
	v_and_b32_e32 v2, 0xffff0000, v3
	v_div_scale_f32 v3, s[0:1], v0, v0, v2
	v_rcp_f32_e32 v9, v3
	v_div_scale_f32 v11, vcc, v2, v0, v2
	v_fma_f32 v13, -v3, v9, 1.0
	v_fmac_f32_e32 v9, v13, v9
	v_mul_f32_e32 v13, v11, v9
	v_fma_f32 v15, -v3, v13, v11
	v_fmac_f32_e32 v13, v15, v9
	v_fma_f32 v3, -v3, v13, v11
	v_div_fmas_f32 v3, v3, v9, v13
	v_div_fixup_f32 v2, v3, v0, v2
	v_max_f32_e32 v2, v2, v22
	v_min_f32_e32 v2, v2, v23
	v_and_b32_e32 v3, 0x7fffffff, v2
	v_cmp_gt_u32_e32 vcc, s11, v3
	s_and_saveexec_b64 s[0:1], vcc
	s_cbranch_execz .LBB33_148
; %bb.143:                              ;   in Loop: Header=BB33_124 Depth=1
	v_cmp_lt_u32_e32 vcc, s12, v3
	s_mov_b64 s[4:5], 0
                                        ; implicit-def: $vgpr3
	s_and_saveexec_b64 s[6:7], vcc
	s_xor_b64 s[6:7], exec, s[6:7]
	s_cbranch_execnz .LBB33_176
; %bb.144:                              ;   in Loop: Header=BB33_124 Depth=1
	s_or_saveexec_b64 s[6:7], s[6:7]
                                        ; implicit-def: $sgpr8_sgpr9
	s_xor_b64 exec, exec, s[6:7]
	s_cbranch_execnz .LBB33_177
.LBB33_145:                             ;   in Loop: Header=BB33_124 Depth=1
	s_or_b64 exec, exec, s[6:7]
	v_pk_mov_b32 v[12:13], s[8:9], s[8:9] op_sel:[0,1]
	s_and_saveexec_b64 s[6:7], s[4:5]
.LBB33_146:                             ;   in Loop: Header=BB33_124 Depth=1
	v_lshrrev_b32_e32 v2, 24, v2
	v_and_or_b32 v12, v2, s15, v3
.LBB33_147:                             ;   in Loop: Header=BB33_124 Depth=1
	s_or_b64 exec, exec, s[6:7]
.LBB33_148:                             ;   in Loop: Header=BB33_124 Depth=1
	s_or_b64 exec, exec, s[0:1]
	v_lshlrev_b32_e32 v2, 16, v4
	v_div_scale_f32 v3, s[0:1], v0, v0, v2
	v_rcp_f32_e32 v9, v3
	v_div_scale_f32 v11, vcc, v2, v0, v2
	v_mov_b32_e32 v16, 0x80
	v_fma_f32 v13, -v3, v9, 1.0
	v_fmac_f32_e32 v9, v13, v9
	v_mul_f32_e32 v13, v11, v9
	v_fma_f32 v15, -v3, v13, v11
	v_fmac_f32_e32 v13, v15, v9
	v_fma_f32 v3, -v3, v13, v11
	v_div_fmas_f32 v3, v3, v9, v13
	v_div_fixup_f32 v2, v3, v0, v2
	v_max_f32_e32 v2, v2, v22
	v_min_f32_e32 v9, v2, v23
	v_and_b32_e32 v11, 0x7fffffff, v9
	v_mov_b32_e32 v17, 0
	v_cmp_gt_u32_e32 vcc, s11, v11
	v_pk_mov_b32 v[2:3], v[16:17], v[16:17] op_sel:[0,1]
	s_and_saveexec_b64 s[0:1], vcc
	s_cbranch_execz .LBB33_154
; %bb.149:                              ;   in Loop: Header=BB33_124 Depth=1
	v_cmp_lt_u32_e32 vcc, s12, v11
	s_mov_b64 s[4:5], 0
                                        ; implicit-def: $vgpr11
	s_and_saveexec_b64 s[6:7], vcc
	s_xor_b64 s[6:7], exec, s[6:7]
	s_cbranch_execnz .LBB33_178
; %bb.150:                              ;   in Loop: Header=BB33_124 Depth=1
	s_or_saveexec_b64 s[6:7], s[6:7]
                                        ; implicit-def: $sgpr8_sgpr9
	s_xor_b64 exec, exec, s[6:7]
	s_cbranch_execnz .LBB33_179
.LBB33_151:                             ;   in Loop: Header=BB33_124 Depth=1
	s_or_b64 exec, exec, s[6:7]
	v_pk_mov_b32 v[2:3], s[8:9], s[8:9] op_sel:[0,1]
	s_and_saveexec_b64 s[6:7], s[4:5]
.LBB33_152:                             ;   in Loop: Header=BB33_124 Depth=1
	v_lshrrev_b32_e32 v2, 24, v9
	v_and_or_b32 v2, v2, s15, v11
.LBB33_153:                             ;   in Loop: Header=BB33_124 Depth=1
	s_or_b64 exec, exec, s[6:7]
.LBB33_154:                             ;   in Loop: Header=BB33_124 Depth=1
	s_or_b64 exec, exec, s[0:1]
	v_and_b32_e32 v3, 0xffff0000, v4
	v_div_scale_f32 v4, s[0:1], v0, v0, v3
	v_rcp_f32_e32 v9, v4
	v_div_scale_f32 v11, vcc, v3, v0, v3
	v_fma_f32 v13, -v4, v9, 1.0
	v_fmac_f32_e32 v9, v13, v9
	v_mul_f32_e32 v13, v11, v9
	v_fma_f32 v15, -v4, v13, v11
	v_fmac_f32_e32 v13, v15, v9
	v_fma_f32 v4, -v4, v13, v11
	v_div_fmas_f32 v4, v4, v9, v13
	v_div_fixup_f32 v3, v4, v0, v3
	v_max_f32_e32 v3, v3, v22
	v_min_f32_e32 v3, v3, v23
	v_and_b32_e32 v4, 0x7fffffff, v3
	v_cmp_gt_u32_e32 vcc, s11, v4
	s_and_saveexec_b64 s[0:1], vcc
	s_cbranch_execz .LBB33_160
; %bb.155:                              ;   in Loop: Header=BB33_124 Depth=1
	v_cmp_lt_u32_e32 vcc, s12, v4
	s_mov_b64 s[4:5], 0
                                        ; implicit-def: $vgpr4
	s_and_saveexec_b64 s[6:7], vcc
	s_xor_b64 s[6:7], exec, s[6:7]
	s_cbranch_execnz .LBB33_180
; %bb.156:                              ;   in Loop: Header=BB33_124 Depth=1
	s_or_saveexec_b64 s[6:7], s[6:7]
                                        ; implicit-def: $sgpr8_sgpr9
	s_xor_b64 exec, exec, s[6:7]
	s_cbranch_execnz .LBB33_181
.LBB33_157:                             ;   in Loop: Header=BB33_124 Depth=1
	s_or_b64 exec, exec, s[6:7]
	v_pk_mov_b32 v[16:17], s[8:9], s[8:9] op_sel:[0,1]
	s_and_saveexec_b64 s[6:7], s[4:5]
.LBB33_158:                             ;   in Loop: Header=BB33_124 Depth=1
	v_lshrrev_b32_e32 v3, 24, v3
	v_and_or_b32 v16, v3, s15, v4
.LBB33_159:                             ;   in Loop: Header=BB33_124 Depth=1
	s_or_b64 exec, exec, s[6:7]
.LBB33_160:                             ;   in Loop: Header=BB33_124 Depth=1
	s_or_b64 exec, exec, s[0:1]
	v_lshlrev_b32_e32 v3, 16, v5
	v_div_scale_f32 v4, s[0:1], v0, v0, v3
	v_rcp_f32_e32 v9, v4
	v_div_scale_f32 v11, vcc, v3, v0, v3
	v_mov_b32_e32 v20, 0x80
	v_fma_f32 v13, -v4, v9, 1.0
	v_fmac_f32_e32 v9, v13, v9
	v_mul_f32_e32 v13, v11, v9
	v_fma_f32 v15, -v4, v13, v11
	v_fmac_f32_e32 v13, v15, v9
	v_fma_f32 v4, -v4, v13, v11
	v_div_fmas_f32 v4, v4, v9, v13
	v_div_fixup_f32 v3, v4, v0, v3
	v_max_f32_e32 v3, v3, v22
	v_min_f32_e32 v3, v3, v23
	v_and_b32_e32 v4, 0x7fffffff, v3
	v_mov_b32_e32 v21, 0
	v_cmp_gt_u32_e32 vcc, s11, v4
	v_pk_mov_b32 v[18:19], v[20:21], v[20:21] op_sel:[0,1]
	s_and_saveexec_b64 s[0:1], vcc
	s_cbranch_execz .LBB33_166
; %bb.161:                              ;   in Loop: Header=BB33_124 Depth=1
	v_cmp_lt_u32_e32 vcc, s12, v4
	s_mov_b64 s[4:5], 0
                                        ; implicit-def: $vgpr4
	s_and_saveexec_b64 s[6:7], vcc
	s_xor_b64 s[6:7], exec, s[6:7]
	s_cbranch_execnz .LBB33_182
; %bb.162:                              ;   in Loop: Header=BB33_124 Depth=1
	s_or_saveexec_b64 s[6:7], s[6:7]
                                        ; implicit-def: $sgpr8_sgpr9
	s_xor_b64 exec, exec, s[6:7]
	s_cbranch_execnz .LBB33_183
.LBB33_163:                             ;   in Loop: Header=BB33_124 Depth=1
	s_or_b64 exec, exec, s[6:7]
	v_pk_mov_b32 v[18:19], s[8:9], s[8:9] op_sel:[0,1]
	s_and_saveexec_b64 s[6:7], s[4:5]
.LBB33_164:                             ;   in Loop: Header=BB33_124 Depth=1
	v_lshrrev_b32_e32 v3, 24, v3
	v_and_or_b32 v18, v3, s15, v4
.LBB33_165:                             ;   in Loop: Header=BB33_124 Depth=1
	s_or_b64 exec, exec, s[6:7]
.LBB33_166:                             ;   in Loop: Header=BB33_124 Depth=1
	s_or_b64 exec, exec, s[0:1]
	v_and_b32_e32 v3, 0xffff0000, v5
	v_div_scale_f32 v4, s[0:1], v0, v0, v3
	v_rcp_f32_e32 v5, v4
	v_div_scale_f32 v9, vcc, v3, v0, v3
	v_fma_f32 v11, -v4, v5, 1.0
	v_fmac_f32_e32 v5, v11, v5
	v_mul_f32_e32 v11, v9, v5
	v_fma_f32 v13, -v4, v11, v9
	v_fmac_f32_e32 v11, v13, v5
	v_fma_f32 v4, -v4, v11, v9
	v_div_fmas_f32 v4, v4, v5, v11
	v_div_fixup_f32 v3, v4, v0, v3
	v_max_f32_e32 v3, v3, v22
	v_min_f32_e32 v3, v3, v23
	v_and_b32_e32 v4, 0x7fffffff, v3
	v_cmp_gt_u32_e32 vcc, s11, v4
	s_and_saveexec_b64 s[0:1], vcc
	s_cbranch_execz .LBB33_123
; %bb.167:                              ;   in Loop: Header=BB33_124 Depth=1
	v_cmp_lt_u32_e32 vcc, s12, v4
	s_mov_b64 s[4:5], 0
                                        ; implicit-def: $vgpr4
	s_and_saveexec_b64 s[6:7], vcc
	s_xor_b64 s[6:7], exec, s[6:7]
	s_cbranch_execnz .LBB33_184
; %bb.168:                              ;   in Loop: Header=BB33_124 Depth=1
	s_or_saveexec_b64 s[6:7], s[6:7]
                                        ; implicit-def: $sgpr8_sgpr9
	s_xor_b64 exec, exec, s[6:7]
	s_cbranch_execnz .LBB33_185
.LBB33_169:                             ;   in Loop: Header=BB33_124 Depth=1
	s_or_b64 exec, exec, s[6:7]
	v_pk_mov_b32 v[20:21], s[8:9], s[8:9] op_sel:[0,1]
	s_and_saveexec_b64 s[6:7], s[4:5]
	s_cbranch_execz .LBB33_122
	s_branch .LBB33_186
.LBB33_170:                             ;   in Loop: Header=BB33_124 Depth=1
	v_bfe_u32 v9, v12, 20, 1
	v_add3_u32 v9, v12, v9, s13
	s_mov_b64 s[4:5], exec
	v_lshrrev_b32_e32 v9, 20, v9
	s_or_saveexec_b64 s[6:7], s[6:7]
                                        ; implicit-def: $sgpr8_sgpr9
	s_xor_b64 exec, exec, s[6:7]
	s_cbranch_execz .LBB33_127
.LBB33_171:                             ;   in Loop: Header=BB33_124 Depth=1
	v_add_f32_e64 v9, |v12|, s14
	v_and_b32_e32 v9, 0xff, v9
	v_cmp_ne_u32_e32 vcc, 0, v9
	s_andn2_b64 s[4:5], s[4:5], exec
	s_and_b64 s[18:19], vcc, exec
	s_mov_b64 s[8:9], 0
	s_or_b64 s[4:5], s[4:5], s[18:19]
	s_or_b64 exec, exec, s[6:7]
	v_pk_mov_b32 v[10:11], s[8:9], s[8:9] op_sel:[0,1]
	s_and_saveexec_b64 s[6:7], s[4:5]
	s_cbranch_execnz .LBB33_128
	s_branch .LBB33_129
.LBB33_172:                             ;   in Loop: Header=BB33_124 Depth=1
	v_bfe_u32 v8, v2, 20, 1
	v_add3_u32 v8, v2, v8, s13
	s_mov_b64 s[4:5], exec
	v_lshrrev_b32_e32 v11, 20, v8
	s_or_saveexec_b64 s[6:7], s[6:7]
                                        ; implicit-def: $sgpr8_sgpr9
	s_xor_b64 exec, exec, s[6:7]
	s_cbranch_execz .LBB33_133
.LBB33_173:                             ;   in Loop: Header=BB33_124 Depth=1
	v_add_f32_e64 v8, |v2|, s14
	v_and_b32_e32 v11, 0xff, v8
	v_cmp_ne_u32_e32 vcc, 0, v11
	s_andn2_b64 s[4:5], s[4:5], exec
	s_and_b64 s[18:19], vcc, exec
	s_mov_b64 s[8:9], 0
	s_or_b64 s[4:5], s[4:5], s[18:19]
	s_or_b64 exec, exec, s[6:7]
	v_pk_mov_b32 v[8:9], s[8:9], s[8:9] op_sel:[0,1]
	s_and_saveexec_b64 s[6:7], s[4:5]
	s_cbranch_execnz .LBB33_134
	s_branch .LBB33_135
.LBB33_174:                             ;   in Loop: Header=BB33_124 Depth=1
	v_bfe_u32 v9, v2, 20, 1
	v_add3_u32 v9, v2, v9, s13
	s_mov_b64 s[4:5], exec
	v_lshrrev_b32_e32 v9, 20, v9
	s_or_saveexec_b64 s[6:7], s[6:7]
                                        ; implicit-def: $sgpr8_sgpr9
	s_xor_b64 exec, exec, s[6:7]
	s_cbranch_execz .LBB33_139
.LBB33_175:                             ;   in Loop: Header=BB33_124 Depth=1
	v_add_f32_e64 v9, |v2|, s14
	v_and_b32_e32 v9, 0xff, v9
	v_cmp_ne_u32_e32 vcc, 0, v9
	s_andn2_b64 s[4:5], s[4:5], exec
	s_and_b64 s[18:19], vcc, exec
	s_mov_b64 s[8:9], 0
	s_or_b64 s[4:5], s[4:5], s[18:19]
	s_or_b64 exec, exec, s[6:7]
	v_pk_mov_b32 v[14:15], s[8:9], s[8:9] op_sel:[0,1]
	s_and_saveexec_b64 s[6:7], s[4:5]
	s_cbranch_execnz .LBB33_140
	s_branch .LBB33_141
.LBB33_176:                             ;   in Loop: Header=BB33_124 Depth=1
	v_bfe_u32 v3, v2, 20, 1
	v_add3_u32 v3, v2, v3, s13
	s_mov_b64 s[4:5], exec
	v_lshrrev_b32_e32 v3, 20, v3
	s_or_saveexec_b64 s[6:7], s[6:7]
                                        ; implicit-def: $sgpr8_sgpr9
	s_xor_b64 exec, exec, s[6:7]
	s_cbranch_execz .LBB33_145
.LBB33_177:                             ;   in Loop: Header=BB33_124 Depth=1
	v_add_f32_e64 v3, |v2|, s14
	v_and_b32_e32 v3, 0xff, v3
	v_cmp_ne_u32_e32 vcc, 0, v3
	s_andn2_b64 s[4:5], s[4:5], exec
	s_and_b64 s[18:19], vcc, exec
	s_mov_b64 s[8:9], 0
	s_or_b64 s[4:5], s[4:5], s[18:19]
	s_or_b64 exec, exec, s[6:7]
	v_pk_mov_b32 v[12:13], s[8:9], s[8:9] op_sel:[0,1]
	s_and_saveexec_b64 s[6:7], s[4:5]
	s_cbranch_execnz .LBB33_146
	s_branch .LBB33_147
.LBB33_178:                             ;   in Loop: Header=BB33_124 Depth=1
	v_bfe_u32 v2, v9, 20, 1
	v_add3_u32 v2, v9, v2, s13
	s_mov_b64 s[4:5], exec
	v_lshrrev_b32_e32 v11, 20, v2
	s_or_saveexec_b64 s[6:7], s[6:7]
                                        ; implicit-def: $sgpr8_sgpr9
	s_xor_b64 exec, exec, s[6:7]
	s_cbranch_execz .LBB33_151
.LBB33_179:                             ;   in Loop: Header=BB33_124 Depth=1
	v_add_f32_e64 v2, |v9|, s14
	v_and_b32_e32 v11, 0xff, v2
	v_cmp_ne_u32_e32 vcc, 0, v11
	s_andn2_b64 s[4:5], s[4:5], exec
	s_and_b64 s[18:19], vcc, exec
	s_mov_b64 s[8:9], 0
	s_or_b64 s[4:5], s[4:5], s[18:19]
	s_or_b64 exec, exec, s[6:7]
	v_pk_mov_b32 v[2:3], s[8:9], s[8:9] op_sel:[0,1]
	s_and_saveexec_b64 s[6:7], s[4:5]
	s_cbranch_execnz .LBB33_152
	s_branch .LBB33_153
.LBB33_180:                             ;   in Loop: Header=BB33_124 Depth=1
	v_bfe_u32 v4, v3, 20, 1
	v_add3_u32 v4, v3, v4, s13
	s_mov_b64 s[4:5], exec
	v_lshrrev_b32_e32 v4, 20, v4
	s_or_saveexec_b64 s[6:7], s[6:7]
                                        ; implicit-def: $sgpr8_sgpr9
	s_xor_b64 exec, exec, s[6:7]
	s_cbranch_execz .LBB33_157
.LBB33_181:                             ;   in Loop: Header=BB33_124 Depth=1
	v_add_f32_e64 v4, |v3|, s14
	v_and_b32_e32 v4, 0xff, v4
	v_cmp_ne_u32_e32 vcc, 0, v4
	s_andn2_b64 s[4:5], s[4:5], exec
	s_and_b64 s[18:19], vcc, exec
	s_mov_b64 s[8:9], 0
	s_or_b64 s[4:5], s[4:5], s[18:19]
	s_or_b64 exec, exec, s[6:7]
	v_pk_mov_b32 v[16:17], s[8:9], s[8:9] op_sel:[0,1]
	s_and_saveexec_b64 s[6:7], s[4:5]
	s_cbranch_execnz .LBB33_158
	s_branch .LBB33_159
.LBB33_182:                             ;   in Loop: Header=BB33_124 Depth=1
	v_bfe_u32 v4, v3, 20, 1
	v_add3_u32 v4, v3, v4, s13
	s_mov_b64 s[4:5], exec
	v_lshrrev_b32_e32 v4, 20, v4
	s_or_saveexec_b64 s[6:7], s[6:7]
                                        ; implicit-def: $sgpr8_sgpr9
	s_xor_b64 exec, exec, s[6:7]
	s_cbranch_execz .LBB33_163
.LBB33_183:                             ;   in Loop: Header=BB33_124 Depth=1
	v_add_f32_e64 v4, |v3|, s14
	v_and_b32_e32 v4, 0xff, v4
	v_cmp_ne_u32_e32 vcc, 0, v4
	s_andn2_b64 s[4:5], s[4:5], exec
	s_and_b64 s[18:19], vcc, exec
	s_mov_b64 s[8:9], 0
	s_or_b64 s[4:5], s[4:5], s[18:19]
	s_or_b64 exec, exec, s[6:7]
	v_pk_mov_b32 v[18:19], s[8:9], s[8:9] op_sel:[0,1]
	s_and_saveexec_b64 s[6:7], s[4:5]
	s_cbranch_execnz .LBB33_164
	s_branch .LBB33_165
.LBB33_184:                             ;   in Loop: Header=BB33_124 Depth=1
	v_bfe_u32 v4, v3, 20, 1
	v_add3_u32 v4, v3, v4, s13
	s_mov_b64 s[4:5], exec
	v_lshrrev_b32_e32 v4, 20, v4
	s_or_saveexec_b64 s[6:7], s[6:7]
                                        ; implicit-def: $sgpr8_sgpr9
	s_xor_b64 exec, exec, s[6:7]
	s_cbranch_execz .LBB33_169
.LBB33_185:                             ;   in Loop: Header=BB33_124 Depth=1
	v_add_f32_e64 v4, |v3|, s14
	v_and_b32_e32 v4, 0xff, v4
	v_cmp_ne_u32_e32 vcc, 0, v4
	s_andn2_b64 s[4:5], s[4:5], exec
	s_and_b64 s[18:19], vcc, exec
	s_mov_b64 s[8:9], 0
	s_or_b64 s[4:5], s[4:5], s[18:19]
	s_or_b64 exec, exec, s[6:7]
	v_pk_mov_b32 v[20:21], s[8:9], s[8:9] op_sel:[0,1]
	s_and_saveexec_b64 s[6:7], s[4:5]
	s_cbranch_execz .LBB33_122
.LBB33_186:                             ;   in Loop: Header=BB33_124 Depth=1
	v_lshrrev_b32_e32 v3, 24, v3
	v_and_or_b32 v20, v3, s15, v4
	s_branch .LBB33_122
.LBB33_187:
	s_endpgm
.LBB33_188:
	v_bfe_u32 v3, v2, 20, 1
	s_mov_b32 s8, 0x487ffff
	v_add3_u32 v3, v2, v3, s8
	s_mov_b64 s[4:5], exec
	v_lshrrev_b32_e32 v3, 20, v3
	s_or_saveexec_b64 s[6:7], s[6:7]
                                        ; implicit-def: $sgpr8
	s_xor_b64 exec, exec, s[6:7]
	s_cbranch_execz .LBB33_29
.LBB33_189:
	s_mov_b32 s8, 0x46000000
	v_add_f32_e64 v3, |v2|, s8
	v_and_b32_e32 v3, 0xff, v3
	v_cmp_ne_u32_e32 vcc, 0, v3
	s_andn2_b64 s[4:5], s[4:5], exec
	s_and_b64 s[10:11], vcc, exec
	s_mov_b32 s8, 0
	s_or_b64 s[4:5], s[4:5], s[10:11]
	s_or_b64 exec, exec, s[6:7]
	v_mov_b32_e32 v4, s8
	s_and_saveexec_b64 s[6:7], s[4:5]
	s_cbranch_execnz .LBB33_30
	s_branch .LBB33_31
	.section	.rodata,"a",@progbits
	.p2align	6, 0x0
	.amdhsa_kernel _Z33per_token_group_quant_8bit_kernelIN3c108BFloat16ENS0_15Float8_e4m3fnuzELb1ELb0EfEvPKT_PvPT3_iiifffii
		.amdhsa_group_segment_fixed_size 0
		.amdhsa_private_segment_fixed_size 0
		.amdhsa_kernarg_size 56
		.amdhsa_user_sgpr_count 6
		.amdhsa_user_sgpr_private_segment_buffer 1
		.amdhsa_user_sgpr_dispatch_ptr 0
		.amdhsa_user_sgpr_queue_ptr 0
		.amdhsa_user_sgpr_kernarg_segment_ptr 1
		.amdhsa_user_sgpr_dispatch_id 0
		.amdhsa_user_sgpr_flat_scratch_init 0
		.amdhsa_user_sgpr_kernarg_preload_length 0
		.amdhsa_user_sgpr_kernarg_preload_offset 0
		.amdhsa_user_sgpr_private_segment_size 0
		.amdhsa_uses_dynamic_stack 0
		.amdhsa_system_sgpr_private_segment_wavefront_offset 0
		.amdhsa_system_sgpr_workgroup_id_x 1
		.amdhsa_system_sgpr_workgroup_id_y 0
		.amdhsa_system_sgpr_workgroup_id_z 0
		.amdhsa_system_sgpr_workgroup_info 0
		.amdhsa_system_vgpr_workitem_id 0
		.amdhsa_next_free_vgpr 61
		.amdhsa_next_free_sgpr 46
		.amdhsa_accum_offset 64
		.amdhsa_reserve_vcc 1
		.amdhsa_reserve_flat_scratch 0
		.amdhsa_float_round_mode_32 0
		.amdhsa_float_round_mode_16_64 0
		.amdhsa_float_denorm_mode_32 3
		.amdhsa_float_denorm_mode_16_64 3
		.amdhsa_dx10_clamp 1
		.amdhsa_ieee_mode 1
		.amdhsa_fp16_overflow 0
		.amdhsa_tg_split 0
		.amdhsa_exception_fp_ieee_invalid_op 0
		.amdhsa_exception_fp_denorm_src 0
		.amdhsa_exception_fp_ieee_div_zero 0
		.amdhsa_exception_fp_ieee_overflow 0
		.amdhsa_exception_fp_ieee_underflow 0
		.amdhsa_exception_fp_ieee_inexact 0
		.amdhsa_exception_int_div_zero 0
	.end_amdhsa_kernel
	.section	.text._Z33per_token_group_quant_8bit_kernelIN3c108BFloat16ENS0_15Float8_e4m3fnuzELb1ELb0EfEvPKT_PvPT3_iiifffii,"axG",@progbits,_Z33per_token_group_quant_8bit_kernelIN3c108BFloat16ENS0_15Float8_e4m3fnuzELb1ELb0EfEvPKT_PvPT3_iiifffii,comdat
.Lfunc_end33:
	.size	_Z33per_token_group_quant_8bit_kernelIN3c108BFloat16ENS0_15Float8_e4m3fnuzELb1ELb0EfEvPKT_PvPT3_iiifffii, .Lfunc_end33-_Z33per_token_group_quant_8bit_kernelIN3c108BFloat16ENS0_15Float8_e4m3fnuzELb1ELb0EfEvPKT_PvPT3_iiifffii
                                        ; -- End function
	.section	.AMDGPU.csdata,"",@progbits
; Kernel info:
; codeLenInByte = 9332
; NumSgprs: 50
; NumVgprs: 61
; NumAgprs: 0
; TotalNumVgprs: 61
; ScratchSize: 0
; MemoryBound: 0
; FloatMode: 240
; IeeeMode: 1
; LDSByteSize: 0 bytes/workgroup (compile time only)
; SGPRBlocks: 6
; VGPRBlocks: 7
; NumSGPRsForWavesPerEU: 50
; NumVGPRsForWavesPerEU: 61
; AccumOffset: 64
; Occupancy: 8
; WaveLimiterHint : 0
; COMPUTE_PGM_RSRC2:SCRATCH_EN: 0
; COMPUTE_PGM_RSRC2:USER_SGPR: 6
; COMPUTE_PGM_RSRC2:TRAP_HANDLER: 0
; COMPUTE_PGM_RSRC2:TGID_X_EN: 1
; COMPUTE_PGM_RSRC2:TGID_Y_EN: 0
; COMPUTE_PGM_RSRC2:TGID_Z_EN: 0
; COMPUTE_PGM_RSRC2:TIDIG_COMP_CNT: 0
; COMPUTE_PGM_RSRC3_GFX90A:ACCUM_OFFSET: 15
; COMPUTE_PGM_RSRC3_GFX90A:TG_SPLIT: 0
	.section	.text._Z33per_token_group_quant_8bit_kernelIN3c108BFloat16ENS0_15Float8_e4m3fnuzELb0ELb1EfEvPKT_PvPT3_iiifffii,"axG",@progbits,_Z33per_token_group_quant_8bit_kernelIN3c108BFloat16ENS0_15Float8_e4m3fnuzELb0ELb1EfEvPKT_PvPT3_iiifffii,comdat
	.protected	_Z33per_token_group_quant_8bit_kernelIN3c108BFloat16ENS0_15Float8_e4m3fnuzELb0ELb1EfEvPKT_PvPT3_iiifffii ; -- Begin function _Z33per_token_group_quant_8bit_kernelIN3c108BFloat16ENS0_15Float8_e4m3fnuzELb0ELb1EfEvPKT_PvPT3_iiifffii
	.globl	_Z33per_token_group_quant_8bit_kernelIN3c108BFloat16ENS0_15Float8_e4m3fnuzELb0ELb1EfEvPKT_PvPT3_iiifffii
	.p2align	8
	.type	_Z33per_token_group_quant_8bit_kernelIN3c108BFloat16ENS0_15Float8_e4m3fnuzELb0ELb1EfEvPKT_PvPT3_iiifffii,@function
_Z33per_token_group_quant_8bit_kernelIN3c108BFloat16ENS0_15Float8_e4m3fnuzELb0ELb1EfEvPKT_PvPT3_iiifffii: ; @_Z33per_token_group_quant_8bit_kernelIN3c108BFloat16ENS0_15Float8_e4m3fnuzELb0ELb1EfEvPKT_PvPT3_iiifffii
; %bb.0:
	s_load_dword s31, s[4:5], 0x18
	s_load_dwordx4 s[16:19], s[4:5], 0x20
	s_load_dwordx2 s[2:3], s[4:5], 0x0
	v_lshrrev_b32_e32 v4, 4, v0
	v_and_b32_e32 v24, 15, v0
	s_waitcnt lgkmcnt(0)
	s_ashr_i32 s7, s31, 31
	s_mul_i32 s6, s6, s16
	v_add_co_u32_e32 v2, vcc, s6, v4
	v_addc_co_u32_e64 v3, s[0:1], 0, 0, vcc
	v_mul_lo_u32 v0, v3, s31
	v_mul_lo_u32 v1, v2, s7
	v_mad_u64_u32 v[12:13], s[0:1], v2, s31, 0
	v_add3_u32 v13, v13, v1, v0
	v_lshlrev_b64 v[0:1], 1, v[12:13]
	s_and_b32 s6, s31, 7
	v_mov_b32_e32 v6, s3
	v_add_co_u32_e32 v5, vcc, s2, v0
	s_cmp_eq_u32 s6, 0
	v_addc_co_u32_e32 v6, vcc, v6, v1, vcc
	v_mov_b32_e32 v11, 0
	v_and_b32_e32 v10, 15, v5
	s_cselect_b64 s[0:1], -1, 0
	s_cmp_lg_u32 s6, 0
	v_mul_lo_u32 v25, v4, s31
	v_cmp_ne_u64_e32 vcc, 0, v[10:11]
	s_cselect_b64 s[6:7], -1, 0
	v_lshl_add_u32 v8, v25, 1, 0
	s_or_b64 s[6:7], s[6:7], vcc
                                        ; implicit-def: $vgpr9
	s_and_saveexec_b64 s[8:9], s[6:7]
	s_xor_b64 s[6:7], exec, s[8:9]
	s_cbranch_execz .LBB34_12
; %bb.1:
	v_sub_u32_e32 v4, 0, v5
	v_bfe_u32 v4, v4, 1, 3
	v_min_i32_e32 v4, s31, v4
	v_cmp_gt_i32_e32 vcc, v4, v24
	v_mov_b32_e32 v9, s17
	s_and_saveexec_b64 s[8:9], vcc
	s_cbranch_execz .LBB34_3
; %bb.2:
	v_lshlrev_b32_e32 v7, 1, v24
	v_add_co_u32_e32 v10, vcc, v5, v7
	v_addc_co_u32_e32 v11, vcc, 0, v6, vcc
	global_load_ushort v5, v[10:11], off
	v_max_f32_e64 v6, s17, s17
	v_add_u32_e32 v7, v8, v7
	s_waitcnt vmcnt(0)
	v_lshlrev_b32_e32 v9, 16, v5
	v_max_f32_e64 v9, |v9|, |v9|
	v_max_f32_e32 v9, v6, v9
	ds_write_b16 v7, v5
.LBB34_3:
	s_or_b64 exec, exec, s[8:9]
	v_sub_u32_e32 v10, s31, v4
	v_ashrrev_i32_e32 v6, 31, v10
	v_lshrrev_b32_e32 v6, 29, v6
	v_add_u32_e32 v6, v10, v6
	v_ashrrev_i32_e32 v5, 31, v4
	v_ashrrev_i32_e32 v11, 3, v6
	v_cmp_gt_i32_e32 vcc, v11, v24
	v_lshlrev_b32_e32 v14, 1, v4
	v_lshlrev_b64 v[4:5], 1, v[4:5]
	s_and_saveexec_b64 s[8:9], vcc
	s_cbranch_execz .LBB34_7
; %bb.4:
	v_lshlrev_b32_e32 v6, 4, v24
	v_lshl_add_u32 v7, v25, 1, v6
	v_add_co_u32_e32 v6, vcc, v0, v6
	v_add3_u32 v15, v7, v14, 0
	v_addc_co_u32_e32 v7, vcc, 0, v1, vcc
	v_add_co_u32_e32 v6, vcc, v6, v4
	v_addc_co_u32_e32 v7, vcc, v7, v5, vcc
	v_mov_b32_e32 v16, s3
	v_add_co_u32_e32 v6, vcc, s2, v6
	v_addc_co_u32_e32 v7, vcc, v7, v16, vcc
	v_add_co_u32_e32 v6, vcc, 8, v6
	v_addc_co_u32_e32 v7, vcc, 0, v7, vcc
	s_mov_b64 s[10:11], 0
	v_mov_b32_e32 v16, v24
.LBB34_5:                               ; =>This Inner Loop Header: Depth=1
	global_load_dwordx4 v[18:21], v[6:7], off offset:-8
	v_add_co_u32_e32 v6, vcc, 0x100, v6
	v_add_u32_e32 v16, 16, v16
	v_addc_co_u32_e32 v7, vcc, 0, v7, vcc
	v_cmp_ge_i32_e32 vcc, v16, v11
	s_or_b64 s[10:11], vcc, s[10:11]
	s_waitcnt vmcnt(0)
	v_lshlrev_b32_e32 v17, 16, v18
	v_and_b32_e32 v22, 0xffff0000, v18
	v_lshlrev_b32_e32 v23, 16, v19
	v_and_b32_e32 v26, 0xffff0000, v19
	v_max3_f32 v9, v9, |v17|, |v22|
	v_lshlrev_b32_e32 v27, 16, v20
	v_and_b32_e32 v28, 0xffff0000, v20
	v_max3_f32 v9, v9, |v23|, |v26|
	;; [unrolled: 3-line block ×3, first 2 shown]
	ds_write_b128 v15, v[18:21]
	v_add_u32_e32 v15, 0x100, v15
	v_max3_f32 v9, v9, |v29|, |v30|
	s_andn2_b64 exec, exec, s[10:11]
	s_cbranch_execnz .LBB34_5
; %bb.6:
	s_or_b64 exec, exec, s[10:11]
.LBB34_7:
	s_or_b64 exec, exec, s[8:9]
	v_lshl_add_u32 v6, v11, 3, v24
	v_cmp_lt_i32_e32 vcc, v6, v10
	s_and_saveexec_b64 s[8:9], vcc
	s_cbranch_execz .LBB34_11
; %bb.8:
	v_lshlrev_b32_e32 v7, 1, v25
	v_lshlrev_b32_e32 v11, 4, v11
	v_add3_u32 v7, v7, v11, v14
	v_lshlrev_b32_e32 v11, 1, v24
	v_add3_u32 v11, v7, v11, 0
	v_add_co_u32_e32 v4, vcc, v0, v4
	v_ashrrev_i32_e32 v7, 31, v6
	v_addc_co_u32_e32 v5, vcc, v1, v5, vcc
	v_lshlrev_b64 v[0:1], 1, v[6:7]
	v_add_co_u32_e32 v0, vcc, v4, v0
	v_addc_co_u32_e32 v1, vcc, v5, v1, vcc
	v_mov_b32_e32 v4, s3
	v_add_co_u32_e32 v0, vcc, s2, v0
	v_addc_co_u32_e32 v1, vcc, v4, v1, vcc
	s_mov_b64 s[10:11], 0
.LBB34_9:                               ; =>This Inner Loop Header: Depth=1
	global_load_ushort v4, v[0:1], off
	v_add_co_u32_e32 v0, vcc, 32, v0
	v_add_u32_e32 v6, 16, v6
	v_addc_co_u32_e32 v1, vcc, 0, v1, vcc
	v_max_f32_e32 v5, v9, v9
	v_cmp_ge_i32_e32 vcc, v6, v10
	s_or_b64 s[10:11], vcc, s[10:11]
	s_waitcnt vmcnt(0)
	v_lshlrev_b32_e32 v7, 16, v4
	ds_write_b16 v11, v4
	v_max_f32_e64 v4, |v7|, |v7|
	v_add_u32_e32 v11, 32, v11
	v_max_f32_e32 v9, v5, v4
	s_andn2_b64 exec, exec, s[10:11]
	s_cbranch_execnz .LBB34_9
; %bb.10:
	s_or_b64 exec, exec, s[10:11]
.LBB34_11:
	s_or_b64 exec, exec, s[8:9]
                                        ; implicit-def: $vgpr0_vgpr1
.LBB34_12:
	s_andn2_saveexec_b64 s[6:7], s[6:7]
	s_cbranch_execz .LBB34_18
; %bb.13:
	s_ashr_i32 s10, s31, 3
	v_cmp_gt_i32_e32 vcc, s10, v24
	v_mov_b32_e32 v9, s17
	s_and_saveexec_b64 s[8:9], vcc
	s_cbranch_execz .LBB34_17
; %bb.14:
	v_lshlrev_b32_e32 v5, 4, v24
	v_add_co_u32_e32 v0, vcc, v0, v5
	v_lshlrev_b32_e32 v4, 1, v25
	v_addc_co_u32_e32 v1, vcc, 0, v1, vcc
	v_add3_u32 v4, v4, v5, 0
	v_mov_b32_e32 v5, s3
	v_add_co_u32_e32 v0, vcc, s2, v0
	v_addc_co_u32_e32 v1, vcc, v1, v5, vcc
	v_add_co_u32_e32 v0, vcc, 8, v0
	v_addc_co_u32_e32 v1, vcc, 0, v1, vcc
	s_mov_b64 s[2:3], 0
	v_mov_b32_e32 v9, s17
	v_mov_b32_e32 v5, v24
.LBB34_15:                              ; =>This Inner Loop Header: Depth=1
	global_load_dwordx4 v[14:17], v[0:1], off offset:-8
	v_add_co_u32_e32 v0, vcc, 0x100, v0
	v_add_u32_e32 v5, 16, v5
	v_addc_co_u32_e32 v1, vcc, 0, v1, vcc
	v_cmp_le_i32_e32 vcc, s10, v5
	s_or_b64 s[2:3], vcc, s[2:3]
	s_waitcnt vmcnt(0)
	v_lshlrev_b32_e32 v6, 16, v14
	v_and_b32_e32 v7, 0xffff0000, v14
	v_lshlrev_b32_e32 v10, 16, v15
	v_and_b32_e32 v11, 0xffff0000, v15
	v_max3_f32 v6, v9, |v6|, |v7|
	v_lshlrev_b32_e32 v18, 16, v16
	v_and_b32_e32 v19, 0xffff0000, v16
	v_max3_f32 v6, v6, |v10|, |v11|
	;; [unrolled: 3-line block ×3, first 2 shown]
	ds_write_b128 v4, v[14:17]
	v_add_u32_e32 v4, 0x100, v4
	v_max3_f32 v9, v6, |v20|, |v21|
	s_andn2_b64 exec, exec, s[2:3]
	s_cbranch_execnz .LBB34_15
; %bb.16:
	s_or_b64 exec, exec, s[2:3]
.LBB34_17:
	s_or_b64 exec, exec, s[8:9]
.LBB34_18:
	s_or_b64 exec, exec, s[6:7]
	v_mbcnt_lo_u32_b32 v0, -1, 0
	v_mbcnt_hi_u32_b32 v0, -1, v0
	v_and_b32_e32 v4, 0x70, v0
	v_xor_b32_e32 v1, 8, v0
	v_add_u32_e32 v4, 16, v4
	v_cmp_lt_i32_e32 vcc, v1, v4
	v_cndmask_b32_e32 v1, v0, v1, vcc
	v_lshlrev_b32_e32 v1, 2, v1
	ds_bpermute_b32 v1, v1, v9
	v_xor_b32_e32 v6, 4, v0
	v_max_f32_e32 v5, v9, v9
	v_cmp_lt_i32_e32 vcc, v6, v4
	s_load_dwordx2 s[20:21], s[4:5], 0x8
	s_waitcnt lgkmcnt(0)
	v_max_f32_e32 v1, v1, v1
	v_max_f32_e32 v1, v5, v1
	v_cndmask_b32_e32 v5, v0, v6, vcc
	v_lshlrev_b32_e32 v5, 2, v5
	ds_bpermute_b32 v5, v5, v1
	v_xor_b32_e32 v6, 2, v0
	v_cmp_lt_i32_e32 vcc, v6, v4
	s_waitcnt lgkmcnt(0)
	v_max_f32_e32 v5, v5, v5
	v_max_f32_e32 v1, v1, v5
	v_cndmask_b32_e32 v5, v0, v6, vcc
	v_lshlrev_b32_e32 v5, 2, v5
	ds_bpermute_b32 v5, v5, v1
	v_xor_b32_e32 v6, 1, v0
	v_cmp_lt_i32_e32 vcc, v6, v4
	v_cndmask_b32_e32 v0, v0, v6, vcc
	v_lshlrev_b32_e32 v0, 2, v0
	s_waitcnt lgkmcnt(0)
	v_max_f32_e32 v5, v5, v5
	v_max_f32_e32 v1, v1, v5
	ds_bpermute_b32 v0, v0, v1
	s_waitcnt lgkmcnt(0)
	v_max_f32_e32 v0, v0, v0
	v_max_f32_e32 v0, v1, v0
	v_div_scale_f32 v1, s[2:3], s19, s19, v0
	v_rcp_f32_e32 v4, v1
	v_div_scale_f32 v5, vcc, v0, s19, v0
	s_mov_b32 s2, 0x2edbe6ff
	v_fma_f32 v6, -v1, v4, 1.0
	v_fmac_f32_e32 v4, v6, v4
	v_mul_f32_e32 v6, v5, v4
	v_fma_f32 v7, -v1, v6, v5
	v_fmac_f32_e32 v6, v7, v4
	v_fma_f32 v1, -v1, v6, v5
	v_div_fmas_f32 v1, v1, v4, v6
	v_div_fixup_f32 v0, v1, s19, v0
	v_max_f32_e64 v0, |v0|, s2
	s_mov_b32 s2, 0x800000
	v_mov_b32_e32 v1, 0x4f800000
	v_cmp_gt_f32_e32 vcc, s2, v0
	v_cndmask_b32_e32 v1, 1.0, v1, vcc
	v_mul_f32_e32 v0, v0, v1
	v_log_f32_e32 v0, v0
	v_mov_b32_e32 v1, 0x42000000
	v_cndmask_b32_e32 v1, 0, v1, vcc
	s_mov_b32 s2, 0xc2fc0000
	v_sub_f32_e32 v0, v0, v1
	v_ceil_f32_e32 v0, v0
	v_mov_b32_e32 v1, 0x42800000
	v_cmp_gt_f32_e32 vcc, s2, v0
	v_cndmask_b32_e32 v1, 0, v1, vcc
	v_add_f32_e32 v0, v0, v1
	v_exp_f32_e32 v0, v0
	v_mov_b32_e32 v1, 0x1f800000
	v_cndmask_b32_e32 v1, 1.0, v1, vcc
	v_cmp_eq_u32_e32 vcc, 0, v24
	v_mul_f32_e32 v0, v0, v1
	s_and_saveexec_b64 s[2:3], vcc
	s_cbranch_execz .LBB34_20
; %bb.19:
	s_load_dwordx2 s[4:5], s[4:5], 0x10
	v_lshlrev_b64 v[2:3], 2, v[2:3]
	s_waitcnt lgkmcnt(0)
	v_mov_b32_e32 v1, s5
	v_add_co_u32_e32 v2, vcc, s4, v2
	v_addc_co_u32_e32 v3, vcc, v1, v3, vcc
	global_store_dword v[2:3], v0, off
.LBB34_20:
	s_or_b64 exec, exec, s[2:3]
	v_and_b32_e32 v2, 15, v8
	v_mov_b32_e32 v3, 0
	v_cmp_ne_u64_e32 vcc, 0, v[2:3]
	s_xor_b64 s[0:1], s[0:1], -1
	s_or_b64 s[0:1], s[0:1], vcc
	s_barrier
	s_and_saveexec_b64 s[2:3], s[0:1]
	s_xor_b64 s[22:23], exec, s[2:3]
	s_cbranch_execz .LBB34_115
; %bb.21:
	v_mov_b32_e32 v2, s21
	v_add_co_u32_e32 v1, vcc, s20, v12
	v_addc_co_u32_e32 v30, vcc, v2, v13, vcc
	v_sub_u32_e32 v2, 0, v8
	v_bfe_u32 v2, v2, 1, 3
	v_min_i32_e32 v27, s31, v2
	v_cmp_gt_i32_e32 vcc, v27, v24
	s_and_saveexec_b64 s[0:1], vcc
	s_cbranch_execz .LBB34_29
; %bb.22:
	v_lshl_add_u32 v2, v24, 1, v8
	ds_read_u16 v2, v2
	v_max_f32_e64 v3, s18, s18
	v_max_f32_e64 v4, s19, s19
	s_waitcnt lgkmcnt(0)
	v_lshlrev_b32_e32 v2, 16, v2
	v_div_scale_f32 v5, s[2:3], v0, v0, v2
	v_rcp_f32_e32 v6, v5
	v_div_scale_f32 v7, vcc, v2, v0, v2
	s_mov_b32 s2, 0x43800000
	v_fma_f32 v8, -v5, v6, 1.0
	v_fmac_f32_e32 v6, v8, v6
	v_mul_f32_e32 v8, v7, v6
	v_fma_f32 v9, -v5, v8, v7
	v_fmac_f32_e32 v8, v9, v6
	v_fma_f32 v5, -v5, v8, v7
	v_div_fmas_f32 v5, v5, v6, v8
	v_div_fixup_f32 v2, v5, v0, v2
	v_max_f32_e32 v2, v2, v3
	v_min_f32_e32 v2, v2, v4
	v_and_b32_e32 v3, 0x7fffffff, v2
	v_cmp_gt_u32_e32 vcc, s2, v3
	v_mov_b32_e32 v4, 0x80
	s_and_saveexec_b64 s[2:3], vcc
	s_cbranch_execz .LBB34_28
; %bb.23:
	s_mov_b32 s4, 0x3bffffff
	v_cmp_lt_u32_e32 vcc, s4, v3
	s_mov_b64 s[4:5], 0
                                        ; implicit-def: $vgpr3
	s_and_saveexec_b64 s[6:7], vcc
	s_xor_b64 s[6:7], exec, s[6:7]
	s_cbranch_execnz .LBB34_184
; %bb.24:
	s_or_saveexec_b64 s[6:7], s[6:7]
                                        ; implicit-def: $sgpr8
	s_xor_b64 exec, exec, s[6:7]
	s_cbranch_execnz .LBB34_185
.LBB34_25:
	s_or_b64 exec, exec, s[6:7]
	v_mov_b32_e32 v4, s8
	s_and_saveexec_b64 s[6:7], s[4:5]
.LBB34_26:
	v_lshrrev_b32_e32 v2, 24, v2
	s_movk_i32 s4, 0x80
	v_and_or_b32 v4, v2, s4, v3
.LBB34_27:
	s_or_b64 exec, exec, s[6:7]
.LBB34_28:
	s_or_b64 exec, exec, s[2:3]
	v_add_co_u32_e32 v2, vcc, v1, v24
	v_addc_co_u32_e32 v3, vcc, 0, v30, vcc
	global_store_byte v[2:3], v4, off
.LBB34_29:
	s_or_b64 exec, exec, s[0:1]
	v_sub_u32_e32 v26, s31, v27
	v_ashrrev_i32_e32 v2, 31, v26
	v_lshrrev_b32_e32 v2, 29, v2
	v_add_u32_e32 v2, v26, v2
	v_ashrrev_i32_e32 v31, 3, v2
	v_ashrrev_i32_e32 v28, 31, v27
	v_cmp_gt_i32_e32 vcc, v31, v24
	v_lshlrev_b32_e32 v29, 1, v27
	s_and_saveexec_b64 s[2:3], vcc
	s_cbranch_execz .LBB34_96
; %bb.30:
	v_lshlrev_b32_e32 v2, 4, v24
	v_lshl_add_u32 v2, v25, 1, v2
	v_lshlrev_b32_e32 v3, 1, v27
	v_add3_u32 v32, v2, v3, 0
	v_add_co_u32_e32 v2, vcc, v27, v12
	v_addc_co_u32_e32 v3, vcc, v28, v13, vcc
	v_lshlrev_b32_e32 v4, 3, v24
	v_add_co_u32_e32 v2, vcc, v2, v4
	v_addc_co_u32_e32 v3, vcc, 0, v3, vcc
	v_mov_b32_e32 v4, s21
	v_add_co_u32_e32 v6, vcc, s20, v2
	v_addc_co_u32_e32 v7, vcc, v4, v3, vcc
	s_mov_b64 s[4:5], 0
	v_max_f32_e64 v33, s18, s18
	v_max_f32_e64 v34, s19, s19
	s_mov_b32 s12, 0x43800000
	s_mov_b32 s13, 0x3bffffff
	;; [unrolled: 1-line block ×4, first 2 shown]
	s_movk_i32 s16, 0x80
	s_mov_b32 s17, 0xff00
	s_mov_b32 s24, 0x4020c0c
	v_mov_b32_e32 v35, v24
	s_branch .LBB34_33
.LBB34_31:                              ;   in Loop: Header=BB34_33 Depth=1
	s_or_b64 exec, exec, s[8:9]
.LBB34_32:                              ;   in Loop: Header=BB34_33 Depth=1
	s_or_b64 exec, exec, s[0:1]
	v_lshlrev_b32_e32 v4, 16, v20
	v_lshlrev_b32_e32 v3, 24, v22
	v_and_b32_e32 v4, 0xff0000, v4
	v_or_b32_e32 v3, v3, v4
	v_lshlrev_b32_e32 v4, 8, v18
	v_and_b32_e32 v4, 0xff00, v4
	v_and_b32_e32 v2, 0xff, v2
	v_or3_b32 v3, v3, v4, v2
	v_lshlrev_b32_e32 v2, 16, v16
	v_lshlrev_b32_e32 v4, 8, v8
	v_perm_b32 v2, v14, v2, s24
	v_and_or_b32 v2, v4, s17, v2
	v_or_b32_sdwa v2, v2, v10 dst_sel:DWORD dst_unused:UNUSED_PAD src0_sel:DWORD src1_sel:BYTE_0
	v_add_u32_e32 v35, 16, v35
	global_store_dwordx2 v[6:7], v[2:3], off
	v_add_co_u32_e32 v6, vcc, 0x80, v6
	v_cmp_ge_i32_e64 s[0:1], v35, v31
	v_add_u32_e32 v32, 0x100, v32
	s_or_b64 s[4:5], s[0:1], s[4:5]
	v_addc_co_u32_e32 v7, vcc, 0, v7, vcc
	s_andn2_b64 exec, exec, s[4:5]
	s_cbranch_execz .LBB34_96
.LBB34_33:                              ; =>This Inner Loop Header: Depth=1
	ds_read_b128 v[2:5], v32
	v_mov_b32_e32 v8, 0x80
	v_mov_b32_e32 v9, 0
	s_waitcnt lgkmcnt(0)
	v_lshlrev_b32_e32 v10, 16, v2
	v_div_scale_f32 v11, s[0:1], v0, v0, v10
	v_rcp_f32_e32 v14, v11
	v_div_scale_f32 v15, vcc, v10, v0, v10
	v_fma_f32 v16, -v11, v14, 1.0
	v_fmac_f32_e32 v14, v16, v14
	v_mul_f32_e32 v16, v15, v14
	v_fma_f32 v17, -v11, v16, v15
	v_fmac_f32_e32 v16, v17, v14
	v_fma_f32 v11, -v11, v16, v15
	v_div_fmas_f32 v11, v11, v14, v16
	v_div_fixup_f32 v10, v11, v0, v10
	v_max_f32_e32 v10, v10, v33
	v_min_f32_e32 v14, v10, v34
	v_and_b32_e32 v15, 0x7fffffff, v14
	v_cmp_gt_u32_e32 vcc, s12, v15
	v_pk_mov_b32 v[10:11], v[8:9], v[8:9] op_sel:[0,1]
	s_and_saveexec_b64 s[0:1], vcc
	s_cbranch_execz .LBB34_39
; %bb.34:                               ;   in Loop: Header=BB34_33 Depth=1
	v_cmp_lt_u32_e32 vcc, s13, v15
	s_mov_b64 s[6:7], 0
                                        ; implicit-def: $vgpr9
	s_and_saveexec_b64 s[8:9], vcc
	s_xor_b64 s[8:9], exec, s[8:9]
	s_cbranch_execnz .LBB34_79
; %bb.35:                               ;   in Loop: Header=BB34_33 Depth=1
	s_or_saveexec_b64 s[8:9], s[8:9]
                                        ; implicit-def: $sgpr10_sgpr11
	s_xor_b64 exec, exec, s[8:9]
	s_cbranch_execnz .LBB34_80
.LBB34_36:                              ;   in Loop: Header=BB34_33 Depth=1
	s_or_b64 exec, exec, s[8:9]
	v_pk_mov_b32 v[10:11], s[10:11], s[10:11] op_sel:[0,1]
	s_and_saveexec_b64 s[8:9], s[6:7]
.LBB34_37:                              ;   in Loop: Header=BB34_33 Depth=1
	v_lshrrev_b32_e32 v10, 24, v14
	v_and_or_b32 v10, v10, s16, v9
.LBB34_38:                              ;   in Loop: Header=BB34_33 Depth=1
	s_or_b64 exec, exec, s[8:9]
.LBB34_39:                              ;   in Loop: Header=BB34_33 Depth=1
	s_or_b64 exec, exec, s[0:1]
	v_and_b32_e32 v2, 0xffff0000, v2
	v_div_scale_f32 v9, s[0:1], v0, v0, v2
	v_rcp_f32_e32 v11, v9
	v_div_scale_f32 v14, vcc, v2, v0, v2
	v_fma_f32 v15, -v9, v11, 1.0
	v_fmac_f32_e32 v11, v15, v11
	v_mul_f32_e32 v15, v14, v11
	v_fma_f32 v16, -v9, v15, v14
	v_fmac_f32_e32 v15, v16, v11
	v_fma_f32 v9, -v9, v15, v14
	v_div_fmas_f32 v9, v9, v11, v15
	v_div_fixup_f32 v2, v9, v0, v2
	v_max_f32_e32 v2, v2, v33
	v_min_f32_e32 v2, v2, v34
	v_and_b32_e32 v9, 0x7fffffff, v2
	v_cmp_gt_u32_e32 vcc, s12, v9
	s_and_saveexec_b64 s[0:1], vcc
	s_cbranch_execz .LBB34_45
; %bb.40:                               ;   in Loop: Header=BB34_33 Depth=1
	v_cmp_lt_u32_e32 vcc, s13, v9
	s_mov_b64 s[6:7], 0
                                        ; implicit-def: $vgpr11
	s_and_saveexec_b64 s[8:9], vcc
	s_xor_b64 s[8:9], exec, s[8:9]
	s_cbranch_execnz .LBB34_81
; %bb.41:                               ;   in Loop: Header=BB34_33 Depth=1
	s_or_saveexec_b64 s[8:9], s[8:9]
                                        ; implicit-def: $sgpr10_sgpr11
	s_xor_b64 exec, exec, s[8:9]
	s_cbranch_execnz .LBB34_82
.LBB34_42:                              ;   in Loop: Header=BB34_33 Depth=1
	s_or_b64 exec, exec, s[8:9]
	v_pk_mov_b32 v[8:9], s[10:11], s[10:11] op_sel:[0,1]
	s_and_saveexec_b64 s[8:9], s[6:7]
.LBB34_43:                              ;   in Loop: Header=BB34_33 Depth=1
	v_lshrrev_b32_e32 v2, 24, v2
	v_and_or_b32 v8, v2, s16, v11
.LBB34_44:                              ;   in Loop: Header=BB34_33 Depth=1
	s_or_b64 exec, exec, s[8:9]
.LBB34_45:                              ;   in Loop: Header=BB34_33 Depth=1
	s_or_b64 exec, exec, s[0:1]
	v_lshlrev_b32_e32 v2, 16, v3
	v_div_scale_f32 v9, s[0:1], v0, v0, v2
	v_rcp_f32_e32 v11, v9
	v_div_scale_f32 v14, vcc, v2, v0, v2
	v_fma_f32 v15, -v9, v11, 1.0
	v_fmac_f32_e32 v11, v15, v11
	v_mul_f32_e32 v15, v14, v11
	v_fma_f32 v16, -v9, v15, v14
	v_fmac_f32_e32 v15, v16, v11
	v_fma_f32 v9, -v9, v15, v14
	v_div_fmas_f32 v9, v9, v11, v15
	v_div_fixup_f32 v2, v9, v0, v2
	v_max_f32_e32 v2, v2, v33
	v_min_f32_e32 v2, v2, v34
	v_mov_b32_e32 v14, 0x80
	v_and_b32_e32 v9, 0x7fffffff, v2
	v_mov_b32_e32 v15, 0
	v_cmp_gt_u32_e32 vcc, s12, v9
	v_pk_mov_b32 v[16:17], v[14:15], v[14:15] op_sel:[0,1]
	s_and_saveexec_b64 s[0:1], vcc
	s_cbranch_execz .LBB34_51
; %bb.46:                               ;   in Loop: Header=BB34_33 Depth=1
	v_cmp_lt_u32_e32 vcc, s13, v9
	s_mov_b64 s[6:7], 0
                                        ; implicit-def: $vgpr9
	s_and_saveexec_b64 s[8:9], vcc
	s_xor_b64 s[8:9], exec, s[8:9]
	s_cbranch_execnz .LBB34_83
; %bb.47:                               ;   in Loop: Header=BB34_33 Depth=1
	s_or_saveexec_b64 s[8:9], s[8:9]
                                        ; implicit-def: $sgpr10_sgpr11
	s_xor_b64 exec, exec, s[8:9]
	s_cbranch_execnz .LBB34_84
.LBB34_48:                              ;   in Loop: Header=BB34_33 Depth=1
	s_or_b64 exec, exec, s[8:9]
	v_pk_mov_b32 v[16:17], s[10:11], s[10:11] op_sel:[0,1]
	s_and_saveexec_b64 s[8:9], s[6:7]
.LBB34_49:                              ;   in Loop: Header=BB34_33 Depth=1
	v_lshrrev_b32_e32 v2, 24, v2
	v_and_or_b32 v16, v2, s16, v9
.LBB34_50:                              ;   in Loop: Header=BB34_33 Depth=1
	s_or_b64 exec, exec, s[8:9]
.LBB34_51:                              ;   in Loop: Header=BB34_33 Depth=1
	s_or_b64 exec, exec, s[0:1]
	v_and_b32_e32 v2, 0xffff0000, v3
	v_div_scale_f32 v3, s[0:1], v0, v0, v2
	v_rcp_f32_e32 v9, v3
	v_div_scale_f32 v11, vcc, v2, v0, v2
	v_fma_f32 v15, -v3, v9, 1.0
	v_fmac_f32_e32 v9, v15, v9
	v_mul_f32_e32 v15, v11, v9
	v_fma_f32 v17, -v3, v15, v11
	v_fmac_f32_e32 v15, v17, v9
	v_fma_f32 v3, -v3, v15, v11
	v_div_fmas_f32 v3, v3, v9, v15
	v_div_fixup_f32 v2, v3, v0, v2
	v_max_f32_e32 v2, v2, v33
	v_min_f32_e32 v2, v2, v34
	v_and_b32_e32 v3, 0x7fffffff, v2
	v_cmp_gt_u32_e32 vcc, s12, v3
	s_and_saveexec_b64 s[0:1], vcc
	s_cbranch_execz .LBB34_57
; %bb.52:                               ;   in Loop: Header=BB34_33 Depth=1
	v_cmp_lt_u32_e32 vcc, s13, v3
	s_mov_b64 s[6:7], 0
                                        ; implicit-def: $vgpr3
	s_and_saveexec_b64 s[8:9], vcc
	s_xor_b64 s[8:9], exec, s[8:9]
	s_cbranch_execnz .LBB34_85
; %bb.53:                               ;   in Loop: Header=BB34_33 Depth=1
	s_or_saveexec_b64 s[8:9], s[8:9]
                                        ; implicit-def: $sgpr10_sgpr11
	s_xor_b64 exec, exec, s[8:9]
	s_cbranch_execnz .LBB34_86
.LBB34_54:                              ;   in Loop: Header=BB34_33 Depth=1
	s_or_b64 exec, exec, s[8:9]
	v_pk_mov_b32 v[14:15], s[10:11], s[10:11] op_sel:[0,1]
	s_and_saveexec_b64 s[8:9], s[6:7]
.LBB34_55:                              ;   in Loop: Header=BB34_33 Depth=1
	v_lshrrev_b32_e32 v2, 24, v2
	v_and_or_b32 v14, v2, s16, v3
.LBB34_56:                              ;   in Loop: Header=BB34_33 Depth=1
	s_or_b64 exec, exec, s[8:9]
.LBB34_57:                              ;   in Loop: Header=BB34_33 Depth=1
	s_or_b64 exec, exec, s[0:1]
	v_lshlrev_b32_e32 v2, 16, v4
	v_div_scale_f32 v3, s[0:1], v0, v0, v2
	v_rcp_f32_e32 v9, v3
	v_div_scale_f32 v11, vcc, v2, v0, v2
	v_mov_b32_e32 v18, 0x80
	v_fma_f32 v15, -v3, v9, 1.0
	v_fmac_f32_e32 v9, v15, v9
	v_mul_f32_e32 v15, v11, v9
	v_fma_f32 v17, -v3, v15, v11
	v_fmac_f32_e32 v15, v17, v9
	v_fma_f32 v3, -v3, v15, v11
	v_div_fmas_f32 v3, v3, v9, v15
	v_div_fixup_f32 v2, v3, v0, v2
	v_max_f32_e32 v2, v2, v33
	v_min_f32_e32 v9, v2, v34
	v_and_b32_e32 v11, 0x7fffffff, v9
	v_mov_b32_e32 v19, 0
	v_cmp_gt_u32_e32 vcc, s12, v11
	v_pk_mov_b32 v[2:3], v[18:19], v[18:19] op_sel:[0,1]
	s_and_saveexec_b64 s[0:1], vcc
	s_cbranch_execz .LBB34_63
; %bb.58:                               ;   in Loop: Header=BB34_33 Depth=1
	v_cmp_lt_u32_e32 vcc, s13, v11
	s_mov_b64 s[6:7], 0
                                        ; implicit-def: $vgpr11
	s_and_saveexec_b64 s[8:9], vcc
	s_xor_b64 s[8:9], exec, s[8:9]
	s_cbranch_execnz .LBB34_87
; %bb.59:                               ;   in Loop: Header=BB34_33 Depth=1
	s_or_saveexec_b64 s[8:9], s[8:9]
                                        ; implicit-def: $sgpr10_sgpr11
	s_xor_b64 exec, exec, s[8:9]
	s_cbranch_execnz .LBB34_88
.LBB34_60:                              ;   in Loop: Header=BB34_33 Depth=1
	s_or_b64 exec, exec, s[8:9]
	v_pk_mov_b32 v[2:3], s[10:11], s[10:11] op_sel:[0,1]
	s_and_saveexec_b64 s[8:9], s[6:7]
.LBB34_61:                              ;   in Loop: Header=BB34_33 Depth=1
	v_lshrrev_b32_e32 v2, 24, v9
	v_and_or_b32 v2, v2, s16, v11
.LBB34_62:                              ;   in Loop: Header=BB34_33 Depth=1
	s_or_b64 exec, exec, s[8:9]
.LBB34_63:                              ;   in Loop: Header=BB34_33 Depth=1
	s_or_b64 exec, exec, s[0:1]
	v_and_b32_e32 v3, 0xffff0000, v4
	v_div_scale_f32 v4, s[0:1], v0, v0, v3
	v_rcp_f32_e32 v9, v4
	v_div_scale_f32 v11, vcc, v3, v0, v3
	v_fma_f32 v15, -v4, v9, 1.0
	v_fmac_f32_e32 v9, v15, v9
	v_mul_f32_e32 v15, v11, v9
	v_fma_f32 v17, -v4, v15, v11
	v_fmac_f32_e32 v15, v17, v9
	v_fma_f32 v4, -v4, v15, v11
	v_div_fmas_f32 v4, v4, v9, v15
	v_div_fixup_f32 v3, v4, v0, v3
	v_max_f32_e32 v3, v3, v33
	v_min_f32_e32 v3, v3, v34
	v_and_b32_e32 v4, 0x7fffffff, v3
	v_cmp_gt_u32_e32 vcc, s12, v4
	s_and_saveexec_b64 s[0:1], vcc
	s_cbranch_execz .LBB34_69
; %bb.64:                               ;   in Loop: Header=BB34_33 Depth=1
	v_cmp_lt_u32_e32 vcc, s13, v4
	s_mov_b64 s[6:7], 0
                                        ; implicit-def: $vgpr4
	s_and_saveexec_b64 s[8:9], vcc
	s_xor_b64 s[8:9], exec, s[8:9]
	s_cbranch_execnz .LBB34_89
; %bb.65:                               ;   in Loop: Header=BB34_33 Depth=1
	s_or_saveexec_b64 s[8:9], s[8:9]
                                        ; implicit-def: $sgpr10_sgpr11
	s_xor_b64 exec, exec, s[8:9]
	s_cbranch_execnz .LBB34_90
.LBB34_66:                              ;   in Loop: Header=BB34_33 Depth=1
	s_or_b64 exec, exec, s[8:9]
	v_pk_mov_b32 v[18:19], s[10:11], s[10:11] op_sel:[0,1]
	s_and_saveexec_b64 s[8:9], s[6:7]
.LBB34_67:                              ;   in Loop: Header=BB34_33 Depth=1
	v_lshrrev_b32_e32 v3, 24, v3
	v_and_or_b32 v18, v3, s16, v4
.LBB34_68:                              ;   in Loop: Header=BB34_33 Depth=1
	s_or_b64 exec, exec, s[8:9]
.LBB34_69:                              ;   in Loop: Header=BB34_33 Depth=1
	s_or_b64 exec, exec, s[0:1]
	v_lshlrev_b32_e32 v3, 16, v5
	v_div_scale_f32 v4, s[0:1], v0, v0, v3
	v_rcp_f32_e32 v9, v4
	v_div_scale_f32 v11, vcc, v3, v0, v3
	v_mov_b32_e32 v22, 0x80
	v_fma_f32 v15, -v4, v9, 1.0
	v_fmac_f32_e32 v9, v15, v9
	v_mul_f32_e32 v15, v11, v9
	v_fma_f32 v17, -v4, v15, v11
	v_fmac_f32_e32 v15, v17, v9
	v_fma_f32 v4, -v4, v15, v11
	v_div_fmas_f32 v4, v4, v9, v15
	v_div_fixup_f32 v3, v4, v0, v3
	v_max_f32_e32 v3, v3, v33
	v_min_f32_e32 v3, v3, v34
	v_and_b32_e32 v4, 0x7fffffff, v3
	v_mov_b32_e32 v23, 0
	v_cmp_gt_u32_e32 vcc, s12, v4
	v_pk_mov_b32 v[20:21], v[22:23], v[22:23] op_sel:[0,1]
	s_and_saveexec_b64 s[0:1], vcc
	s_cbranch_execz .LBB34_75
; %bb.70:                               ;   in Loop: Header=BB34_33 Depth=1
	v_cmp_lt_u32_e32 vcc, s13, v4
	s_mov_b64 s[6:7], 0
                                        ; implicit-def: $vgpr4
	s_and_saveexec_b64 s[8:9], vcc
	s_xor_b64 s[8:9], exec, s[8:9]
	s_cbranch_execnz .LBB34_91
; %bb.71:                               ;   in Loop: Header=BB34_33 Depth=1
	s_or_saveexec_b64 s[8:9], s[8:9]
                                        ; implicit-def: $sgpr10_sgpr11
	s_xor_b64 exec, exec, s[8:9]
	s_cbranch_execnz .LBB34_92
.LBB34_72:                              ;   in Loop: Header=BB34_33 Depth=1
	s_or_b64 exec, exec, s[8:9]
	v_pk_mov_b32 v[20:21], s[10:11], s[10:11] op_sel:[0,1]
	s_and_saveexec_b64 s[8:9], s[6:7]
.LBB34_73:                              ;   in Loop: Header=BB34_33 Depth=1
	v_lshrrev_b32_e32 v3, 24, v3
	v_and_or_b32 v20, v3, s16, v4
.LBB34_74:                              ;   in Loop: Header=BB34_33 Depth=1
	s_or_b64 exec, exec, s[8:9]
.LBB34_75:                              ;   in Loop: Header=BB34_33 Depth=1
	s_or_b64 exec, exec, s[0:1]
	v_and_b32_e32 v3, 0xffff0000, v5
	v_div_scale_f32 v4, s[0:1], v0, v0, v3
	v_rcp_f32_e32 v5, v4
	v_div_scale_f32 v9, vcc, v3, v0, v3
	v_fma_f32 v11, -v4, v5, 1.0
	v_fmac_f32_e32 v5, v11, v5
	v_mul_f32_e32 v11, v9, v5
	v_fma_f32 v15, -v4, v11, v9
	v_fmac_f32_e32 v11, v15, v5
	v_fma_f32 v4, -v4, v11, v9
	v_div_fmas_f32 v4, v4, v5, v11
	v_div_fixup_f32 v3, v4, v0, v3
	v_max_f32_e32 v3, v3, v33
	v_min_f32_e32 v3, v3, v34
	v_and_b32_e32 v4, 0x7fffffff, v3
	v_cmp_gt_u32_e32 vcc, s12, v4
	s_and_saveexec_b64 s[0:1], vcc
	s_cbranch_execz .LBB34_32
; %bb.76:                               ;   in Loop: Header=BB34_33 Depth=1
	v_cmp_lt_u32_e32 vcc, s13, v4
	s_mov_b64 s[6:7], 0
                                        ; implicit-def: $vgpr4
	s_and_saveexec_b64 s[8:9], vcc
	s_xor_b64 s[8:9], exec, s[8:9]
	s_cbranch_execnz .LBB34_93
; %bb.77:                               ;   in Loop: Header=BB34_33 Depth=1
	s_or_saveexec_b64 s[8:9], s[8:9]
                                        ; implicit-def: $sgpr10_sgpr11
	s_xor_b64 exec, exec, s[8:9]
	s_cbranch_execnz .LBB34_94
.LBB34_78:                              ;   in Loop: Header=BB34_33 Depth=1
	s_or_b64 exec, exec, s[8:9]
	v_pk_mov_b32 v[22:23], s[10:11], s[10:11] op_sel:[0,1]
	s_and_saveexec_b64 s[8:9], s[6:7]
	s_cbranch_execz .LBB34_31
	s_branch .LBB34_95
.LBB34_79:                              ;   in Loop: Header=BB34_33 Depth=1
	v_bfe_u32 v9, v14, 20, 1
	v_add3_u32 v9, v14, v9, s14
	s_mov_b64 s[6:7], exec
	v_lshrrev_b32_e32 v9, 20, v9
	s_or_saveexec_b64 s[8:9], s[8:9]
                                        ; implicit-def: $sgpr10_sgpr11
	s_xor_b64 exec, exec, s[8:9]
	s_cbranch_execz .LBB34_36
.LBB34_80:                              ;   in Loop: Header=BB34_33 Depth=1
	v_add_f32_e64 v9, |v14|, s15
	v_and_b32_e32 v9, 0xff, v9
	v_cmp_ne_u32_e32 vcc, 0, v9
	s_andn2_b64 s[6:7], s[6:7], exec
	s_and_b64 s[26:27], vcc, exec
	s_mov_b64 s[10:11], 0
	s_or_b64 s[6:7], s[6:7], s[26:27]
	s_or_b64 exec, exec, s[8:9]
	v_pk_mov_b32 v[10:11], s[10:11], s[10:11] op_sel:[0,1]
	s_and_saveexec_b64 s[8:9], s[6:7]
	s_cbranch_execnz .LBB34_37
	s_branch .LBB34_38
.LBB34_81:                              ;   in Loop: Header=BB34_33 Depth=1
	v_bfe_u32 v8, v2, 20, 1
	v_add3_u32 v8, v2, v8, s14
	s_mov_b64 s[6:7], exec
	v_lshrrev_b32_e32 v11, 20, v8
	s_or_saveexec_b64 s[8:9], s[8:9]
                                        ; implicit-def: $sgpr10_sgpr11
	s_xor_b64 exec, exec, s[8:9]
	s_cbranch_execz .LBB34_42
.LBB34_82:                              ;   in Loop: Header=BB34_33 Depth=1
	v_add_f32_e64 v8, |v2|, s15
	v_and_b32_e32 v11, 0xff, v8
	v_cmp_ne_u32_e32 vcc, 0, v11
	s_andn2_b64 s[6:7], s[6:7], exec
	s_and_b64 s[26:27], vcc, exec
	s_mov_b64 s[10:11], 0
	s_or_b64 s[6:7], s[6:7], s[26:27]
	s_or_b64 exec, exec, s[8:9]
	v_pk_mov_b32 v[8:9], s[10:11], s[10:11] op_sel:[0,1]
	s_and_saveexec_b64 s[8:9], s[6:7]
	s_cbranch_execnz .LBB34_43
	s_branch .LBB34_44
.LBB34_83:                              ;   in Loop: Header=BB34_33 Depth=1
	v_bfe_u32 v9, v2, 20, 1
	v_add3_u32 v9, v2, v9, s14
	s_mov_b64 s[6:7], exec
	v_lshrrev_b32_e32 v9, 20, v9
	s_or_saveexec_b64 s[8:9], s[8:9]
                                        ; implicit-def: $sgpr10_sgpr11
	s_xor_b64 exec, exec, s[8:9]
	s_cbranch_execz .LBB34_48
.LBB34_84:                              ;   in Loop: Header=BB34_33 Depth=1
	v_add_f32_e64 v9, |v2|, s15
	v_and_b32_e32 v9, 0xff, v9
	v_cmp_ne_u32_e32 vcc, 0, v9
	s_andn2_b64 s[6:7], s[6:7], exec
	s_and_b64 s[26:27], vcc, exec
	s_mov_b64 s[10:11], 0
	s_or_b64 s[6:7], s[6:7], s[26:27]
	s_or_b64 exec, exec, s[8:9]
	v_pk_mov_b32 v[16:17], s[10:11], s[10:11] op_sel:[0,1]
	s_and_saveexec_b64 s[8:9], s[6:7]
	s_cbranch_execnz .LBB34_49
	s_branch .LBB34_50
.LBB34_85:                              ;   in Loop: Header=BB34_33 Depth=1
	v_bfe_u32 v3, v2, 20, 1
	v_add3_u32 v3, v2, v3, s14
	s_mov_b64 s[6:7], exec
	v_lshrrev_b32_e32 v3, 20, v3
	s_or_saveexec_b64 s[8:9], s[8:9]
                                        ; implicit-def: $sgpr10_sgpr11
	s_xor_b64 exec, exec, s[8:9]
	s_cbranch_execz .LBB34_54
.LBB34_86:                              ;   in Loop: Header=BB34_33 Depth=1
	v_add_f32_e64 v3, |v2|, s15
	v_and_b32_e32 v3, 0xff, v3
	v_cmp_ne_u32_e32 vcc, 0, v3
	s_andn2_b64 s[6:7], s[6:7], exec
	s_and_b64 s[26:27], vcc, exec
	s_mov_b64 s[10:11], 0
	s_or_b64 s[6:7], s[6:7], s[26:27]
	s_or_b64 exec, exec, s[8:9]
	v_pk_mov_b32 v[14:15], s[10:11], s[10:11] op_sel:[0,1]
	s_and_saveexec_b64 s[8:9], s[6:7]
	s_cbranch_execnz .LBB34_55
	s_branch .LBB34_56
.LBB34_87:                              ;   in Loop: Header=BB34_33 Depth=1
	v_bfe_u32 v2, v9, 20, 1
	v_add3_u32 v2, v9, v2, s14
	s_mov_b64 s[6:7], exec
	v_lshrrev_b32_e32 v11, 20, v2
	s_or_saveexec_b64 s[8:9], s[8:9]
                                        ; implicit-def: $sgpr10_sgpr11
	s_xor_b64 exec, exec, s[8:9]
	s_cbranch_execz .LBB34_60
.LBB34_88:                              ;   in Loop: Header=BB34_33 Depth=1
	v_add_f32_e64 v2, |v9|, s15
	v_and_b32_e32 v11, 0xff, v2
	v_cmp_ne_u32_e32 vcc, 0, v11
	s_andn2_b64 s[6:7], s[6:7], exec
	s_and_b64 s[26:27], vcc, exec
	s_mov_b64 s[10:11], 0
	s_or_b64 s[6:7], s[6:7], s[26:27]
	s_or_b64 exec, exec, s[8:9]
	v_pk_mov_b32 v[2:3], s[10:11], s[10:11] op_sel:[0,1]
	s_and_saveexec_b64 s[8:9], s[6:7]
	s_cbranch_execnz .LBB34_61
	s_branch .LBB34_62
.LBB34_89:                              ;   in Loop: Header=BB34_33 Depth=1
	v_bfe_u32 v4, v3, 20, 1
	v_add3_u32 v4, v3, v4, s14
	s_mov_b64 s[6:7], exec
	v_lshrrev_b32_e32 v4, 20, v4
	s_or_saveexec_b64 s[8:9], s[8:9]
                                        ; implicit-def: $sgpr10_sgpr11
	s_xor_b64 exec, exec, s[8:9]
	s_cbranch_execz .LBB34_66
.LBB34_90:                              ;   in Loop: Header=BB34_33 Depth=1
	v_add_f32_e64 v4, |v3|, s15
	v_and_b32_e32 v4, 0xff, v4
	v_cmp_ne_u32_e32 vcc, 0, v4
	s_andn2_b64 s[6:7], s[6:7], exec
	s_and_b64 s[26:27], vcc, exec
	s_mov_b64 s[10:11], 0
	s_or_b64 s[6:7], s[6:7], s[26:27]
	s_or_b64 exec, exec, s[8:9]
	v_pk_mov_b32 v[18:19], s[10:11], s[10:11] op_sel:[0,1]
	s_and_saveexec_b64 s[8:9], s[6:7]
	s_cbranch_execnz .LBB34_67
	s_branch .LBB34_68
.LBB34_91:                              ;   in Loop: Header=BB34_33 Depth=1
	v_bfe_u32 v4, v3, 20, 1
	v_add3_u32 v4, v3, v4, s14
	s_mov_b64 s[6:7], exec
	v_lshrrev_b32_e32 v4, 20, v4
	s_or_saveexec_b64 s[8:9], s[8:9]
                                        ; implicit-def: $sgpr10_sgpr11
	s_xor_b64 exec, exec, s[8:9]
	s_cbranch_execz .LBB34_72
.LBB34_92:                              ;   in Loop: Header=BB34_33 Depth=1
	v_add_f32_e64 v4, |v3|, s15
	v_and_b32_e32 v4, 0xff, v4
	v_cmp_ne_u32_e32 vcc, 0, v4
	s_andn2_b64 s[6:7], s[6:7], exec
	s_and_b64 s[26:27], vcc, exec
	s_mov_b64 s[10:11], 0
	s_or_b64 s[6:7], s[6:7], s[26:27]
	s_or_b64 exec, exec, s[8:9]
	v_pk_mov_b32 v[20:21], s[10:11], s[10:11] op_sel:[0,1]
	s_and_saveexec_b64 s[8:9], s[6:7]
	s_cbranch_execnz .LBB34_73
	s_branch .LBB34_74
.LBB34_93:                              ;   in Loop: Header=BB34_33 Depth=1
	v_bfe_u32 v4, v3, 20, 1
	v_add3_u32 v4, v3, v4, s14
	s_mov_b64 s[6:7], exec
	v_lshrrev_b32_e32 v4, 20, v4
	s_or_saveexec_b64 s[8:9], s[8:9]
                                        ; implicit-def: $sgpr10_sgpr11
	s_xor_b64 exec, exec, s[8:9]
	s_cbranch_execz .LBB34_78
.LBB34_94:                              ;   in Loop: Header=BB34_33 Depth=1
	v_add_f32_e64 v4, |v3|, s15
	v_and_b32_e32 v4, 0xff, v4
	v_cmp_ne_u32_e32 vcc, 0, v4
	s_andn2_b64 s[6:7], s[6:7], exec
	s_and_b64 s[26:27], vcc, exec
	s_mov_b64 s[10:11], 0
	s_or_b64 s[6:7], s[6:7], s[26:27]
	s_or_b64 exec, exec, s[8:9]
	v_pk_mov_b32 v[22:23], s[10:11], s[10:11] op_sel:[0,1]
	s_and_saveexec_b64 s[8:9], s[6:7]
	s_cbranch_execz .LBB34_31
.LBB34_95:                              ;   in Loop: Header=BB34_33 Depth=1
	v_lshrrev_b32_e32 v3, 24, v3
	v_and_or_b32 v22, v3, s16, v4
	s_branch .LBB34_31
.LBB34_96:
	s_or_b64 exec, exec, s[2:3]
	v_lshlrev_b32_e32 v4, 3, v31
	v_add_u32_e32 v2, v4, v24
	v_cmp_lt_i32_e32 vcc, v2, v26
	s_and_saveexec_b64 s[24:25], vcc
	s_cbranch_execz .LBB34_114
; %bb.97:
	v_add_u32_e32 v3, 16, v2
	v_max_i32_e32 v5, v3, v26
	v_xad_u32 v5, v24, -1, v5
	v_sub_u32_e32 v4, v5, v4
	v_cmp_lt_u32_e32 vcc, 47, v4
	s_mov_b64 s[0:1], 0
                                        ; implicit-def: $vgpr20
	s_and_saveexec_b64 s[2:3], vcc
	s_xor_b64 s[26:27], exec, s[2:3]
	s_cbranch_execnz .LBB34_100
; %bb.98:
	s_andn2_saveexec_b64 s[2:3], s[26:27]
	s_cbranch_execnz .LBB34_103
.LBB34_99:
	s_or_b64 exec, exec, s[2:3]
	s_and_b64 exec, exec, s[0:1]
	s_cbranch_execnz .LBB34_104
	s_branch .LBB34_114
.LBB34_100:
	v_lshrrev_b32_e32 v4, 4, v4
	v_lshlrev_b32_e32 v20, 1, v25
	v_lshlrev_b32_e32 v8, 4, v31
	;; [unrolled: 1-line block ×3, first 2 shown]
	v_add_u32_e32 v21, 1, v4
	v_add_u32_e32 v5, 48, v2
	;; [unrolled: 1-line block ×3, first 2 shown]
	v_add3_u32 v8, v20, v8, v29
	v_lshlrev_b32_e32 v9, 1, v24
	v_add_co_u32_e32 v23, vcc, v1, v27
	v_and_b32_e32 v22, 0x1ffffffc, v21
	s_mov_b32 s0, s18
	s_mov_b32 s1, s18
	;; [unrolled: 1-line block ×8, first 2 shown]
	v_add3_u32 v24, v8, v9, 0
	v_pk_mov_b32 v[10:11], v[4:5], v[4:5] op_sel:[0,1]
	v_addc_co_u32_e32 v30, vcc, v30, v28, vcc
	v_mov_b32_e32 v1, v0
	v_mov_b32_e32 v6, v0
	;; [unrolled: 1-line block ×3, first 2 shown]
	s_mov_b64 s[28:29], 0
	v_max_f32_e64 v25, s3, s3
	v_max_f32_e64 v31, s2, s2
	;; [unrolled: 1-line block ×8, first 2 shown]
	s_mov_b32 s33, 0x43800000
	s_brev_b32 s34, 60
	s_mov_b32 s35, 0x487ffff
	s_mov_b32 s30, 0x46000000
	s_movk_i32 s36, 0x80
	v_mov_b32_e32 v38, 0xffffff80
	v_mov_b32_e32 v39, 0
	;; [unrolled: 1-line block ×3, first 2 shown]
	v_pk_mov_b32 v[8:9], v[2:3], v[2:3] op_sel:[0,1]
.LBB34_101:                             ; =>This Inner Loop Header: Depth=1
	ds_read_u16 v41, v24
	ds_read_u16 v42, v24 offset:32
	ds_read_u16 v43, v24 offset:64
	;; [unrolled: 1-line block ×3, first 2 shown]
	v_ashrrev_i32_e32 v3, 31, v11
	v_ashrrev_i32_e32 v15, 31, v10
	;; [unrolled: 1-line block ×4, first 2 shown]
	v_add_co_u32_e32 v4, vcc, v23, v9
	v_add_co_u32_e64 v14, s[0:1], v23, v10
	v_add_co_u32_e64 v16, s[2:3], v23, v11
	;; [unrolled: 1-line block ×3, first 2 shown]
	s_waitcnt lgkmcnt(3)
	v_lshlrev_b32_e32 v41, 16, v41
	v_addc_co_u32_e64 v19, s[4:5], v30, v17, s[4:5]
	v_addc_co_u32_e32 v5, vcc, v30, v5, vcc
	v_addc_co_u32_e64 v15, vcc, v30, v15, s[0:1]
	v_addc_co_u32_e64 v17, vcc, v30, v3, s[2:3]
	s_waitcnt lgkmcnt(0)
	v_lshlrev_b32_e32 v3, 16, v44
	v_lshlrev_b32_e32 v42, 16, v42
	v_div_scale_f32 v44, s[0:1], v0, v0, v41
	v_lshlrev_b32_e32 v43, 16, v43
	v_div_scale_f32 v46, s[0:1], v1, v1, v42
	v_div_scale_f32 v50, s[4:5], v7, v7, v3
	v_rcp_f32_e32 v51, v44
	v_div_scale_f32 v48, s[2:3], v6, v6, v43
	v_rcp_f32_e32 v52, v46
	v_rcp_f32_e32 v54, v50
	;; [unrolled: 1-line block ×3, first 2 shown]
	v_fma_f32 v55, -v44, v51, 1.0
	v_div_scale_f32 v45, vcc, v41, v0, v41
	v_fma_f32 v56, -v46, v52, 1.0
	v_fmac_f32_e32 v51, v55, v51
	v_fma_f32 v55, -v50, v54, 1.0
	v_div_scale_f32 v47, s[0:1], v42, v1, v42
	v_fma_f32 v57, -v48, v53, 1.0
	v_fmac_f32_e32 v52, v56, v52
	v_fmac_f32_e32 v54, v55, v54
	v_mul_f32_e32 v55, v45, v51
	v_fmac_f32_e32 v53, v57, v53
	v_mul_f32_e32 v56, v47, v52
	v_fma_f32 v57, -v44, v55, v45
	v_div_scale_f32 v49, s[2:3], v43, v6, v43
	v_fmac_f32_e32 v55, v57, v51
	v_fma_f32 v57, -v46, v56, v47
	v_fmac_f32_e32 v56, v57, v52
	v_mul_f32_e32 v57, v49, v53
	v_fma_f32 v58, -v48, v57, v49
	v_fmac_f32_e32 v57, v58, v53
	v_div_scale_f32 v58, s[4:5], v3, v7, v3
	v_mul_f32_e32 v59, v58, v54
	v_fma_f32 v44, -v44, v55, v45
	v_fma_f32 v60, -v50, v59, v58
	v_fma_f32 v45, -v46, v56, v47
	v_div_fmas_f32 v44, v44, v51, v55
	s_mov_b64 vcc, s[0:1]
	v_fmac_f32_e32 v59, v60, v54
	v_fma_f32 v46, -v48, v57, v49
	v_div_fixup_f32 v41, v44, v0, v41
	v_div_fmas_f32 v44, v45, v52, v56
	s_mov_b64 vcc, s[2:3]
	v_fma_f32 v47, -v50, v59, v58
	v_div_fixup_f32 v42, v44, v1, v42
	v_div_fmas_f32 v44, v46, v53, v57
	v_max_f32_e32 v41, v41, v33
	s_mov_b64 vcc, s[4:5]
	v_div_fixup_f32 v43, v44, v6, v43
	v_div_fmas_f32 v44, v47, v54, v59
	v_max_f32_e32 v42, v42, v32
	v_min_f32_e32 v41, v41, v34
	v_div_fixup_f32 v3, v44, v7, v3
	v_max_f32_e32 v43, v43, v31
	v_min_f32_e32 v45, v42, v35
	v_and_b32_e32 v42, 0x7fffffff, v41
	v_bfe_u32 v44, v41, 20, 1
	v_lshrrev_b32_e32 v46, 24, v41
	v_max_f32_e32 v3, v3, v25
	v_min_f32_e32 v47, v43, v36
	v_and_b32_e32 v43, 0x7fffffff, v45
	v_cmp_gt_u32_e32 vcc, s33, v42
	v_cmp_gt_u32_e64 s[0:1], s34, v42
	v_bfe_u32 v48, v45, 20, 1
	v_add3_u32 v41, v41, v44, s35
	v_min_f32_e32 v3, v3, v37
	v_and_b32_e32 v44, 0x7fffffff, v47
	v_cmp_gt_u32_e64 s[2:3], s33, v43
	v_cmp_gt_u32_e64 s[4:5], s34, v43
	v_bfe_u32 v50, v47, 20, 1
	v_add3_u32 v48, v45, v48, s35
	v_lshrrev_b32_e32 v41, 20, v41
	v_pk_add_f32 v[42:43], v[42:43], s[30:31] op_sel_hi:[1,0]
	s_xor_b64 s[8:9], s[0:1], vcc
	v_lshrrev_b32_e32 v49, 24, v45
	v_lshrrev_b32_e32 v51, 24, v47
	v_and_b32_e32 v45, 0x7fffffff, v3
	v_cmp_gt_u32_e64 s[10:11], s33, v44
	v_cmp_gt_u32_e64 s[12:13], s34, v44
	v_bfe_u32 v52, v3, 20, 1
	v_add3_u32 v47, v47, v50, s35
	v_lshrrev_b32_e32 v48, 20, v48
	v_cndmask_b32_e64 v41, v42, v41, s[8:9]
	s_xor_b64 s[8:9], s[4:5], s[2:3]
	v_cmp_eq_u32_sdwa s[38:39], v43, v39 src0_sel:BYTE_0 src1_sel:DWORD
	v_cmp_eq_u32_sdwa s[40:41], v42, v39 src0_sel:BYTE_0 src1_sel:DWORD
	v_lshrrev_b32_e32 v42, 24, v3
	v_cmp_gt_u32_e64 s[14:15], s33, v45
	v_cmp_gt_u32_e64 s[16:17], s34, v45
	v_add3_u32 v3, v3, v52, s35
	v_lshrrev_b32_e32 v47, 20, v47
	v_pk_add_f32 v[44:45], v[44:45], s[30:31] op_sel_hi:[1,0]
	v_cndmask_b32_e64 v43, v43, v48, s[8:9]
	v_and_or_b32 v41, v46, s36, v41
	s_xor_b64 s[8:9], s[12:13], s[10:11]
	v_lshrrev_b32_e32 v3, 20, v3
	v_cmp_eq_u32_sdwa s[44:45], v44, v39 src0_sel:BYTE_0 src1_sel:DWORD
	v_cndmask_b32_e64 v44, v44, v47, s[8:9]
	v_cndmask_b32_e32 v41, v38, v41, vcc
	s_xor_b64 vcc, s[16:17], s[14:15]
	s_and_b64 s[0:1], s[0:1], s[40:41]
	v_cndmask_b32_e32 v3, v45, v3, vcc
	v_and_or_b32 v44, v51, s36, v44
	v_cmp_eq_u32_sdwa s[42:43], v45, v39 src0_sel:BYTE_0 src1_sel:DWORD
	v_and_or_b32 v43, v49, s36, v43
	v_cndmask_b32_e64 v41, v41, 0, s[0:1]
	v_and_or_b32 v3, v42, s36, v3
	v_cndmask_b32_e64 v42, v38, v44, s[10:11]
	s_and_b64 s[0:1], s[12:13], s[44:45]
	v_cndmask_b32_e64 v43, v38, v43, s[2:3]
	s_and_b64 s[2:3], s[4:5], s[38:39]
	global_store_byte v[18:19], v41, off
	v_cndmask_b32_e64 v3, v38, v3, s[14:15]
	v_cndmask_b32_e64 v18, v42, 0, s[0:1]
	s_and_b64 s[0:1], s[16:17], s[42:43]
	v_cndmask_b32_e64 v43, v43, 0, s[2:3]
	v_cndmask_b32_e64 v3, v3, 0, s[0:1]
	v_add_u32_e32 v40, -4, v40
	v_lshlrev_b16_e32 v19, 8, v43
	v_lshlrev_b16_e32 v3, 8, v3
	v_cmp_eq_u32_e64 s[6:7], 0, v40
	v_lshrrev_b32_e32 v19, 8, v19
	v_or_b32_sdwa v3, v18, v3 dst_sel:DWORD dst_unused:UNUSED_PAD src0_sel:BYTE_0 src1_sel:DWORD
	v_add_u32_e32 v11, 64, v11
	v_add_u32_e32 v10, 64, v10
	;; [unrolled: 1-line block ×5, first 2 shown]
	s_or_b64 s[28:29], s[6:7], s[28:29]
	global_store_byte v[4:5], v19, off
	global_store_byte v[14:15], v3, off
	v_lshrrev_b32_e32 v3, 8, v3
	global_store_byte v[16:17], v3, off
	s_andn2_b64 exec, exec, s[28:29]
	s_cbranch_execnz .LBB34_101
; %bb.102:
	s_or_b64 exec, exec, s[28:29]
	v_cmp_ne_u32_e32 vcc, v21, v22
	v_lshl_add_u32 v2, v22, 4, v2
	s_and_b64 s[0:1], vcc, exec
                                        ; implicit-def: $vgpr25
	s_andn2_saveexec_b64 s[2:3], s[26:27]
	s_cbranch_execz .LBB34_99
.LBB34_103:
	v_lshlrev_b32_e32 v20, 1, v25
	s_or_b64 s[0:1], s[0:1], exec
	s_or_b64 exec, exec, s[2:3]
	s_and_b64 exec, exec, s[0:1]
	s_cbranch_execz .LBB34_114
.LBB34_104:
	v_add_co_u32_e32 v3, vcc, v27, v12
	v_addc_co_u32_e32 v4, vcc, v28, v13, vcc
	v_ashrrev_i32_e32 v5, 31, v2
	v_add_co_u32_e32 v3, vcc, v3, v2
	v_addc_co_u32_e32 v5, vcc, v4, v5, vcc
	v_lshl_add_u32 v1, v2, 1, v20
	v_mov_b32_e32 v6, s21
	v_add_co_u32_e32 v4, vcc, s20, v3
	v_add3_u32 v1, v1, v29, 0
	v_addc_co_u32_e32 v5, vcc, v6, v5, vcc
	s_mov_b64 s[0:1], 0
	v_max_f32_e64 v3, s18, s18
	v_max_f32_e64 v6, s19, s19
	s_mov_b32 s8, 0x43800000
	s_mov_b32 s9, 0x3bffffff
	;; [unrolled: 1-line block ×4, first 2 shown]
	s_movk_i32 s12, 0x80
	s_branch .LBB34_107
.LBB34_105:                             ;   in Loop: Header=BB34_107 Depth=1
	s_or_b64 exec, exec, s[6:7]
.LBB34_106:                             ;   in Loop: Header=BB34_107 Depth=1
	s_or_b64 exec, exec, s[2:3]
	v_add_u32_e32 v2, 16, v2
	v_cmp_ge_i32_e32 vcc, v2, v26
	global_store_byte v[4:5], v9, off
	s_or_b64 s[0:1], vcc, s[0:1]
	v_add_co_u32_e32 v4, vcc, 16, v4
	v_add_u32_e32 v1, 32, v1
	v_addc_co_u32_e32 v5, vcc, 0, v5, vcc
	s_andn2_b64 exec, exec, s[0:1]
	s_cbranch_execz .LBB34_114
.LBB34_107:                             ; =>This Inner Loop Header: Depth=1
	ds_read_u16 v7, v1
	s_waitcnt lgkmcnt(0)
	v_lshlrev_b32_e32 v7, 16, v7
	v_div_scale_f32 v8, s[2:3], v0, v0, v7
	v_rcp_f32_e32 v9, v8
	v_div_scale_f32 v10, vcc, v7, v0, v7
	v_fma_f32 v11, -v8, v9, 1.0
	v_fmac_f32_e32 v9, v11, v9
	v_mul_f32_e32 v11, v10, v9
	v_fma_f32 v12, -v8, v11, v10
	v_fmac_f32_e32 v11, v12, v9
	v_fma_f32 v8, -v8, v11, v10
	v_div_fmas_f32 v8, v8, v9, v11
	v_div_fixup_f32 v7, v8, v0, v7
	v_max_f32_e32 v7, v7, v3
	v_min_f32_e32 v7, v7, v6
	v_and_b32_e32 v8, 0x7fffffff, v7
	v_cmp_gt_u32_e32 vcc, s8, v8
	v_mov_b32_e32 v9, 0x80
	s_and_saveexec_b64 s[2:3], vcc
	s_cbranch_execz .LBB34_106
; %bb.108:                              ;   in Loop: Header=BB34_107 Depth=1
	v_cmp_lt_u32_e32 vcc, s9, v8
	s_mov_b64 s[4:5], 0
                                        ; implicit-def: $vgpr8
	s_and_saveexec_b64 s[6:7], vcc
	s_xor_b64 s[6:7], exec, s[6:7]
	s_cbranch_execnz .LBB34_111
; %bb.109:                              ;   in Loop: Header=BB34_107 Depth=1
	s_or_saveexec_b64 s[6:7], s[6:7]
                                        ; implicit-def: $sgpr13
	s_xor_b64 exec, exec, s[6:7]
	s_cbranch_execnz .LBB34_112
.LBB34_110:                             ;   in Loop: Header=BB34_107 Depth=1
	s_or_b64 exec, exec, s[6:7]
	v_mov_b32_e32 v9, s13
	s_and_saveexec_b64 s[6:7], s[4:5]
	s_cbranch_execz .LBB34_105
	s_branch .LBB34_113
.LBB34_111:                             ;   in Loop: Header=BB34_107 Depth=1
	v_bfe_u32 v8, v7, 20, 1
	v_add3_u32 v8, v7, v8, s10
	s_mov_b64 s[4:5], exec
	v_lshrrev_b32_e32 v8, 20, v8
	s_or_saveexec_b64 s[6:7], s[6:7]
                                        ; implicit-def: $sgpr13
	s_xor_b64 exec, exec, s[6:7]
	s_cbranch_execz .LBB34_110
.LBB34_112:                             ;   in Loop: Header=BB34_107 Depth=1
	v_add_f32_e64 v8, |v7|, s11
	v_and_b32_e32 v8, 0xff, v8
	v_cmp_ne_u32_e32 vcc, 0, v8
	s_andn2_b64 s[4:5], s[4:5], exec
	s_and_b64 s[14:15], vcc, exec
	s_mov_b32 s13, 0
	s_or_b64 s[4:5], s[4:5], s[14:15]
	s_or_b64 exec, exec, s[6:7]
	v_mov_b32_e32 v9, s13
	s_and_saveexec_b64 s[6:7], s[4:5]
	s_cbranch_execz .LBB34_105
.LBB34_113:                             ;   in Loop: Header=BB34_107 Depth=1
	v_lshrrev_b32_e32 v7, 24, v7
	v_and_or_b32 v9, v7, s12, v8
	s_branch .LBB34_105
.LBB34_114:
	s_or_b64 exec, exec, s[24:25]
                                        ; implicit-def: $vgpr24
                                        ; implicit-def: $vgpr0
                                        ; implicit-def: $vgpr25
                                        ; implicit-def: $vgpr12_vgpr13
.LBB34_115:
	s_andn2_saveexec_b64 s[0:1], s[22:23]
	s_cbranch_execz .LBB34_183
; %bb.116:
	s_ashr_i32 s10, s31, 3
	v_cmp_gt_i32_e32 vcc, s10, v24
	s_and_saveexec_b64 s[0:1], vcc
	s_cbranch_execz .LBB34_183
; %bb.117:
	v_lshlrev_b32_e32 v1, 1, v25
	v_lshlrev_b32_e32 v2, 4, v24
	v_add3_u32 v1, v1, v2, 0
	v_lshlrev_b32_e32 v2, 3, v24
	v_add_co_u32_e32 v2, vcc, v12, v2
	v_addc_co_u32_e32 v3, vcc, 0, v13, vcc
	v_mov_b32_e32 v4, s21
	v_add_co_u32_e32 v6, vcc, s20, v2
	v_addc_co_u32_e32 v7, vcc, v4, v3, vcc
	s_mov_b64 s[2:3], 0
	v_max_f32_e64 v22, s18, s18
	v_max_f32_e64 v23, s19, s19
	s_mov_b32 s11, 0x43800000
	s_mov_b32 s12, 0x3bffffff
	s_mov_b32 s13, 0x487ffff
	s_mov_b32 s14, 0x46000000
	s_movk_i32 s15, 0x80
	s_mov_b32 s16, 0xff00
	s_mov_b32 s17, 0x4020c0c
	s_branch .LBB34_120
.LBB34_118:                             ;   in Loop: Header=BB34_120 Depth=1
	s_or_b64 exec, exec, s[6:7]
.LBB34_119:                             ;   in Loop: Header=BB34_120 Depth=1
	s_or_b64 exec, exec, s[0:1]
	v_lshlrev_b32_e32 v4, 16, v18
	v_lshlrev_b32_e32 v3, 24, v20
	v_and_b32_e32 v4, 0xff0000, v4
	v_or_b32_e32 v3, v3, v4
	v_lshlrev_b32_e32 v4, 8, v16
	v_and_b32_e32 v4, 0xff00, v4
	v_and_b32_e32 v2, 0xff, v2
	v_or3_b32 v3, v3, v4, v2
	v_lshlrev_b32_e32 v2, 16, v14
	v_lshlrev_b32_e32 v4, 8, v8
	v_perm_b32 v2, v12, v2, s17
	v_and_or_b32 v2, v4, s16, v2
	v_or_b32_sdwa v2, v2, v10 dst_sel:DWORD dst_unused:UNUSED_PAD src0_sel:DWORD src1_sel:BYTE_0
	v_add_u32_e32 v24, 16, v24
	global_store_dwordx2 v[6:7], v[2:3], off
	v_add_co_u32_e32 v6, vcc, 0x80, v6
	v_cmp_le_i32_e64 s[0:1], s10, v24
	v_add_u32_e32 v1, 0x100, v1
	s_or_b64 s[2:3], s[0:1], s[2:3]
	v_addc_co_u32_e32 v7, vcc, 0, v7, vcc
	s_andn2_b64 exec, exec, s[2:3]
	s_cbranch_execz .LBB34_183
.LBB34_120:                             ; =>This Inner Loop Header: Depth=1
	ds_read_b128 v[2:5], v1
	v_mov_b32_e32 v8, 0x80
	v_mov_b32_e32 v9, 0
	s_waitcnt lgkmcnt(0)
	v_lshlrev_b32_e32 v10, 16, v2
	v_div_scale_f32 v11, s[0:1], v0, v0, v10
	v_rcp_f32_e32 v12, v11
	v_div_scale_f32 v13, vcc, v10, v0, v10
	v_fma_f32 v14, -v11, v12, 1.0
	v_fmac_f32_e32 v12, v14, v12
	v_mul_f32_e32 v14, v13, v12
	v_fma_f32 v15, -v11, v14, v13
	v_fmac_f32_e32 v14, v15, v12
	v_fma_f32 v11, -v11, v14, v13
	v_div_fmas_f32 v11, v11, v12, v14
	v_div_fixup_f32 v10, v11, v0, v10
	v_max_f32_e32 v10, v10, v22
	v_min_f32_e32 v12, v10, v23
	v_and_b32_e32 v13, 0x7fffffff, v12
	v_cmp_gt_u32_e32 vcc, s11, v13
	v_pk_mov_b32 v[10:11], v[8:9], v[8:9] op_sel:[0,1]
	s_and_saveexec_b64 s[0:1], vcc
	s_cbranch_execz .LBB34_126
; %bb.121:                              ;   in Loop: Header=BB34_120 Depth=1
	v_cmp_lt_u32_e32 vcc, s12, v13
	s_mov_b64 s[4:5], 0
                                        ; implicit-def: $vgpr9
	s_and_saveexec_b64 s[6:7], vcc
	s_xor_b64 s[6:7], exec, s[6:7]
	s_cbranch_execnz .LBB34_166
; %bb.122:                              ;   in Loop: Header=BB34_120 Depth=1
	s_or_saveexec_b64 s[6:7], s[6:7]
                                        ; implicit-def: $sgpr8_sgpr9
	s_xor_b64 exec, exec, s[6:7]
	s_cbranch_execnz .LBB34_167
.LBB34_123:                             ;   in Loop: Header=BB34_120 Depth=1
	s_or_b64 exec, exec, s[6:7]
	v_pk_mov_b32 v[10:11], s[8:9], s[8:9] op_sel:[0,1]
	s_and_saveexec_b64 s[6:7], s[4:5]
.LBB34_124:                             ;   in Loop: Header=BB34_120 Depth=1
	v_lshrrev_b32_e32 v10, 24, v12
	v_and_or_b32 v10, v10, s15, v9
.LBB34_125:                             ;   in Loop: Header=BB34_120 Depth=1
	s_or_b64 exec, exec, s[6:7]
.LBB34_126:                             ;   in Loop: Header=BB34_120 Depth=1
	s_or_b64 exec, exec, s[0:1]
	v_and_b32_e32 v2, 0xffff0000, v2
	v_div_scale_f32 v9, s[0:1], v0, v0, v2
	v_rcp_f32_e32 v11, v9
	v_div_scale_f32 v12, vcc, v2, v0, v2
	v_fma_f32 v13, -v9, v11, 1.0
	v_fmac_f32_e32 v11, v13, v11
	v_mul_f32_e32 v13, v12, v11
	v_fma_f32 v14, -v9, v13, v12
	v_fmac_f32_e32 v13, v14, v11
	v_fma_f32 v9, -v9, v13, v12
	v_div_fmas_f32 v9, v9, v11, v13
	v_div_fixup_f32 v2, v9, v0, v2
	v_max_f32_e32 v2, v2, v22
	v_min_f32_e32 v2, v2, v23
	v_and_b32_e32 v9, 0x7fffffff, v2
	v_cmp_gt_u32_e32 vcc, s11, v9
	s_and_saveexec_b64 s[0:1], vcc
	s_cbranch_execz .LBB34_132
; %bb.127:                              ;   in Loop: Header=BB34_120 Depth=1
	v_cmp_lt_u32_e32 vcc, s12, v9
	s_mov_b64 s[4:5], 0
                                        ; implicit-def: $vgpr11
	s_and_saveexec_b64 s[6:7], vcc
	s_xor_b64 s[6:7], exec, s[6:7]
	s_cbranch_execnz .LBB34_168
; %bb.128:                              ;   in Loop: Header=BB34_120 Depth=1
	s_or_saveexec_b64 s[6:7], s[6:7]
                                        ; implicit-def: $sgpr8_sgpr9
	s_xor_b64 exec, exec, s[6:7]
	s_cbranch_execnz .LBB34_169
.LBB34_129:                             ;   in Loop: Header=BB34_120 Depth=1
	s_or_b64 exec, exec, s[6:7]
	v_pk_mov_b32 v[8:9], s[8:9], s[8:9] op_sel:[0,1]
	s_and_saveexec_b64 s[6:7], s[4:5]
.LBB34_130:                             ;   in Loop: Header=BB34_120 Depth=1
	v_lshrrev_b32_e32 v2, 24, v2
	v_and_or_b32 v8, v2, s15, v11
.LBB34_131:                             ;   in Loop: Header=BB34_120 Depth=1
	s_or_b64 exec, exec, s[6:7]
.LBB34_132:                             ;   in Loop: Header=BB34_120 Depth=1
	s_or_b64 exec, exec, s[0:1]
	v_lshlrev_b32_e32 v2, 16, v3
	v_div_scale_f32 v9, s[0:1], v0, v0, v2
	v_rcp_f32_e32 v11, v9
	v_div_scale_f32 v12, vcc, v2, v0, v2
	v_fma_f32 v13, -v9, v11, 1.0
	v_fmac_f32_e32 v11, v13, v11
	v_mul_f32_e32 v13, v12, v11
	v_fma_f32 v14, -v9, v13, v12
	v_fmac_f32_e32 v13, v14, v11
	v_fma_f32 v9, -v9, v13, v12
	v_div_fmas_f32 v9, v9, v11, v13
	v_div_fixup_f32 v2, v9, v0, v2
	v_max_f32_e32 v2, v2, v22
	v_min_f32_e32 v2, v2, v23
	v_mov_b32_e32 v12, 0x80
	v_and_b32_e32 v9, 0x7fffffff, v2
	v_mov_b32_e32 v13, 0
	v_cmp_gt_u32_e32 vcc, s11, v9
	v_pk_mov_b32 v[14:15], v[12:13], v[12:13] op_sel:[0,1]
	s_and_saveexec_b64 s[0:1], vcc
	s_cbranch_execz .LBB34_138
; %bb.133:                              ;   in Loop: Header=BB34_120 Depth=1
	v_cmp_lt_u32_e32 vcc, s12, v9
	s_mov_b64 s[4:5], 0
                                        ; implicit-def: $vgpr9
	s_and_saveexec_b64 s[6:7], vcc
	s_xor_b64 s[6:7], exec, s[6:7]
	s_cbranch_execnz .LBB34_170
; %bb.134:                              ;   in Loop: Header=BB34_120 Depth=1
	s_or_saveexec_b64 s[6:7], s[6:7]
                                        ; implicit-def: $sgpr8_sgpr9
	s_xor_b64 exec, exec, s[6:7]
	s_cbranch_execnz .LBB34_171
.LBB34_135:                             ;   in Loop: Header=BB34_120 Depth=1
	s_or_b64 exec, exec, s[6:7]
	v_pk_mov_b32 v[14:15], s[8:9], s[8:9] op_sel:[0,1]
	s_and_saveexec_b64 s[6:7], s[4:5]
.LBB34_136:                             ;   in Loop: Header=BB34_120 Depth=1
	v_lshrrev_b32_e32 v2, 24, v2
	v_and_or_b32 v14, v2, s15, v9
.LBB34_137:                             ;   in Loop: Header=BB34_120 Depth=1
	s_or_b64 exec, exec, s[6:7]
.LBB34_138:                             ;   in Loop: Header=BB34_120 Depth=1
	s_or_b64 exec, exec, s[0:1]
	v_and_b32_e32 v2, 0xffff0000, v3
	v_div_scale_f32 v3, s[0:1], v0, v0, v2
	v_rcp_f32_e32 v9, v3
	v_div_scale_f32 v11, vcc, v2, v0, v2
	v_fma_f32 v13, -v3, v9, 1.0
	v_fmac_f32_e32 v9, v13, v9
	v_mul_f32_e32 v13, v11, v9
	v_fma_f32 v15, -v3, v13, v11
	v_fmac_f32_e32 v13, v15, v9
	v_fma_f32 v3, -v3, v13, v11
	v_div_fmas_f32 v3, v3, v9, v13
	v_div_fixup_f32 v2, v3, v0, v2
	v_max_f32_e32 v2, v2, v22
	v_min_f32_e32 v2, v2, v23
	v_and_b32_e32 v3, 0x7fffffff, v2
	v_cmp_gt_u32_e32 vcc, s11, v3
	s_and_saveexec_b64 s[0:1], vcc
	s_cbranch_execz .LBB34_144
; %bb.139:                              ;   in Loop: Header=BB34_120 Depth=1
	v_cmp_lt_u32_e32 vcc, s12, v3
	s_mov_b64 s[4:5], 0
                                        ; implicit-def: $vgpr3
	s_and_saveexec_b64 s[6:7], vcc
	s_xor_b64 s[6:7], exec, s[6:7]
	s_cbranch_execnz .LBB34_172
; %bb.140:                              ;   in Loop: Header=BB34_120 Depth=1
	s_or_saveexec_b64 s[6:7], s[6:7]
                                        ; implicit-def: $sgpr8_sgpr9
	s_xor_b64 exec, exec, s[6:7]
	s_cbranch_execnz .LBB34_173
.LBB34_141:                             ;   in Loop: Header=BB34_120 Depth=1
	s_or_b64 exec, exec, s[6:7]
	v_pk_mov_b32 v[12:13], s[8:9], s[8:9] op_sel:[0,1]
	s_and_saveexec_b64 s[6:7], s[4:5]
.LBB34_142:                             ;   in Loop: Header=BB34_120 Depth=1
	v_lshrrev_b32_e32 v2, 24, v2
	v_and_or_b32 v12, v2, s15, v3
.LBB34_143:                             ;   in Loop: Header=BB34_120 Depth=1
	s_or_b64 exec, exec, s[6:7]
.LBB34_144:                             ;   in Loop: Header=BB34_120 Depth=1
	s_or_b64 exec, exec, s[0:1]
	v_lshlrev_b32_e32 v2, 16, v4
	v_div_scale_f32 v3, s[0:1], v0, v0, v2
	v_rcp_f32_e32 v9, v3
	v_div_scale_f32 v11, vcc, v2, v0, v2
	v_mov_b32_e32 v16, 0x80
	v_fma_f32 v13, -v3, v9, 1.0
	v_fmac_f32_e32 v9, v13, v9
	v_mul_f32_e32 v13, v11, v9
	v_fma_f32 v15, -v3, v13, v11
	v_fmac_f32_e32 v13, v15, v9
	v_fma_f32 v3, -v3, v13, v11
	v_div_fmas_f32 v3, v3, v9, v13
	v_div_fixup_f32 v2, v3, v0, v2
	v_max_f32_e32 v2, v2, v22
	v_min_f32_e32 v9, v2, v23
	v_and_b32_e32 v11, 0x7fffffff, v9
	v_mov_b32_e32 v17, 0
	v_cmp_gt_u32_e32 vcc, s11, v11
	v_pk_mov_b32 v[2:3], v[16:17], v[16:17] op_sel:[0,1]
	s_and_saveexec_b64 s[0:1], vcc
	s_cbranch_execz .LBB34_150
; %bb.145:                              ;   in Loop: Header=BB34_120 Depth=1
	v_cmp_lt_u32_e32 vcc, s12, v11
	s_mov_b64 s[4:5], 0
                                        ; implicit-def: $vgpr11
	s_and_saveexec_b64 s[6:7], vcc
	s_xor_b64 s[6:7], exec, s[6:7]
	s_cbranch_execnz .LBB34_174
; %bb.146:                              ;   in Loop: Header=BB34_120 Depth=1
	s_or_saveexec_b64 s[6:7], s[6:7]
                                        ; implicit-def: $sgpr8_sgpr9
	s_xor_b64 exec, exec, s[6:7]
	s_cbranch_execnz .LBB34_175
.LBB34_147:                             ;   in Loop: Header=BB34_120 Depth=1
	s_or_b64 exec, exec, s[6:7]
	v_pk_mov_b32 v[2:3], s[8:9], s[8:9] op_sel:[0,1]
	s_and_saveexec_b64 s[6:7], s[4:5]
.LBB34_148:                             ;   in Loop: Header=BB34_120 Depth=1
	v_lshrrev_b32_e32 v2, 24, v9
	v_and_or_b32 v2, v2, s15, v11
.LBB34_149:                             ;   in Loop: Header=BB34_120 Depth=1
	s_or_b64 exec, exec, s[6:7]
.LBB34_150:                             ;   in Loop: Header=BB34_120 Depth=1
	s_or_b64 exec, exec, s[0:1]
	v_and_b32_e32 v3, 0xffff0000, v4
	v_div_scale_f32 v4, s[0:1], v0, v0, v3
	v_rcp_f32_e32 v9, v4
	v_div_scale_f32 v11, vcc, v3, v0, v3
	v_fma_f32 v13, -v4, v9, 1.0
	v_fmac_f32_e32 v9, v13, v9
	v_mul_f32_e32 v13, v11, v9
	v_fma_f32 v15, -v4, v13, v11
	v_fmac_f32_e32 v13, v15, v9
	v_fma_f32 v4, -v4, v13, v11
	v_div_fmas_f32 v4, v4, v9, v13
	v_div_fixup_f32 v3, v4, v0, v3
	v_max_f32_e32 v3, v3, v22
	v_min_f32_e32 v3, v3, v23
	v_and_b32_e32 v4, 0x7fffffff, v3
	v_cmp_gt_u32_e32 vcc, s11, v4
	s_and_saveexec_b64 s[0:1], vcc
	s_cbranch_execz .LBB34_156
; %bb.151:                              ;   in Loop: Header=BB34_120 Depth=1
	v_cmp_lt_u32_e32 vcc, s12, v4
	s_mov_b64 s[4:5], 0
                                        ; implicit-def: $vgpr4
	s_and_saveexec_b64 s[6:7], vcc
	s_xor_b64 s[6:7], exec, s[6:7]
	s_cbranch_execnz .LBB34_176
; %bb.152:                              ;   in Loop: Header=BB34_120 Depth=1
	s_or_saveexec_b64 s[6:7], s[6:7]
                                        ; implicit-def: $sgpr8_sgpr9
	s_xor_b64 exec, exec, s[6:7]
	s_cbranch_execnz .LBB34_177
.LBB34_153:                             ;   in Loop: Header=BB34_120 Depth=1
	s_or_b64 exec, exec, s[6:7]
	v_pk_mov_b32 v[16:17], s[8:9], s[8:9] op_sel:[0,1]
	s_and_saveexec_b64 s[6:7], s[4:5]
.LBB34_154:                             ;   in Loop: Header=BB34_120 Depth=1
	v_lshrrev_b32_e32 v3, 24, v3
	v_and_or_b32 v16, v3, s15, v4
.LBB34_155:                             ;   in Loop: Header=BB34_120 Depth=1
	s_or_b64 exec, exec, s[6:7]
.LBB34_156:                             ;   in Loop: Header=BB34_120 Depth=1
	s_or_b64 exec, exec, s[0:1]
	v_lshlrev_b32_e32 v3, 16, v5
	v_div_scale_f32 v4, s[0:1], v0, v0, v3
	v_rcp_f32_e32 v9, v4
	v_div_scale_f32 v11, vcc, v3, v0, v3
	v_mov_b32_e32 v20, 0x80
	v_fma_f32 v13, -v4, v9, 1.0
	v_fmac_f32_e32 v9, v13, v9
	v_mul_f32_e32 v13, v11, v9
	v_fma_f32 v15, -v4, v13, v11
	v_fmac_f32_e32 v13, v15, v9
	v_fma_f32 v4, -v4, v13, v11
	v_div_fmas_f32 v4, v4, v9, v13
	v_div_fixup_f32 v3, v4, v0, v3
	v_max_f32_e32 v3, v3, v22
	v_min_f32_e32 v3, v3, v23
	v_and_b32_e32 v4, 0x7fffffff, v3
	v_mov_b32_e32 v21, 0
	v_cmp_gt_u32_e32 vcc, s11, v4
	v_pk_mov_b32 v[18:19], v[20:21], v[20:21] op_sel:[0,1]
	s_and_saveexec_b64 s[0:1], vcc
	s_cbranch_execz .LBB34_162
; %bb.157:                              ;   in Loop: Header=BB34_120 Depth=1
	v_cmp_lt_u32_e32 vcc, s12, v4
	s_mov_b64 s[4:5], 0
                                        ; implicit-def: $vgpr4
	s_and_saveexec_b64 s[6:7], vcc
	s_xor_b64 s[6:7], exec, s[6:7]
	s_cbranch_execnz .LBB34_178
; %bb.158:                              ;   in Loop: Header=BB34_120 Depth=1
	s_or_saveexec_b64 s[6:7], s[6:7]
                                        ; implicit-def: $sgpr8_sgpr9
	s_xor_b64 exec, exec, s[6:7]
	s_cbranch_execnz .LBB34_179
.LBB34_159:                             ;   in Loop: Header=BB34_120 Depth=1
	s_or_b64 exec, exec, s[6:7]
	v_pk_mov_b32 v[18:19], s[8:9], s[8:9] op_sel:[0,1]
	s_and_saveexec_b64 s[6:7], s[4:5]
.LBB34_160:                             ;   in Loop: Header=BB34_120 Depth=1
	v_lshrrev_b32_e32 v3, 24, v3
	v_and_or_b32 v18, v3, s15, v4
.LBB34_161:                             ;   in Loop: Header=BB34_120 Depth=1
	s_or_b64 exec, exec, s[6:7]
.LBB34_162:                             ;   in Loop: Header=BB34_120 Depth=1
	s_or_b64 exec, exec, s[0:1]
	v_and_b32_e32 v3, 0xffff0000, v5
	v_div_scale_f32 v4, s[0:1], v0, v0, v3
	v_rcp_f32_e32 v5, v4
	v_div_scale_f32 v9, vcc, v3, v0, v3
	v_fma_f32 v11, -v4, v5, 1.0
	v_fmac_f32_e32 v5, v11, v5
	v_mul_f32_e32 v11, v9, v5
	v_fma_f32 v13, -v4, v11, v9
	v_fmac_f32_e32 v11, v13, v5
	v_fma_f32 v4, -v4, v11, v9
	v_div_fmas_f32 v4, v4, v5, v11
	v_div_fixup_f32 v3, v4, v0, v3
	v_max_f32_e32 v3, v3, v22
	v_min_f32_e32 v3, v3, v23
	v_and_b32_e32 v4, 0x7fffffff, v3
	v_cmp_gt_u32_e32 vcc, s11, v4
	s_and_saveexec_b64 s[0:1], vcc
	s_cbranch_execz .LBB34_119
; %bb.163:                              ;   in Loop: Header=BB34_120 Depth=1
	v_cmp_lt_u32_e32 vcc, s12, v4
	s_mov_b64 s[4:5], 0
                                        ; implicit-def: $vgpr4
	s_and_saveexec_b64 s[6:7], vcc
	s_xor_b64 s[6:7], exec, s[6:7]
	s_cbranch_execnz .LBB34_180
; %bb.164:                              ;   in Loop: Header=BB34_120 Depth=1
	s_or_saveexec_b64 s[6:7], s[6:7]
                                        ; implicit-def: $sgpr8_sgpr9
	s_xor_b64 exec, exec, s[6:7]
	s_cbranch_execnz .LBB34_181
.LBB34_165:                             ;   in Loop: Header=BB34_120 Depth=1
	s_or_b64 exec, exec, s[6:7]
	v_pk_mov_b32 v[20:21], s[8:9], s[8:9] op_sel:[0,1]
	s_and_saveexec_b64 s[6:7], s[4:5]
	s_cbranch_execz .LBB34_118
	s_branch .LBB34_182
.LBB34_166:                             ;   in Loop: Header=BB34_120 Depth=1
	v_bfe_u32 v9, v12, 20, 1
	v_add3_u32 v9, v12, v9, s13
	s_mov_b64 s[4:5], exec
	v_lshrrev_b32_e32 v9, 20, v9
	s_or_saveexec_b64 s[6:7], s[6:7]
                                        ; implicit-def: $sgpr8_sgpr9
	s_xor_b64 exec, exec, s[6:7]
	s_cbranch_execz .LBB34_123
.LBB34_167:                             ;   in Loop: Header=BB34_120 Depth=1
	v_add_f32_e64 v9, |v12|, s14
	v_and_b32_e32 v9, 0xff, v9
	v_cmp_ne_u32_e32 vcc, 0, v9
	s_andn2_b64 s[4:5], s[4:5], exec
	s_and_b64 s[18:19], vcc, exec
	s_mov_b64 s[8:9], 0
	s_or_b64 s[4:5], s[4:5], s[18:19]
	s_or_b64 exec, exec, s[6:7]
	v_pk_mov_b32 v[10:11], s[8:9], s[8:9] op_sel:[0,1]
	s_and_saveexec_b64 s[6:7], s[4:5]
	s_cbranch_execnz .LBB34_124
	s_branch .LBB34_125
.LBB34_168:                             ;   in Loop: Header=BB34_120 Depth=1
	v_bfe_u32 v8, v2, 20, 1
	v_add3_u32 v8, v2, v8, s13
	s_mov_b64 s[4:5], exec
	v_lshrrev_b32_e32 v11, 20, v8
	s_or_saveexec_b64 s[6:7], s[6:7]
                                        ; implicit-def: $sgpr8_sgpr9
	s_xor_b64 exec, exec, s[6:7]
	s_cbranch_execz .LBB34_129
.LBB34_169:                             ;   in Loop: Header=BB34_120 Depth=1
	v_add_f32_e64 v8, |v2|, s14
	v_and_b32_e32 v11, 0xff, v8
	v_cmp_ne_u32_e32 vcc, 0, v11
	s_andn2_b64 s[4:5], s[4:5], exec
	s_and_b64 s[18:19], vcc, exec
	s_mov_b64 s[8:9], 0
	s_or_b64 s[4:5], s[4:5], s[18:19]
	s_or_b64 exec, exec, s[6:7]
	v_pk_mov_b32 v[8:9], s[8:9], s[8:9] op_sel:[0,1]
	s_and_saveexec_b64 s[6:7], s[4:5]
	s_cbranch_execnz .LBB34_130
	s_branch .LBB34_131
.LBB34_170:                             ;   in Loop: Header=BB34_120 Depth=1
	v_bfe_u32 v9, v2, 20, 1
	v_add3_u32 v9, v2, v9, s13
	s_mov_b64 s[4:5], exec
	v_lshrrev_b32_e32 v9, 20, v9
	s_or_saveexec_b64 s[6:7], s[6:7]
                                        ; implicit-def: $sgpr8_sgpr9
	s_xor_b64 exec, exec, s[6:7]
	s_cbranch_execz .LBB34_135
.LBB34_171:                             ;   in Loop: Header=BB34_120 Depth=1
	v_add_f32_e64 v9, |v2|, s14
	v_and_b32_e32 v9, 0xff, v9
	v_cmp_ne_u32_e32 vcc, 0, v9
	s_andn2_b64 s[4:5], s[4:5], exec
	s_and_b64 s[18:19], vcc, exec
	s_mov_b64 s[8:9], 0
	s_or_b64 s[4:5], s[4:5], s[18:19]
	s_or_b64 exec, exec, s[6:7]
	v_pk_mov_b32 v[14:15], s[8:9], s[8:9] op_sel:[0,1]
	s_and_saveexec_b64 s[6:7], s[4:5]
	s_cbranch_execnz .LBB34_136
	s_branch .LBB34_137
.LBB34_172:                             ;   in Loop: Header=BB34_120 Depth=1
	v_bfe_u32 v3, v2, 20, 1
	v_add3_u32 v3, v2, v3, s13
	s_mov_b64 s[4:5], exec
	v_lshrrev_b32_e32 v3, 20, v3
	s_or_saveexec_b64 s[6:7], s[6:7]
                                        ; implicit-def: $sgpr8_sgpr9
	s_xor_b64 exec, exec, s[6:7]
	s_cbranch_execz .LBB34_141
.LBB34_173:                             ;   in Loop: Header=BB34_120 Depth=1
	v_add_f32_e64 v3, |v2|, s14
	v_and_b32_e32 v3, 0xff, v3
	v_cmp_ne_u32_e32 vcc, 0, v3
	s_andn2_b64 s[4:5], s[4:5], exec
	s_and_b64 s[18:19], vcc, exec
	s_mov_b64 s[8:9], 0
	s_or_b64 s[4:5], s[4:5], s[18:19]
	s_or_b64 exec, exec, s[6:7]
	v_pk_mov_b32 v[12:13], s[8:9], s[8:9] op_sel:[0,1]
	s_and_saveexec_b64 s[6:7], s[4:5]
	s_cbranch_execnz .LBB34_142
	s_branch .LBB34_143
.LBB34_174:                             ;   in Loop: Header=BB34_120 Depth=1
	v_bfe_u32 v2, v9, 20, 1
	v_add3_u32 v2, v9, v2, s13
	s_mov_b64 s[4:5], exec
	v_lshrrev_b32_e32 v11, 20, v2
	s_or_saveexec_b64 s[6:7], s[6:7]
                                        ; implicit-def: $sgpr8_sgpr9
	s_xor_b64 exec, exec, s[6:7]
	s_cbranch_execz .LBB34_147
.LBB34_175:                             ;   in Loop: Header=BB34_120 Depth=1
	v_add_f32_e64 v2, |v9|, s14
	v_and_b32_e32 v11, 0xff, v2
	v_cmp_ne_u32_e32 vcc, 0, v11
	s_andn2_b64 s[4:5], s[4:5], exec
	s_and_b64 s[18:19], vcc, exec
	s_mov_b64 s[8:9], 0
	s_or_b64 s[4:5], s[4:5], s[18:19]
	s_or_b64 exec, exec, s[6:7]
	v_pk_mov_b32 v[2:3], s[8:9], s[8:9] op_sel:[0,1]
	s_and_saveexec_b64 s[6:7], s[4:5]
	s_cbranch_execnz .LBB34_148
	s_branch .LBB34_149
.LBB34_176:                             ;   in Loop: Header=BB34_120 Depth=1
	v_bfe_u32 v4, v3, 20, 1
	v_add3_u32 v4, v3, v4, s13
	s_mov_b64 s[4:5], exec
	v_lshrrev_b32_e32 v4, 20, v4
	s_or_saveexec_b64 s[6:7], s[6:7]
                                        ; implicit-def: $sgpr8_sgpr9
	s_xor_b64 exec, exec, s[6:7]
	s_cbranch_execz .LBB34_153
.LBB34_177:                             ;   in Loop: Header=BB34_120 Depth=1
	v_add_f32_e64 v4, |v3|, s14
	v_and_b32_e32 v4, 0xff, v4
	v_cmp_ne_u32_e32 vcc, 0, v4
	s_andn2_b64 s[4:5], s[4:5], exec
	s_and_b64 s[18:19], vcc, exec
	s_mov_b64 s[8:9], 0
	s_or_b64 s[4:5], s[4:5], s[18:19]
	s_or_b64 exec, exec, s[6:7]
	v_pk_mov_b32 v[16:17], s[8:9], s[8:9] op_sel:[0,1]
	s_and_saveexec_b64 s[6:7], s[4:5]
	s_cbranch_execnz .LBB34_154
	s_branch .LBB34_155
.LBB34_178:                             ;   in Loop: Header=BB34_120 Depth=1
	v_bfe_u32 v4, v3, 20, 1
	v_add3_u32 v4, v3, v4, s13
	s_mov_b64 s[4:5], exec
	v_lshrrev_b32_e32 v4, 20, v4
	s_or_saveexec_b64 s[6:7], s[6:7]
                                        ; implicit-def: $sgpr8_sgpr9
	s_xor_b64 exec, exec, s[6:7]
	s_cbranch_execz .LBB34_159
.LBB34_179:                             ;   in Loop: Header=BB34_120 Depth=1
	v_add_f32_e64 v4, |v3|, s14
	v_and_b32_e32 v4, 0xff, v4
	v_cmp_ne_u32_e32 vcc, 0, v4
	s_andn2_b64 s[4:5], s[4:5], exec
	s_and_b64 s[18:19], vcc, exec
	s_mov_b64 s[8:9], 0
	s_or_b64 s[4:5], s[4:5], s[18:19]
	s_or_b64 exec, exec, s[6:7]
	v_pk_mov_b32 v[18:19], s[8:9], s[8:9] op_sel:[0,1]
	s_and_saveexec_b64 s[6:7], s[4:5]
	s_cbranch_execnz .LBB34_160
	s_branch .LBB34_161
.LBB34_180:                             ;   in Loop: Header=BB34_120 Depth=1
	v_bfe_u32 v4, v3, 20, 1
	v_add3_u32 v4, v3, v4, s13
	s_mov_b64 s[4:5], exec
	v_lshrrev_b32_e32 v4, 20, v4
	s_or_saveexec_b64 s[6:7], s[6:7]
                                        ; implicit-def: $sgpr8_sgpr9
	s_xor_b64 exec, exec, s[6:7]
	s_cbranch_execz .LBB34_165
.LBB34_181:                             ;   in Loop: Header=BB34_120 Depth=1
	v_add_f32_e64 v4, |v3|, s14
	v_and_b32_e32 v4, 0xff, v4
	v_cmp_ne_u32_e32 vcc, 0, v4
	s_andn2_b64 s[4:5], s[4:5], exec
	s_and_b64 s[18:19], vcc, exec
	s_mov_b64 s[8:9], 0
	s_or_b64 s[4:5], s[4:5], s[18:19]
	s_or_b64 exec, exec, s[6:7]
	v_pk_mov_b32 v[20:21], s[8:9], s[8:9] op_sel:[0,1]
	s_and_saveexec_b64 s[6:7], s[4:5]
	s_cbranch_execz .LBB34_118
.LBB34_182:                             ;   in Loop: Header=BB34_120 Depth=1
	v_lshrrev_b32_e32 v3, 24, v3
	v_and_or_b32 v20, v3, s15, v4
	s_branch .LBB34_118
.LBB34_183:
	s_endpgm
.LBB34_184:
	v_bfe_u32 v3, v2, 20, 1
	s_mov_b32 s8, 0x487ffff
	v_add3_u32 v3, v2, v3, s8
	s_mov_b64 s[4:5], exec
	v_lshrrev_b32_e32 v3, 20, v3
	s_or_saveexec_b64 s[6:7], s[6:7]
                                        ; implicit-def: $sgpr8
	s_xor_b64 exec, exec, s[6:7]
	s_cbranch_execz .LBB34_25
.LBB34_185:
	s_mov_b32 s8, 0x46000000
	v_add_f32_e64 v3, |v2|, s8
	v_and_b32_e32 v3, 0xff, v3
	v_cmp_ne_u32_e32 vcc, 0, v3
	s_andn2_b64 s[4:5], s[4:5], exec
	s_and_b64 s[10:11], vcc, exec
	s_mov_b32 s8, 0
	s_or_b64 s[4:5], s[4:5], s[10:11]
	s_or_b64 exec, exec, s[6:7]
	v_mov_b32_e32 v4, s8
	s_and_saveexec_b64 s[6:7], s[4:5]
	s_cbranch_execnz .LBB34_26
	s_branch .LBB34_27
	.section	.rodata,"a",@progbits
	.p2align	6, 0x0
	.amdhsa_kernel _Z33per_token_group_quant_8bit_kernelIN3c108BFloat16ENS0_15Float8_e4m3fnuzELb0ELb1EfEvPKT_PvPT3_iiifffii
		.amdhsa_group_segment_fixed_size 0
		.amdhsa_private_segment_fixed_size 0
		.amdhsa_kernarg_size 56
		.amdhsa_user_sgpr_count 6
		.amdhsa_user_sgpr_private_segment_buffer 1
		.amdhsa_user_sgpr_dispatch_ptr 0
		.amdhsa_user_sgpr_queue_ptr 0
		.amdhsa_user_sgpr_kernarg_segment_ptr 1
		.amdhsa_user_sgpr_dispatch_id 0
		.amdhsa_user_sgpr_flat_scratch_init 0
		.amdhsa_user_sgpr_kernarg_preload_length 0
		.amdhsa_user_sgpr_kernarg_preload_offset 0
		.amdhsa_user_sgpr_private_segment_size 0
		.amdhsa_uses_dynamic_stack 0
		.amdhsa_system_sgpr_private_segment_wavefront_offset 0
		.amdhsa_system_sgpr_workgroup_id_x 1
		.amdhsa_system_sgpr_workgroup_id_y 0
		.amdhsa_system_sgpr_workgroup_id_z 0
		.amdhsa_system_sgpr_workgroup_info 0
		.amdhsa_system_vgpr_workitem_id 0
		.amdhsa_next_free_vgpr 61
		.amdhsa_next_free_sgpr 46
		.amdhsa_accum_offset 64
		.amdhsa_reserve_vcc 1
		.amdhsa_reserve_flat_scratch 0
		.amdhsa_float_round_mode_32 0
		.amdhsa_float_round_mode_16_64 0
		.amdhsa_float_denorm_mode_32 3
		.amdhsa_float_denorm_mode_16_64 3
		.amdhsa_dx10_clamp 1
		.amdhsa_ieee_mode 1
		.amdhsa_fp16_overflow 0
		.amdhsa_tg_split 0
		.amdhsa_exception_fp_ieee_invalid_op 0
		.amdhsa_exception_fp_denorm_src 0
		.amdhsa_exception_fp_ieee_div_zero 0
		.amdhsa_exception_fp_ieee_overflow 0
		.amdhsa_exception_fp_ieee_underflow 0
		.amdhsa_exception_fp_ieee_inexact 0
		.amdhsa_exception_int_div_zero 0
	.end_amdhsa_kernel
	.section	.text._Z33per_token_group_quant_8bit_kernelIN3c108BFloat16ENS0_15Float8_e4m3fnuzELb0ELb1EfEvPKT_PvPT3_iiifffii,"axG",@progbits,_Z33per_token_group_quant_8bit_kernelIN3c108BFloat16ENS0_15Float8_e4m3fnuzELb0ELb1EfEvPKT_PvPT3_iiifffii,comdat
.Lfunc_end34:
	.size	_Z33per_token_group_quant_8bit_kernelIN3c108BFloat16ENS0_15Float8_e4m3fnuzELb0ELb1EfEvPKT_PvPT3_iiifffii, .Lfunc_end34-_Z33per_token_group_quant_8bit_kernelIN3c108BFloat16ENS0_15Float8_e4m3fnuzELb0ELb1EfEvPKT_PvPT3_iiifffii
                                        ; -- End function
	.section	.AMDGPU.csdata,"",@progbits
; Kernel info:
; codeLenInByte = 8672
; NumSgprs: 50
; NumVgprs: 61
; NumAgprs: 0
; TotalNumVgprs: 61
; ScratchSize: 0
; MemoryBound: 0
; FloatMode: 240
; IeeeMode: 1
; LDSByteSize: 0 bytes/workgroup (compile time only)
; SGPRBlocks: 6
; VGPRBlocks: 7
; NumSGPRsForWavesPerEU: 50
; NumVGPRsForWavesPerEU: 61
; AccumOffset: 64
; Occupancy: 8
; WaveLimiterHint : 0
; COMPUTE_PGM_RSRC2:SCRATCH_EN: 0
; COMPUTE_PGM_RSRC2:USER_SGPR: 6
; COMPUTE_PGM_RSRC2:TRAP_HANDLER: 0
; COMPUTE_PGM_RSRC2:TGID_X_EN: 1
; COMPUTE_PGM_RSRC2:TGID_Y_EN: 0
; COMPUTE_PGM_RSRC2:TGID_Z_EN: 0
; COMPUTE_PGM_RSRC2:TIDIG_COMP_CNT: 0
; COMPUTE_PGM_RSRC3_GFX90A:ACCUM_OFFSET: 15
; COMPUTE_PGM_RSRC3_GFX90A:TG_SPLIT: 0
	.section	.text._Z33per_token_group_quant_8bit_kernelIN3c108BFloat16ENS0_15Float8_e4m3fnuzELb0ELb0EfEvPKT_PvPT3_iiifffii,"axG",@progbits,_Z33per_token_group_quant_8bit_kernelIN3c108BFloat16ENS0_15Float8_e4m3fnuzELb0ELb0EfEvPKT_PvPT3_iiifffii,comdat
	.protected	_Z33per_token_group_quant_8bit_kernelIN3c108BFloat16ENS0_15Float8_e4m3fnuzELb0ELb0EfEvPKT_PvPT3_iiifffii ; -- Begin function _Z33per_token_group_quant_8bit_kernelIN3c108BFloat16ENS0_15Float8_e4m3fnuzELb0ELb0EfEvPKT_PvPT3_iiifffii
	.globl	_Z33per_token_group_quant_8bit_kernelIN3c108BFloat16ENS0_15Float8_e4m3fnuzELb0ELb0EfEvPKT_PvPT3_iiifffii
	.p2align	8
	.type	_Z33per_token_group_quant_8bit_kernelIN3c108BFloat16ENS0_15Float8_e4m3fnuzELb0ELb0EfEvPKT_PvPT3_iiifffii,@function
_Z33per_token_group_quant_8bit_kernelIN3c108BFloat16ENS0_15Float8_e4m3fnuzELb0ELb0EfEvPKT_PvPT3_iiifffii: ; @_Z33per_token_group_quant_8bit_kernelIN3c108BFloat16ENS0_15Float8_e4m3fnuzELb0ELb0EfEvPKT_PvPT3_iiifffii
; %bb.0:
	s_load_dword s31, s[4:5], 0x18
	s_load_dwordx4 s[16:19], s[4:5], 0x20
	s_load_dwordx2 s[2:3], s[4:5], 0x0
	v_lshrrev_b32_e32 v4, 4, v0
	v_and_b32_e32 v24, 15, v0
	s_waitcnt lgkmcnt(0)
	s_ashr_i32 s7, s31, 31
	s_mul_i32 s6, s6, s16
	v_add_co_u32_e32 v2, vcc, s6, v4
	v_addc_co_u32_e64 v3, s[0:1], 0, 0, vcc
	v_mul_lo_u32 v0, v3, s31
	v_mul_lo_u32 v1, v2, s7
	v_mad_u64_u32 v[12:13], s[0:1], v2, s31, 0
	v_add3_u32 v13, v13, v1, v0
	v_lshlrev_b64 v[0:1], 1, v[12:13]
	s_and_b32 s6, s31, 7
	v_mov_b32_e32 v6, s3
	v_add_co_u32_e32 v5, vcc, s2, v0
	s_cmp_eq_u32 s6, 0
	v_addc_co_u32_e32 v6, vcc, v6, v1, vcc
	v_mov_b32_e32 v11, 0
	v_and_b32_e32 v10, 15, v5
	s_cselect_b64 s[0:1], -1, 0
	s_cmp_lg_u32 s6, 0
	v_mul_lo_u32 v25, v4, s31
	v_cmp_ne_u64_e32 vcc, 0, v[10:11]
	s_cselect_b64 s[6:7], -1, 0
	v_lshl_add_u32 v8, v25, 1, 0
	s_or_b64 s[6:7], s[6:7], vcc
                                        ; implicit-def: $vgpr9
	s_and_saveexec_b64 s[8:9], s[6:7]
	s_xor_b64 s[6:7], exec, s[8:9]
	s_cbranch_execz .LBB35_12
; %bb.1:
	v_sub_u32_e32 v4, 0, v5
	v_bfe_u32 v4, v4, 1, 3
	v_min_i32_e32 v4, s31, v4
	v_cmp_gt_i32_e32 vcc, v4, v24
	v_mov_b32_e32 v9, s17
	s_and_saveexec_b64 s[8:9], vcc
	s_cbranch_execz .LBB35_3
; %bb.2:
	v_lshlrev_b32_e32 v7, 1, v24
	v_add_co_u32_e32 v10, vcc, v5, v7
	v_addc_co_u32_e32 v11, vcc, 0, v6, vcc
	global_load_ushort v5, v[10:11], off
	v_max_f32_e64 v6, s17, s17
	v_add_u32_e32 v7, v8, v7
	s_waitcnt vmcnt(0)
	v_lshlrev_b32_e32 v9, 16, v5
	v_max_f32_e64 v9, |v9|, |v9|
	v_max_f32_e32 v9, v6, v9
	ds_write_b16 v7, v5
.LBB35_3:
	s_or_b64 exec, exec, s[8:9]
	v_sub_u32_e32 v10, s31, v4
	v_ashrrev_i32_e32 v6, 31, v10
	v_lshrrev_b32_e32 v6, 29, v6
	v_add_u32_e32 v6, v10, v6
	v_ashrrev_i32_e32 v5, 31, v4
	v_ashrrev_i32_e32 v11, 3, v6
	v_cmp_gt_i32_e32 vcc, v11, v24
	v_lshlrev_b32_e32 v14, 1, v4
	v_lshlrev_b64 v[4:5], 1, v[4:5]
	s_and_saveexec_b64 s[8:9], vcc
	s_cbranch_execz .LBB35_7
; %bb.4:
	v_lshlrev_b32_e32 v6, 4, v24
	v_lshl_add_u32 v7, v25, 1, v6
	v_add_co_u32_e32 v6, vcc, v0, v6
	v_add3_u32 v15, v7, v14, 0
	v_addc_co_u32_e32 v7, vcc, 0, v1, vcc
	v_add_co_u32_e32 v6, vcc, v6, v4
	v_addc_co_u32_e32 v7, vcc, v7, v5, vcc
	v_mov_b32_e32 v16, s3
	v_add_co_u32_e32 v6, vcc, s2, v6
	v_addc_co_u32_e32 v7, vcc, v7, v16, vcc
	v_add_co_u32_e32 v6, vcc, 8, v6
	v_addc_co_u32_e32 v7, vcc, 0, v7, vcc
	s_mov_b64 s[10:11], 0
	v_mov_b32_e32 v16, v24
.LBB35_5:                               ; =>This Inner Loop Header: Depth=1
	global_load_dwordx4 v[18:21], v[6:7], off offset:-8
	v_add_co_u32_e32 v6, vcc, 0x100, v6
	v_add_u32_e32 v16, 16, v16
	v_addc_co_u32_e32 v7, vcc, 0, v7, vcc
	v_cmp_ge_i32_e32 vcc, v16, v11
	s_or_b64 s[10:11], vcc, s[10:11]
	s_waitcnt vmcnt(0)
	v_lshlrev_b32_e32 v17, 16, v18
	v_and_b32_e32 v22, 0xffff0000, v18
	v_lshlrev_b32_e32 v23, 16, v19
	v_and_b32_e32 v26, 0xffff0000, v19
	v_max3_f32 v9, v9, |v17|, |v22|
	v_lshlrev_b32_e32 v27, 16, v20
	v_and_b32_e32 v28, 0xffff0000, v20
	v_max3_f32 v9, v9, |v23|, |v26|
	;; [unrolled: 3-line block ×3, first 2 shown]
	ds_write_b128 v15, v[18:21]
	v_add_u32_e32 v15, 0x100, v15
	v_max3_f32 v9, v9, |v29|, |v30|
	s_andn2_b64 exec, exec, s[10:11]
	s_cbranch_execnz .LBB35_5
; %bb.6:
	s_or_b64 exec, exec, s[10:11]
.LBB35_7:
	s_or_b64 exec, exec, s[8:9]
	v_lshl_add_u32 v6, v11, 3, v24
	v_cmp_lt_i32_e32 vcc, v6, v10
	s_and_saveexec_b64 s[8:9], vcc
	s_cbranch_execz .LBB35_11
; %bb.8:
	v_lshlrev_b32_e32 v7, 1, v25
	v_lshlrev_b32_e32 v11, 4, v11
	v_add3_u32 v7, v7, v11, v14
	v_lshlrev_b32_e32 v11, 1, v24
	v_add3_u32 v11, v7, v11, 0
	v_add_co_u32_e32 v4, vcc, v0, v4
	v_ashrrev_i32_e32 v7, 31, v6
	v_addc_co_u32_e32 v5, vcc, v1, v5, vcc
	v_lshlrev_b64 v[0:1], 1, v[6:7]
	v_add_co_u32_e32 v0, vcc, v4, v0
	v_addc_co_u32_e32 v1, vcc, v5, v1, vcc
	v_mov_b32_e32 v4, s3
	v_add_co_u32_e32 v0, vcc, s2, v0
	v_addc_co_u32_e32 v1, vcc, v4, v1, vcc
	s_mov_b64 s[10:11], 0
.LBB35_9:                               ; =>This Inner Loop Header: Depth=1
	global_load_ushort v4, v[0:1], off
	v_add_co_u32_e32 v0, vcc, 32, v0
	v_add_u32_e32 v6, 16, v6
	v_addc_co_u32_e32 v1, vcc, 0, v1, vcc
	v_max_f32_e32 v5, v9, v9
	v_cmp_ge_i32_e32 vcc, v6, v10
	s_or_b64 s[10:11], vcc, s[10:11]
	s_waitcnt vmcnt(0)
	v_lshlrev_b32_e32 v7, 16, v4
	ds_write_b16 v11, v4
	v_max_f32_e64 v4, |v7|, |v7|
	v_add_u32_e32 v11, 32, v11
	v_max_f32_e32 v9, v5, v4
	s_andn2_b64 exec, exec, s[10:11]
	s_cbranch_execnz .LBB35_9
; %bb.10:
	s_or_b64 exec, exec, s[10:11]
.LBB35_11:
	s_or_b64 exec, exec, s[8:9]
                                        ; implicit-def: $vgpr0_vgpr1
.LBB35_12:
	s_andn2_saveexec_b64 s[6:7], s[6:7]
	s_cbranch_execz .LBB35_18
; %bb.13:
	s_ashr_i32 s10, s31, 3
	v_cmp_gt_i32_e32 vcc, s10, v24
	v_mov_b32_e32 v9, s17
	s_and_saveexec_b64 s[8:9], vcc
	s_cbranch_execz .LBB35_17
; %bb.14:
	v_lshlrev_b32_e32 v5, 4, v24
	v_add_co_u32_e32 v0, vcc, v0, v5
	v_lshlrev_b32_e32 v4, 1, v25
	v_addc_co_u32_e32 v1, vcc, 0, v1, vcc
	v_add3_u32 v4, v4, v5, 0
	v_mov_b32_e32 v5, s3
	v_add_co_u32_e32 v0, vcc, s2, v0
	v_addc_co_u32_e32 v1, vcc, v1, v5, vcc
	v_add_co_u32_e32 v0, vcc, 8, v0
	v_addc_co_u32_e32 v1, vcc, 0, v1, vcc
	s_mov_b64 s[2:3], 0
	v_mov_b32_e32 v9, s17
	v_mov_b32_e32 v5, v24
.LBB35_15:                              ; =>This Inner Loop Header: Depth=1
	global_load_dwordx4 v[14:17], v[0:1], off offset:-8
	v_add_co_u32_e32 v0, vcc, 0x100, v0
	v_add_u32_e32 v5, 16, v5
	v_addc_co_u32_e32 v1, vcc, 0, v1, vcc
	v_cmp_le_i32_e32 vcc, s10, v5
	s_or_b64 s[2:3], vcc, s[2:3]
	s_waitcnt vmcnt(0)
	v_lshlrev_b32_e32 v6, 16, v14
	v_and_b32_e32 v7, 0xffff0000, v14
	v_lshlrev_b32_e32 v10, 16, v15
	v_and_b32_e32 v11, 0xffff0000, v15
	v_max3_f32 v6, v9, |v6|, |v7|
	v_lshlrev_b32_e32 v18, 16, v16
	v_and_b32_e32 v19, 0xffff0000, v16
	v_max3_f32 v6, v6, |v10|, |v11|
	;; [unrolled: 3-line block ×3, first 2 shown]
	ds_write_b128 v4, v[14:17]
	v_add_u32_e32 v4, 0x100, v4
	v_max3_f32 v9, v6, |v20|, |v21|
	s_andn2_b64 exec, exec, s[2:3]
	s_cbranch_execnz .LBB35_15
; %bb.16:
	s_or_b64 exec, exec, s[2:3]
.LBB35_17:
	s_or_b64 exec, exec, s[8:9]
.LBB35_18:
	s_or_b64 exec, exec, s[6:7]
	v_mbcnt_lo_u32_b32 v0, -1, 0
	v_mbcnt_hi_u32_b32 v0, -1, v0
	v_and_b32_e32 v4, 0x70, v0
	v_xor_b32_e32 v1, 8, v0
	v_add_u32_e32 v4, 16, v4
	v_cmp_lt_i32_e32 vcc, v1, v4
	v_cndmask_b32_e32 v1, v0, v1, vcc
	v_lshlrev_b32_e32 v1, 2, v1
	ds_bpermute_b32 v1, v1, v9
	v_xor_b32_e32 v6, 4, v0
	v_max_f32_e32 v5, v9, v9
	v_cmp_lt_i32_e32 vcc, v6, v4
	s_load_dwordx2 s[20:21], s[4:5], 0x8
	s_waitcnt lgkmcnt(0)
	v_max_f32_e32 v1, v1, v1
	v_max_f32_e32 v1, v5, v1
	v_cndmask_b32_e32 v5, v0, v6, vcc
	v_lshlrev_b32_e32 v5, 2, v5
	ds_bpermute_b32 v5, v5, v1
	v_xor_b32_e32 v6, 2, v0
	v_cmp_lt_i32_e32 vcc, v6, v4
	s_waitcnt lgkmcnt(0)
	v_max_f32_e32 v5, v5, v5
	v_max_f32_e32 v1, v1, v5
	v_cndmask_b32_e32 v5, v0, v6, vcc
	v_lshlrev_b32_e32 v5, 2, v5
	ds_bpermute_b32 v5, v5, v1
	v_xor_b32_e32 v6, 1, v0
	v_cmp_lt_i32_e32 vcc, v6, v4
	v_cndmask_b32_e32 v0, v0, v6, vcc
	v_lshlrev_b32_e32 v0, 2, v0
	s_waitcnt lgkmcnt(0)
	v_max_f32_e32 v5, v5, v5
	v_max_f32_e32 v1, v1, v5
	ds_bpermute_b32 v0, v0, v1
	s_waitcnt lgkmcnt(0)
	v_max_f32_e32 v0, v0, v0
	v_max_f32_e32 v0, v1, v0
	v_div_scale_f32 v1, s[2:3], s19, s19, v0
	v_rcp_f32_e32 v4, v1
	v_div_scale_f32 v5, vcc, v0, s19, v0
	v_fma_f32 v6, -v1, v4, 1.0
	v_fmac_f32_e32 v4, v6, v4
	v_mul_f32_e32 v6, v5, v4
	v_fma_f32 v7, -v1, v6, v5
	v_fmac_f32_e32 v6, v7, v4
	v_fma_f32 v1, -v1, v6, v5
	v_div_fmas_f32 v1, v1, v4, v6
	v_div_fixup_f32 v0, v1, s19, v0
	v_cmp_eq_u32_e32 vcc, 0, v24
	s_and_saveexec_b64 s[2:3], vcc
	s_cbranch_execz .LBB35_20
; %bb.19:
	s_load_dwordx2 s[4:5], s[4:5], 0x10
	v_lshlrev_b64 v[2:3], 2, v[2:3]
	s_waitcnt lgkmcnt(0)
	v_mov_b32_e32 v1, s5
	v_add_co_u32_e32 v2, vcc, s4, v2
	v_addc_co_u32_e32 v3, vcc, v1, v3, vcc
	global_store_dword v[2:3], v0, off
.LBB35_20:
	s_or_b64 exec, exec, s[2:3]
	v_and_b32_e32 v2, 15, v8
	v_mov_b32_e32 v3, 0
	v_cmp_ne_u64_e32 vcc, 0, v[2:3]
	s_xor_b64 s[0:1], s[0:1], -1
	s_or_b64 s[0:1], s[0:1], vcc
	s_barrier
	s_and_saveexec_b64 s[2:3], s[0:1]
	s_xor_b64 s[22:23], exec, s[2:3]
	s_cbranch_execz .LBB35_115
; %bb.21:
	v_mov_b32_e32 v2, s21
	v_add_co_u32_e32 v1, vcc, s20, v12
	v_addc_co_u32_e32 v30, vcc, v2, v13, vcc
	v_sub_u32_e32 v2, 0, v8
	v_bfe_u32 v2, v2, 1, 3
	v_min_i32_e32 v27, s31, v2
	v_cmp_gt_i32_e32 vcc, v27, v24
	s_and_saveexec_b64 s[0:1], vcc
	s_cbranch_execz .LBB35_29
; %bb.22:
	v_lshl_add_u32 v2, v24, 1, v8
	ds_read_u16 v2, v2
	v_max_f32_e64 v3, s18, s18
	v_max_f32_e64 v4, s19, s19
	s_waitcnt lgkmcnt(0)
	v_lshlrev_b32_e32 v2, 16, v2
	v_div_scale_f32 v5, s[2:3], v0, v0, v2
	v_rcp_f32_e32 v6, v5
	v_div_scale_f32 v7, vcc, v2, v0, v2
	s_mov_b32 s2, 0x43800000
	v_fma_f32 v8, -v5, v6, 1.0
	v_fmac_f32_e32 v6, v8, v6
	v_mul_f32_e32 v8, v7, v6
	v_fma_f32 v9, -v5, v8, v7
	v_fmac_f32_e32 v8, v9, v6
	v_fma_f32 v5, -v5, v8, v7
	v_div_fmas_f32 v5, v5, v6, v8
	v_div_fixup_f32 v2, v5, v0, v2
	v_max_f32_e32 v2, v2, v3
	v_min_f32_e32 v2, v2, v4
	v_and_b32_e32 v3, 0x7fffffff, v2
	v_cmp_gt_u32_e32 vcc, s2, v3
	v_mov_b32_e32 v4, 0x80
	s_and_saveexec_b64 s[2:3], vcc
	s_cbranch_execz .LBB35_28
; %bb.23:
	s_mov_b32 s4, 0x3bffffff
	v_cmp_lt_u32_e32 vcc, s4, v3
	s_mov_b64 s[4:5], 0
                                        ; implicit-def: $vgpr3
	s_and_saveexec_b64 s[6:7], vcc
	s_xor_b64 s[6:7], exec, s[6:7]
	s_cbranch_execnz .LBB35_184
; %bb.24:
	s_or_saveexec_b64 s[6:7], s[6:7]
                                        ; implicit-def: $sgpr8
	s_xor_b64 exec, exec, s[6:7]
	s_cbranch_execnz .LBB35_185
.LBB35_25:
	s_or_b64 exec, exec, s[6:7]
	v_mov_b32_e32 v4, s8
	s_and_saveexec_b64 s[6:7], s[4:5]
.LBB35_26:
	v_lshrrev_b32_e32 v2, 24, v2
	s_movk_i32 s4, 0x80
	v_and_or_b32 v4, v2, s4, v3
.LBB35_27:
	s_or_b64 exec, exec, s[6:7]
.LBB35_28:
	s_or_b64 exec, exec, s[2:3]
	v_add_co_u32_e32 v2, vcc, v1, v24
	v_addc_co_u32_e32 v3, vcc, 0, v30, vcc
	global_store_byte v[2:3], v4, off
.LBB35_29:
	s_or_b64 exec, exec, s[0:1]
	v_sub_u32_e32 v26, s31, v27
	v_ashrrev_i32_e32 v2, 31, v26
	v_lshrrev_b32_e32 v2, 29, v2
	v_add_u32_e32 v2, v26, v2
	v_ashrrev_i32_e32 v31, 3, v2
	v_ashrrev_i32_e32 v28, 31, v27
	v_cmp_gt_i32_e32 vcc, v31, v24
	v_lshlrev_b32_e32 v29, 1, v27
	s_and_saveexec_b64 s[2:3], vcc
	s_cbranch_execz .LBB35_96
; %bb.30:
	v_lshlrev_b32_e32 v2, 4, v24
	v_lshl_add_u32 v2, v25, 1, v2
	v_lshlrev_b32_e32 v3, 1, v27
	v_add3_u32 v32, v2, v3, 0
	v_add_co_u32_e32 v2, vcc, v27, v12
	v_addc_co_u32_e32 v3, vcc, v28, v13, vcc
	v_lshlrev_b32_e32 v4, 3, v24
	v_add_co_u32_e32 v2, vcc, v2, v4
	v_addc_co_u32_e32 v3, vcc, 0, v3, vcc
	v_mov_b32_e32 v4, s21
	v_add_co_u32_e32 v6, vcc, s20, v2
	v_addc_co_u32_e32 v7, vcc, v4, v3, vcc
	s_mov_b64 s[4:5], 0
	v_max_f32_e64 v33, s18, s18
	v_max_f32_e64 v34, s19, s19
	s_mov_b32 s12, 0x43800000
	s_mov_b32 s13, 0x3bffffff
	;; [unrolled: 1-line block ×4, first 2 shown]
	s_movk_i32 s16, 0x80
	s_mov_b32 s17, 0xff00
	s_mov_b32 s24, 0x4020c0c
	v_mov_b32_e32 v35, v24
	s_branch .LBB35_33
.LBB35_31:                              ;   in Loop: Header=BB35_33 Depth=1
	s_or_b64 exec, exec, s[8:9]
.LBB35_32:                              ;   in Loop: Header=BB35_33 Depth=1
	s_or_b64 exec, exec, s[0:1]
	v_lshlrev_b32_e32 v4, 16, v20
	v_lshlrev_b32_e32 v3, 24, v22
	v_and_b32_e32 v4, 0xff0000, v4
	v_or_b32_e32 v3, v3, v4
	v_lshlrev_b32_e32 v4, 8, v18
	v_and_b32_e32 v4, 0xff00, v4
	v_and_b32_e32 v2, 0xff, v2
	v_or3_b32 v3, v3, v4, v2
	v_lshlrev_b32_e32 v2, 16, v16
	v_lshlrev_b32_e32 v4, 8, v8
	v_perm_b32 v2, v14, v2, s24
	v_and_or_b32 v2, v4, s17, v2
	v_or_b32_sdwa v2, v2, v10 dst_sel:DWORD dst_unused:UNUSED_PAD src0_sel:DWORD src1_sel:BYTE_0
	v_add_u32_e32 v35, 16, v35
	global_store_dwordx2 v[6:7], v[2:3], off
	v_add_co_u32_e32 v6, vcc, 0x80, v6
	v_cmp_ge_i32_e64 s[0:1], v35, v31
	v_add_u32_e32 v32, 0x100, v32
	s_or_b64 s[4:5], s[0:1], s[4:5]
	v_addc_co_u32_e32 v7, vcc, 0, v7, vcc
	s_andn2_b64 exec, exec, s[4:5]
	s_cbranch_execz .LBB35_96
.LBB35_33:                              ; =>This Inner Loop Header: Depth=1
	ds_read_b128 v[2:5], v32
	v_mov_b32_e32 v8, 0x80
	v_mov_b32_e32 v9, 0
	s_waitcnt lgkmcnt(0)
	v_lshlrev_b32_e32 v10, 16, v2
	v_div_scale_f32 v11, s[0:1], v0, v0, v10
	v_rcp_f32_e32 v14, v11
	v_div_scale_f32 v15, vcc, v10, v0, v10
	v_fma_f32 v16, -v11, v14, 1.0
	v_fmac_f32_e32 v14, v16, v14
	v_mul_f32_e32 v16, v15, v14
	v_fma_f32 v17, -v11, v16, v15
	v_fmac_f32_e32 v16, v17, v14
	v_fma_f32 v11, -v11, v16, v15
	v_div_fmas_f32 v11, v11, v14, v16
	v_div_fixup_f32 v10, v11, v0, v10
	v_max_f32_e32 v10, v10, v33
	v_min_f32_e32 v14, v10, v34
	v_and_b32_e32 v15, 0x7fffffff, v14
	v_cmp_gt_u32_e32 vcc, s12, v15
	v_pk_mov_b32 v[10:11], v[8:9], v[8:9] op_sel:[0,1]
	s_and_saveexec_b64 s[0:1], vcc
	s_cbranch_execz .LBB35_39
; %bb.34:                               ;   in Loop: Header=BB35_33 Depth=1
	v_cmp_lt_u32_e32 vcc, s13, v15
	s_mov_b64 s[6:7], 0
                                        ; implicit-def: $vgpr9
	s_and_saveexec_b64 s[8:9], vcc
	s_xor_b64 s[8:9], exec, s[8:9]
	s_cbranch_execnz .LBB35_79
; %bb.35:                               ;   in Loop: Header=BB35_33 Depth=1
	s_or_saveexec_b64 s[8:9], s[8:9]
                                        ; implicit-def: $sgpr10_sgpr11
	s_xor_b64 exec, exec, s[8:9]
	s_cbranch_execnz .LBB35_80
.LBB35_36:                              ;   in Loop: Header=BB35_33 Depth=1
	s_or_b64 exec, exec, s[8:9]
	v_pk_mov_b32 v[10:11], s[10:11], s[10:11] op_sel:[0,1]
	s_and_saveexec_b64 s[8:9], s[6:7]
.LBB35_37:                              ;   in Loop: Header=BB35_33 Depth=1
	v_lshrrev_b32_e32 v10, 24, v14
	v_and_or_b32 v10, v10, s16, v9
.LBB35_38:                              ;   in Loop: Header=BB35_33 Depth=1
	s_or_b64 exec, exec, s[8:9]
.LBB35_39:                              ;   in Loop: Header=BB35_33 Depth=1
	s_or_b64 exec, exec, s[0:1]
	v_and_b32_e32 v2, 0xffff0000, v2
	v_div_scale_f32 v9, s[0:1], v0, v0, v2
	v_rcp_f32_e32 v11, v9
	v_div_scale_f32 v14, vcc, v2, v0, v2
	v_fma_f32 v15, -v9, v11, 1.0
	v_fmac_f32_e32 v11, v15, v11
	v_mul_f32_e32 v15, v14, v11
	v_fma_f32 v16, -v9, v15, v14
	v_fmac_f32_e32 v15, v16, v11
	v_fma_f32 v9, -v9, v15, v14
	v_div_fmas_f32 v9, v9, v11, v15
	v_div_fixup_f32 v2, v9, v0, v2
	v_max_f32_e32 v2, v2, v33
	v_min_f32_e32 v2, v2, v34
	v_and_b32_e32 v9, 0x7fffffff, v2
	v_cmp_gt_u32_e32 vcc, s12, v9
	s_and_saveexec_b64 s[0:1], vcc
	s_cbranch_execz .LBB35_45
; %bb.40:                               ;   in Loop: Header=BB35_33 Depth=1
	v_cmp_lt_u32_e32 vcc, s13, v9
	s_mov_b64 s[6:7], 0
                                        ; implicit-def: $vgpr11
	s_and_saveexec_b64 s[8:9], vcc
	s_xor_b64 s[8:9], exec, s[8:9]
	s_cbranch_execnz .LBB35_81
; %bb.41:                               ;   in Loop: Header=BB35_33 Depth=1
	s_or_saveexec_b64 s[8:9], s[8:9]
                                        ; implicit-def: $sgpr10_sgpr11
	s_xor_b64 exec, exec, s[8:9]
	s_cbranch_execnz .LBB35_82
.LBB35_42:                              ;   in Loop: Header=BB35_33 Depth=1
	s_or_b64 exec, exec, s[8:9]
	v_pk_mov_b32 v[8:9], s[10:11], s[10:11] op_sel:[0,1]
	s_and_saveexec_b64 s[8:9], s[6:7]
.LBB35_43:                              ;   in Loop: Header=BB35_33 Depth=1
	v_lshrrev_b32_e32 v2, 24, v2
	v_and_or_b32 v8, v2, s16, v11
.LBB35_44:                              ;   in Loop: Header=BB35_33 Depth=1
	s_or_b64 exec, exec, s[8:9]
.LBB35_45:                              ;   in Loop: Header=BB35_33 Depth=1
	s_or_b64 exec, exec, s[0:1]
	v_lshlrev_b32_e32 v2, 16, v3
	v_div_scale_f32 v9, s[0:1], v0, v0, v2
	v_rcp_f32_e32 v11, v9
	v_div_scale_f32 v14, vcc, v2, v0, v2
	v_fma_f32 v15, -v9, v11, 1.0
	v_fmac_f32_e32 v11, v15, v11
	v_mul_f32_e32 v15, v14, v11
	v_fma_f32 v16, -v9, v15, v14
	v_fmac_f32_e32 v15, v16, v11
	v_fma_f32 v9, -v9, v15, v14
	v_div_fmas_f32 v9, v9, v11, v15
	v_div_fixup_f32 v2, v9, v0, v2
	v_max_f32_e32 v2, v2, v33
	v_min_f32_e32 v2, v2, v34
	v_mov_b32_e32 v14, 0x80
	v_and_b32_e32 v9, 0x7fffffff, v2
	v_mov_b32_e32 v15, 0
	v_cmp_gt_u32_e32 vcc, s12, v9
	v_pk_mov_b32 v[16:17], v[14:15], v[14:15] op_sel:[0,1]
	s_and_saveexec_b64 s[0:1], vcc
	s_cbranch_execz .LBB35_51
; %bb.46:                               ;   in Loop: Header=BB35_33 Depth=1
	v_cmp_lt_u32_e32 vcc, s13, v9
	s_mov_b64 s[6:7], 0
                                        ; implicit-def: $vgpr9
	s_and_saveexec_b64 s[8:9], vcc
	s_xor_b64 s[8:9], exec, s[8:9]
	s_cbranch_execnz .LBB35_83
; %bb.47:                               ;   in Loop: Header=BB35_33 Depth=1
	s_or_saveexec_b64 s[8:9], s[8:9]
                                        ; implicit-def: $sgpr10_sgpr11
	s_xor_b64 exec, exec, s[8:9]
	s_cbranch_execnz .LBB35_84
.LBB35_48:                              ;   in Loop: Header=BB35_33 Depth=1
	s_or_b64 exec, exec, s[8:9]
	v_pk_mov_b32 v[16:17], s[10:11], s[10:11] op_sel:[0,1]
	s_and_saveexec_b64 s[8:9], s[6:7]
.LBB35_49:                              ;   in Loop: Header=BB35_33 Depth=1
	v_lshrrev_b32_e32 v2, 24, v2
	v_and_or_b32 v16, v2, s16, v9
.LBB35_50:                              ;   in Loop: Header=BB35_33 Depth=1
	s_or_b64 exec, exec, s[8:9]
.LBB35_51:                              ;   in Loop: Header=BB35_33 Depth=1
	s_or_b64 exec, exec, s[0:1]
	v_and_b32_e32 v2, 0xffff0000, v3
	v_div_scale_f32 v3, s[0:1], v0, v0, v2
	v_rcp_f32_e32 v9, v3
	v_div_scale_f32 v11, vcc, v2, v0, v2
	v_fma_f32 v15, -v3, v9, 1.0
	v_fmac_f32_e32 v9, v15, v9
	v_mul_f32_e32 v15, v11, v9
	v_fma_f32 v17, -v3, v15, v11
	v_fmac_f32_e32 v15, v17, v9
	v_fma_f32 v3, -v3, v15, v11
	v_div_fmas_f32 v3, v3, v9, v15
	v_div_fixup_f32 v2, v3, v0, v2
	v_max_f32_e32 v2, v2, v33
	v_min_f32_e32 v2, v2, v34
	v_and_b32_e32 v3, 0x7fffffff, v2
	v_cmp_gt_u32_e32 vcc, s12, v3
	s_and_saveexec_b64 s[0:1], vcc
	s_cbranch_execz .LBB35_57
; %bb.52:                               ;   in Loop: Header=BB35_33 Depth=1
	v_cmp_lt_u32_e32 vcc, s13, v3
	s_mov_b64 s[6:7], 0
                                        ; implicit-def: $vgpr3
	s_and_saveexec_b64 s[8:9], vcc
	s_xor_b64 s[8:9], exec, s[8:9]
	s_cbranch_execnz .LBB35_85
; %bb.53:                               ;   in Loop: Header=BB35_33 Depth=1
	s_or_saveexec_b64 s[8:9], s[8:9]
                                        ; implicit-def: $sgpr10_sgpr11
	s_xor_b64 exec, exec, s[8:9]
	s_cbranch_execnz .LBB35_86
.LBB35_54:                              ;   in Loop: Header=BB35_33 Depth=1
	s_or_b64 exec, exec, s[8:9]
	v_pk_mov_b32 v[14:15], s[10:11], s[10:11] op_sel:[0,1]
	s_and_saveexec_b64 s[8:9], s[6:7]
.LBB35_55:                              ;   in Loop: Header=BB35_33 Depth=1
	v_lshrrev_b32_e32 v2, 24, v2
	v_and_or_b32 v14, v2, s16, v3
.LBB35_56:                              ;   in Loop: Header=BB35_33 Depth=1
	s_or_b64 exec, exec, s[8:9]
.LBB35_57:                              ;   in Loop: Header=BB35_33 Depth=1
	s_or_b64 exec, exec, s[0:1]
	v_lshlrev_b32_e32 v2, 16, v4
	v_div_scale_f32 v3, s[0:1], v0, v0, v2
	v_rcp_f32_e32 v9, v3
	v_div_scale_f32 v11, vcc, v2, v0, v2
	v_mov_b32_e32 v18, 0x80
	v_fma_f32 v15, -v3, v9, 1.0
	v_fmac_f32_e32 v9, v15, v9
	v_mul_f32_e32 v15, v11, v9
	v_fma_f32 v17, -v3, v15, v11
	v_fmac_f32_e32 v15, v17, v9
	v_fma_f32 v3, -v3, v15, v11
	v_div_fmas_f32 v3, v3, v9, v15
	v_div_fixup_f32 v2, v3, v0, v2
	v_max_f32_e32 v2, v2, v33
	v_min_f32_e32 v9, v2, v34
	v_and_b32_e32 v11, 0x7fffffff, v9
	v_mov_b32_e32 v19, 0
	v_cmp_gt_u32_e32 vcc, s12, v11
	v_pk_mov_b32 v[2:3], v[18:19], v[18:19] op_sel:[0,1]
	s_and_saveexec_b64 s[0:1], vcc
	s_cbranch_execz .LBB35_63
; %bb.58:                               ;   in Loop: Header=BB35_33 Depth=1
	v_cmp_lt_u32_e32 vcc, s13, v11
	s_mov_b64 s[6:7], 0
                                        ; implicit-def: $vgpr11
	s_and_saveexec_b64 s[8:9], vcc
	s_xor_b64 s[8:9], exec, s[8:9]
	s_cbranch_execnz .LBB35_87
; %bb.59:                               ;   in Loop: Header=BB35_33 Depth=1
	s_or_saveexec_b64 s[8:9], s[8:9]
                                        ; implicit-def: $sgpr10_sgpr11
	s_xor_b64 exec, exec, s[8:9]
	s_cbranch_execnz .LBB35_88
.LBB35_60:                              ;   in Loop: Header=BB35_33 Depth=1
	s_or_b64 exec, exec, s[8:9]
	v_pk_mov_b32 v[2:3], s[10:11], s[10:11] op_sel:[0,1]
	s_and_saveexec_b64 s[8:9], s[6:7]
.LBB35_61:                              ;   in Loop: Header=BB35_33 Depth=1
	v_lshrrev_b32_e32 v2, 24, v9
	v_and_or_b32 v2, v2, s16, v11
.LBB35_62:                              ;   in Loop: Header=BB35_33 Depth=1
	s_or_b64 exec, exec, s[8:9]
.LBB35_63:                              ;   in Loop: Header=BB35_33 Depth=1
	s_or_b64 exec, exec, s[0:1]
	v_and_b32_e32 v3, 0xffff0000, v4
	v_div_scale_f32 v4, s[0:1], v0, v0, v3
	v_rcp_f32_e32 v9, v4
	v_div_scale_f32 v11, vcc, v3, v0, v3
	v_fma_f32 v15, -v4, v9, 1.0
	v_fmac_f32_e32 v9, v15, v9
	v_mul_f32_e32 v15, v11, v9
	v_fma_f32 v17, -v4, v15, v11
	v_fmac_f32_e32 v15, v17, v9
	v_fma_f32 v4, -v4, v15, v11
	v_div_fmas_f32 v4, v4, v9, v15
	v_div_fixup_f32 v3, v4, v0, v3
	v_max_f32_e32 v3, v3, v33
	v_min_f32_e32 v3, v3, v34
	v_and_b32_e32 v4, 0x7fffffff, v3
	v_cmp_gt_u32_e32 vcc, s12, v4
	s_and_saveexec_b64 s[0:1], vcc
	s_cbranch_execz .LBB35_69
; %bb.64:                               ;   in Loop: Header=BB35_33 Depth=1
	v_cmp_lt_u32_e32 vcc, s13, v4
	s_mov_b64 s[6:7], 0
                                        ; implicit-def: $vgpr4
	s_and_saveexec_b64 s[8:9], vcc
	s_xor_b64 s[8:9], exec, s[8:9]
	s_cbranch_execnz .LBB35_89
; %bb.65:                               ;   in Loop: Header=BB35_33 Depth=1
	s_or_saveexec_b64 s[8:9], s[8:9]
                                        ; implicit-def: $sgpr10_sgpr11
	s_xor_b64 exec, exec, s[8:9]
	s_cbranch_execnz .LBB35_90
.LBB35_66:                              ;   in Loop: Header=BB35_33 Depth=1
	s_or_b64 exec, exec, s[8:9]
	v_pk_mov_b32 v[18:19], s[10:11], s[10:11] op_sel:[0,1]
	s_and_saveexec_b64 s[8:9], s[6:7]
.LBB35_67:                              ;   in Loop: Header=BB35_33 Depth=1
	v_lshrrev_b32_e32 v3, 24, v3
	v_and_or_b32 v18, v3, s16, v4
.LBB35_68:                              ;   in Loop: Header=BB35_33 Depth=1
	s_or_b64 exec, exec, s[8:9]
.LBB35_69:                              ;   in Loop: Header=BB35_33 Depth=1
	s_or_b64 exec, exec, s[0:1]
	v_lshlrev_b32_e32 v3, 16, v5
	v_div_scale_f32 v4, s[0:1], v0, v0, v3
	v_rcp_f32_e32 v9, v4
	v_div_scale_f32 v11, vcc, v3, v0, v3
	v_mov_b32_e32 v22, 0x80
	v_fma_f32 v15, -v4, v9, 1.0
	v_fmac_f32_e32 v9, v15, v9
	v_mul_f32_e32 v15, v11, v9
	v_fma_f32 v17, -v4, v15, v11
	v_fmac_f32_e32 v15, v17, v9
	v_fma_f32 v4, -v4, v15, v11
	v_div_fmas_f32 v4, v4, v9, v15
	v_div_fixup_f32 v3, v4, v0, v3
	v_max_f32_e32 v3, v3, v33
	v_min_f32_e32 v3, v3, v34
	v_and_b32_e32 v4, 0x7fffffff, v3
	v_mov_b32_e32 v23, 0
	v_cmp_gt_u32_e32 vcc, s12, v4
	v_pk_mov_b32 v[20:21], v[22:23], v[22:23] op_sel:[0,1]
	s_and_saveexec_b64 s[0:1], vcc
	s_cbranch_execz .LBB35_75
; %bb.70:                               ;   in Loop: Header=BB35_33 Depth=1
	v_cmp_lt_u32_e32 vcc, s13, v4
	s_mov_b64 s[6:7], 0
                                        ; implicit-def: $vgpr4
	s_and_saveexec_b64 s[8:9], vcc
	s_xor_b64 s[8:9], exec, s[8:9]
	s_cbranch_execnz .LBB35_91
; %bb.71:                               ;   in Loop: Header=BB35_33 Depth=1
	s_or_saveexec_b64 s[8:9], s[8:9]
                                        ; implicit-def: $sgpr10_sgpr11
	s_xor_b64 exec, exec, s[8:9]
	s_cbranch_execnz .LBB35_92
.LBB35_72:                              ;   in Loop: Header=BB35_33 Depth=1
	s_or_b64 exec, exec, s[8:9]
	v_pk_mov_b32 v[20:21], s[10:11], s[10:11] op_sel:[0,1]
	s_and_saveexec_b64 s[8:9], s[6:7]
.LBB35_73:                              ;   in Loop: Header=BB35_33 Depth=1
	v_lshrrev_b32_e32 v3, 24, v3
	v_and_or_b32 v20, v3, s16, v4
.LBB35_74:                              ;   in Loop: Header=BB35_33 Depth=1
	s_or_b64 exec, exec, s[8:9]
.LBB35_75:                              ;   in Loop: Header=BB35_33 Depth=1
	s_or_b64 exec, exec, s[0:1]
	v_and_b32_e32 v3, 0xffff0000, v5
	v_div_scale_f32 v4, s[0:1], v0, v0, v3
	v_rcp_f32_e32 v5, v4
	v_div_scale_f32 v9, vcc, v3, v0, v3
	v_fma_f32 v11, -v4, v5, 1.0
	v_fmac_f32_e32 v5, v11, v5
	v_mul_f32_e32 v11, v9, v5
	v_fma_f32 v15, -v4, v11, v9
	v_fmac_f32_e32 v11, v15, v5
	v_fma_f32 v4, -v4, v11, v9
	v_div_fmas_f32 v4, v4, v5, v11
	v_div_fixup_f32 v3, v4, v0, v3
	v_max_f32_e32 v3, v3, v33
	v_min_f32_e32 v3, v3, v34
	v_and_b32_e32 v4, 0x7fffffff, v3
	v_cmp_gt_u32_e32 vcc, s12, v4
	s_and_saveexec_b64 s[0:1], vcc
	s_cbranch_execz .LBB35_32
; %bb.76:                               ;   in Loop: Header=BB35_33 Depth=1
	v_cmp_lt_u32_e32 vcc, s13, v4
	s_mov_b64 s[6:7], 0
                                        ; implicit-def: $vgpr4
	s_and_saveexec_b64 s[8:9], vcc
	s_xor_b64 s[8:9], exec, s[8:9]
	s_cbranch_execnz .LBB35_93
; %bb.77:                               ;   in Loop: Header=BB35_33 Depth=1
	s_or_saveexec_b64 s[8:9], s[8:9]
                                        ; implicit-def: $sgpr10_sgpr11
	s_xor_b64 exec, exec, s[8:9]
	s_cbranch_execnz .LBB35_94
.LBB35_78:                              ;   in Loop: Header=BB35_33 Depth=1
	s_or_b64 exec, exec, s[8:9]
	v_pk_mov_b32 v[22:23], s[10:11], s[10:11] op_sel:[0,1]
	s_and_saveexec_b64 s[8:9], s[6:7]
	s_cbranch_execz .LBB35_31
	s_branch .LBB35_95
.LBB35_79:                              ;   in Loop: Header=BB35_33 Depth=1
	v_bfe_u32 v9, v14, 20, 1
	v_add3_u32 v9, v14, v9, s14
	s_mov_b64 s[6:7], exec
	v_lshrrev_b32_e32 v9, 20, v9
	s_or_saveexec_b64 s[8:9], s[8:9]
                                        ; implicit-def: $sgpr10_sgpr11
	s_xor_b64 exec, exec, s[8:9]
	s_cbranch_execz .LBB35_36
.LBB35_80:                              ;   in Loop: Header=BB35_33 Depth=1
	v_add_f32_e64 v9, |v14|, s15
	v_and_b32_e32 v9, 0xff, v9
	v_cmp_ne_u32_e32 vcc, 0, v9
	s_andn2_b64 s[6:7], s[6:7], exec
	s_and_b64 s[26:27], vcc, exec
	s_mov_b64 s[10:11], 0
	s_or_b64 s[6:7], s[6:7], s[26:27]
	s_or_b64 exec, exec, s[8:9]
	v_pk_mov_b32 v[10:11], s[10:11], s[10:11] op_sel:[0,1]
	s_and_saveexec_b64 s[8:9], s[6:7]
	s_cbranch_execnz .LBB35_37
	s_branch .LBB35_38
.LBB35_81:                              ;   in Loop: Header=BB35_33 Depth=1
	v_bfe_u32 v8, v2, 20, 1
	v_add3_u32 v8, v2, v8, s14
	s_mov_b64 s[6:7], exec
	v_lshrrev_b32_e32 v11, 20, v8
	s_or_saveexec_b64 s[8:9], s[8:9]
                                        ; implicit-def: $sgpr10_sgpr11
	s_xor_b64 exec, exec, s[8:9]
	s_cbranch_execz .LBB35_42
.LBB35_82:                              ;   in Loop: Header=BB35_33 Depth=1
	v_add_f32_e64 v8, |v2|, s15
	v_and_b32_e32 v11, 0xff, v8
	v_cmp_ne_u32_e32 vcc, 0, v11
	s_andn2_b64 s[6:7], s[6:7], exec
	s_and_b64 s[26:27], vcc, exec
	s_mov_b64 s[10:11], 0
	s_or_b64 s[6:7], s[6:7], s[26:27]
	s_or_b64 exec, exec, s[8:9]
	v_pk_mov_b32 v[8:9], s[10:11], s[10:11] op_sel:[0,1]
	s_and_saveexec_b64 s[8:9], s[6:7]
	s_cbranch_execnz .LBB35_43
	s_branch .LBB35_44
.LBB35_83:                              ;   in Loop: Header=BB35_33 Depth=1
	v_bfe_u32 v9, v2, 20, 1
	v_add3_u32 v9, v2, v9, s14
	s_mov_b64 s[6:7], exec
	v_lshrrev_b32_e32 v9, 20, v9
	s_or_saveexec_b64 s[8:9], s[8:9]
                                        ; implicit-def: $sgpr10_sgpr11
	s_xor_b64 exec, exec, s[8:9]
	s_cbranch_execz .LBB35_48
.LBB35_84:                              ;   in Loop: Header=BB35_33 Depth=1
	v_add_f32_e64 v9, |v2|, s15
	v_and_b32_e32 v9, 0xff, v9
	v_cmp_ne_u32_e32 vcc, 0, v9
	s_andn2_b64 s[6:7], s[6:7], exec
	s_and_b64 s[26:27], vcc, exec
	s_mov_b64 s[10:11], 0
	s_or_b64 s[6:7], s[6:7], s[26:27]
	s_or_b64 exec, exec, s[8:9]
	v_pk_mov_b32 v[16:17], s[10:11], s[10:11] op_sel:[0,1]
	s_and_saveexec_b64 s[8:9], s[6:7]
	s_cbranch_execnz .LBB35_49
	s_branch .LBB35_50
.LBB35_85:                              ;   in Loop: Header=BB35_33 Depth=1
	v_bfe_u32 v3, v2, 20, 1
	v_add3_u32 v3, v2, v3, s14
	s_mov_b64 s[6:7], exec
	v_lshrrev_b32_e32 v3, 20, v3
	s_or_saveexec_b64 s[8:9], s[8:9]
                                        ; implicit-def: $sgpr10_sgpr11
	s_xor_b64 exec, exec, s[8:9]
	s_cbranch_execz .LBB35_54
.LBB35_86:                              ;   in Loop: Header=BB35_33 Depth=1
	v_add_f32_e64 v3, |v2|, s15
	v_and_b32_e32 v3, 0xff, v3
	v_cmp_ne_u32_e32 vcc, 0, v3
	s_andn2_b64 s[6:7], s[6:7], exec
	s_and_b64 s[26:27], vcc, exec
	s_mov_b64 s[10:11], 0
	s_or_b64 s[6:7], s[6:7], s[26:27]
	s_or_b64 exec, exec, s[8:9]
	v_pk_mov_b32 v[14:15], s[10:11], s[10:11] op_sel:[0,1]
	s_and_saveexec_b64 s[8:9], s[6:7]
	s_cbranch_execnz .LBB35_55
	s_branch .LBB35_56
.LBB35_87:                              ;   in Loop: Header=BB35_33 Depth=1
	v_bfe_u32 v2, v9, 20, 1
	v_add3_u32 v2, v9, v2, s14
	s_mov_b64 s[6:7], exec
	v_lshrrev_b32_e32 v11, 20, v2
	s_or_saveexec_b64 s[8:9], s[8:9]
                                        ; implicit-def: $sgpr10_sgpr11
	s_xor_b64 exec, exec, s[8:9]
	s_cbranch_execz .LBB35_60
.LBB35_88:                              ;   in Loop: Header=BB35_33 Depth=1
	v_add_f32_e64 v2, |v9|, s15
	v_and_b32_e32 v11, 0xff, v2
	v_cmp_ne_u32_e32 vcc, 0, v11
	s_andn2_b64 s[6:7], s[6:7], exec
	s_and_b64 s[26:27], vcc, exec
	s_mov_b64 s[10:11], 0
	s_or_b64 s[6:7], s[6:7], s[26:27]
	s_or_b64 exec, exec, s[8:9]
	v_pk_mov_b32 v[2:3], s[10:11], s[10:11] op_sel:[0,1]
	s_and_saveexec_b64 s[8:9], s[6:7]
	s_cbranch_execnz .LBB35_61
	s_branch .LBB35_62
.LBB35_89:                              ;   in Loop: Header=BB35_33 Depth=1
	v_bfe_u32 v4, v3, 20, 1
	v_add3_u32 v4, v3, v4, s14
	s_mov_b64 s[6:7], exec
	v_lshrrev_b32_e32 v4, 20, v4
	s_or_saveexec_b64 s[8:9], s[8:9]
                                        ; implicit-def: $sgpr10_sgpr11
	s_xor_b64 exec, exec, s[8:9]
	s_cbranch_execz .LBB35_66
.LBB35_90:                              ;   in Loop: Header=BB35_33 Depth=1
	v_add_f32_e64 v4, |v3|, s15
	v_and_b32_e32 v4, 0xff, v4
	v_cmp_ne_u32_e32 vcc, 0, v4
	s_andn2_b64 s[6:7], s[6:7], exec
	s_and_b64 s[26:27], vcc, exec
	s_mov_b64 s[10:11], 0
	s_or_b64 s[6:7], s[6:7], s[26:27]
	s_or_b64 exec, exec, s[8:9]
	v_pk_mov_b32 v[18:19], s[10:11], s[10:11] op_sel:[0,1]
	s_and_saveexec_b64 s[8:9], s[6:7]
	s_cbranch_execnz .LBB35_67
	s_branch .LBB35_68
.LBB35_91:                              ;   in Loop: Header=BB35_33 Depth=1
	v_bfe_u32 v4, v3, 20, 1
	v_add3_u32 v4, v3, v4, s14
	s_mov_b64 s[6:7], exec
	v_lshrrev_b32_e32 v4, 20, v4
	s_or_saveexec_b64 s[8:9], s[8:9]
                                        ; implicit-def: $sgpr10_sgpr11
	s_xor_b64 exec, exec, s[8:9]
	s_cbranch_execz .LBB35_72
.LBB35_92:                              ;   in Loop: Header=BB35_33 Depth=1
	v_add_f32_e64 v4, |v3|, s15
	v_and_b32_e32 v4, 0xff, v4
	v_cmp_ne_u32_e32 vcc, 0, v4
	s_andn2_b64 s[6:7], s[6:7], exec
	s_and_b64 s[26:27], vcc, exec
	s_mov_b64 s[10:11], 0
	s_or_b64 s[6:7], s[6:7], s[26:27]
	s_or_b64 exec, exec, s[8:9]
	v_pk_mov_b32 v[20:21], s[10:11], s[10:11] op_sel:[0,1]
	s_and_saveexec_b64 s[8:9], s[6:7]
	s_cbranch_execnz .LBB35_73
	s_branch .LBB35_74
.LBB35_93:                              ;   in Loop: Header=BB35_33 Depth=1
	v_bfe_u32 v4, v3, 20, 1
	v_add3_u32 v4, v3, v4, s14
	s_mov_b64 s[6:7], exec
	v_lshrrev_b32_e32 v4, 20, v4
	s_or_saveexec_b64 s[8:9], s[8:9]
                                        ; implicit-def: $sgpr10_sgpr11
	s_xor_b64 exec, exec, s[8:9]
	s_cbranch_execz .LBB35_78
.LBB35_94:                              ;   in Loop: Header=BB35_33 Depth=1
	v_add_f32_e64 v4, |v3|, s15
	v_and_b32_e32 v4, 0xff, v4
	v_cmp_ne_u32_e32 vcc, 0, v4
	s_andn2_b64 s[6:7], s[6:7], exec
	s_and_b64 s[26:27], vcc, exec
	s_mov_b64 s[10:11], 0
	s_or_b64 s[6:7], s[6:7], s[26:27]
	s_or_b64 exec, exec, s[8:9]
	v_pk_mov_b32 v[22:23], s[10:11], s[10:11] op_sel:[0,1]
	s_and_saveexec_b64 s[8:9], s[6:7]
	s_cbranch_execz .LBB35_31
.LBB35_95:                              ;   in Loop: Header=BB35_33 Depth=1
	v_lshrrev_b32_e32 v3, 24, v3
	v_and_or_b32 v22, v3, s16, v4
	s_branch .LBB35_31
.LBB35_96:
	s_or_b64 exec, exec, s[2:3]
	v_lshlrev_b32_e32 v4, 3, v31
	v_add_u32_e32 v2, v4, v24
	v_cmp_lt_i32_e32 vcc, v2, v26
	s_and_saveexec_b64 s[24:25], vcc
	s_cbranch_execz .LBB35_114
; %bb.97:
	v_add_u32_e32 v3, 16, v2
	v_max_i32_e32 v5, v3, v26
	v_xad_u32 v5, v24, -1, v5
	v_sub_u32_e32 v4, v5, v4
	v_cmp_lt_u32_e32 vcc, 47, v4
	s_mov_b64 s[0:1], 0
                                        ; implicit-def: $vgpr20
	s_and_saveexec_b64 s[2:3], vcc
	s_xor_b64 s[26:27], exec, s[2:3]
	s_cbranch_execnz .LBB35_100
; %bb.98:
	s_andn2_saveexec_b64 s[2:3], s[26:27]
	s_cbranch_execnz .LBB35_103
.LBB35_99:
	s_or_b64 exec, exec, s[2:3]
	s_and_b64 exec, exec, s[0:1]
	s_cbranch_execnz .LBB35_104
	s_branch .LBB35_114
.LBB35_100:
	v_lshrrev_b32_e32 v4, 4, v4
	v_lshlrev_b32_e32 v20, 1, v25
	v_lshlrev_b32_e32 v8, 4, v31
	;; [unrolled: 1-line block ×3, first 2 shown]
	v_add_u32_e32 v21, 1, v4
	v_add_u32_e32 v5, 48, v2
	;; [unrolled: 1-line block ×3, first 2 shown]
	v_add3_u32 v8, v20, v8, v29
	v_lshlrev_b32_e32 v9, 1, v24
	v_add_co_u32_e32 v23, vcc, v1, v27
	v_and_b32_e32 v22, 0x1ffffffc, v21
	s_mov_b32 s0, s18
	s_mov_b32 s1, s18
	;; [unrolled: 1-line block ×8, first 2 shown]
	v_add3_u32 v24, v8, v9, 0
	v_pk_mov_b32 v[10:11], v[4:5], v[4:5] op_sel:[0,1]
	v_addc_co_u32_e32 v30, vcc, v30, v28, vcc
	v_mov_b32_e32 v1, v0
	v_mov_b32_e32 v6, v0
	;; [unrolled: 1-line block ×3, first 2 shown]
	s_mov_b64 s[28:29], 0
	v_max_f32_e64 v25, s3, s3
	v_max_f32_e64 v31, s2, s2
	;; [unrolled: 1-line block ×8, first 2 shown]
	s_mov_b32 s33, 0x43800000
	s_brev_b32 s34, 60
	s_mov_b32 s35, 0x487ffff
	s_mov_b32 s30, 0x46000000
	s_movk_i32 s36, 0x80
	v_mov_b32_e32 v38, 0xffffff80
	v_mov_b32_e32 v39, 0
	;; [unrolled: 1-line block ×3, first 2 shown]
	v_pk_mov_b32 v[8:9], v[2:3], v[2:3] op_sel:[0,1]
.LBB35_101:                             ; =>This Inner Loop Header: Depth=1
	ds_read_u16 v41, v24
	ds_read_u16 v42, v24 offset:32
	ds_read_u16 v43, v24 offset:64
	;; [unrolled: 1-line block ×3, first 2 shown]
	v_ashrrev_i32_e32 v3, 31, v11
	v_ashrrev_i32_e32 v15, 31, v10
	;; [unrolled: 1-line block ×4, first 2 shown]
	v_add_co_u32_e32 v4, vcc, v23, v9
	v_add_co_u32_e64 v14, s[0:1], v23, v10
	v_add_co_u32_e64 v16, s[2:3], v23, v11
	;; [unrolled: 1-line block ×3, first 2 shown]
	s_waitcnt lgkmcnt(3)
	v_lshlrev_b32_e32 v41, 16, v41
	v_addc_co_u32_e64 v19, s[4:5], v30, v17, s[4:5]
	v_addc_co_u32_e32 v5, vcc, v30, v5, vcc
	v_addc_co_u32_e64 v15, vcc, v30, v15, s[0:1]
	v_addc_co_u32_e64 v17, vcc, v30, v3, s[2:3]
	s_waitcnt lgkmcnt(0)
	v_lshlrev_b32_e32 v3, 16, v44
	v_lshlrev_b32_e32 v42, 16, v42
	v_div_scale_f32 v44, s[0:1], v0, v0, v41
	v_lshlrev_b32_e32 v43, 16, v43
	v_div_scale_f32 v46, s[0:1], v1, v1, v42
	v_div_scale_f32 v50, s[4:5], v7, v7, v3
	v_rcp_f32_e32 v51, v44
	v_div_scale_f32 v48, s[2:3], v6, v6, v43
	v_rcp_f32_e32 v52, v46
	v_rcp_f32_e32 v54, v50
	;; [unrolled: 1-line block ×3, first 2 shown]
	v_fma_f32 v55, -v44, v51, 1.0
	v_div_scale_f32 v45, vcc, v41, v0, v41
	v_fma_f32 v56, -v46, v52, 1.0
	v_fmac_f32_e32 v51, v55, v51
	v_fma_f32 v55, -v50, v54, 1.0
	v_div_scale_f32 v47, s[0:1], v42, v1, v42
	v_fma_f32 v57, -v48, v53, 1.0
	v_fmac_f32_e32 v52, v56, v52
	v_fmac_f32_e32 v54, v55, v54
	v_mul_f32_e32 v55, v45, v51
	v_fmac_f32_e32 v53, v57, v53
	v_mul_f32_e32 v56, v47, v52
	v_fma_f32 v57, -v44, v55, v45
	v_div_scale_f32 v49, s[2:3], v43, v6, v43
	v_fmac_f32_e32 v55, v57, v51
	v_fma_f32 v57, -v46, v56, v47
	v_fmac_f32_e32 v56, v57, v52
	v_mul_f32_e32 v57, v49, v53
	v_fma_f32 v58, -v48, v57, v49
	v_fmac_f32_e32 v57, v58, v53
	v_div_scale_f32 v58, s[4:5], v3, v7, v3
	v_mul_f32_e32 v59, v58, v54
	v_fma_f32 v44, -v44, v55, v45
	v_fma_f32 v60, -v50, v59, v58
	v_fma_f32 v45, -v46, v56, v47
	v_div_fmas_f32 v44, v44, v51, v55
	s_mov_b64 vcc, s[0:1]
	v_fmac_f32_e32 v59, v60, v54
	v_fma_f32 v46, -v48, v57, v49
	v_div_fixup_f32 v41, v44, v0, v41
	v_div_fmas_f32 v44, v45, v52, v56
	s_mov_b64 vcc, s[2:3]
	v_fma_f32 v47, -v50, v59, v58
	v_div_fixup_f32 v42, v44, v1, v42
	v_div_fmas_f32 v44, v46, v53, v57
	v_max_f32_e32 v41, v41, v33
	s_mov_b64 vcc, s[4:5]
	v_div_fixup_f32 v43, v44, v6, v43
	v_div_fmas_f32 v44, v47, v54, v59
	v_max_f32_e32 v42, v42, v32
	v_min_f32_e32 v41, v41, v34
	v_div_fixup_f32 v3, v44, v7, v3
	v_max_f32_e32 v43, v43, v31
	v_min_f32_e32 v45, v42, v35
	v_and_b32_e32 v42, 0x7fffffff, v41
	v_bfe_u32 v44, v41, 20, 1
	v_lshrrev_b32_e32 v46, 24, v41
	v_max_f32_e32 v3, v3, v25
	v_min_f32_e32 v47, v43, v36
	v_and_b32_e32 v43, 0x7fffffff, v45
	v_cmp_gt_u32_e32 vcc, s33, v42
	v_cmp_gt_u32_e64 s[0:1], s34, v42
	v_bfe_u32 v48, v45, 20, 1
	v_add3_u32 v41, v41, v44, s35
	v_min_f32_e32 v3, v3, v37
	v_and_b32_e32 v44, 0x7fffffff, v47
	v_cmp_gt_u32_e64 s[2:3], s33, v43
	v_cmp_gt_u32_e64 s[4:5], s34, v43
	v_bfe_u32 v50, v47, 20, 1
	v_add3_u32 v48, v45, v48, s35
	v_lshrrev_b32_e32 v41, 20, v41
	v_pk_add_f32 v[42:43], v[42:43], s[30:31] op_sel_hi:[1,0]
	s_xor_b64 s[8:9], s[0:1], vcc
	v_lshrrev_b32_e32 v49, 24, v45
	v_lshrrev_b32_e32 v51, 24, v47
	v_and_b32_e32 v45, 0x7fffffff, v3
	v_cmp_gt_u32_e64 s[10:11], s33, v44
	v_cmp_gt_u32_e64 s[12:13], s34, v44
	v_bfe_u32 v52, v3, 20, 1
	v_add3_u32 v47, v47, v50, s35
	v_lshrrev_b32_e32 v48, 20, v48
	v_cndmask_b32_e64 v41, v42, v41, s[8:9]
	s_xor_b64 s[8:9], s[4:5], s[2:3]
	v_cmp_eq_u32_sdwa s[38:39], v43, v39 src0_sel:BYTE_0 src1_sel:DWORD
	v_cmp_eq_u32_sdwa s[40:41], v42, v39 src0_sel:BYTE_0 src1_sel:DWORD
	v_lshrrev_b32_e32 v42, 24, v3
	v_cmp_gt_u32_e64 s[14:15], s33, v45
	v_cmp_gt_u32_e64 s[16:17], s34, v45
	v_add3_u32 v3, v3, v52, s35
	v_lshrrev_b32_e32 v47, 20, v47
	v_pk_add_f32 v[44:45], v[44:45], s[30:31] op_sel_hi:[1,0]
	v_cndmask_b32_e64 v43, v43, v48, s[8:9]
	v_and_or_b32 v41, v46, s36, v41
	s_xor_b64 s[8:9], s[12:13], s[10:11]
	v_lshrrev_b32_e32 v3, 20, v3
	v_cmp_eq_u32_sdwa s[44:45], v44, v39 src0_sel:BYTE_0 src1_sel:DWORD
	v_cndmask_b32_e64 v44, v44, v47, s[8:9]
	v_cndmask_b32_e32 v41, v38, v41, vcc
	s_xor_b64 vcc, s[16:17], s[14:15]
	s_and_b64 s[0:1], s[0:1], s[40:41]
	v_cndmask_b32_e32 v3, v45, v3, vcc
	v_and_or_b32 v44, v51, s36, v44
	v_cmp_eq_u32_sdwa s[42:43], v45, v39 src0_sel:BYTE_0 src1_sel:DWORD
	v_and_or_b32 v43, v49, s36, v43
	v_cndmask_b32_e64 v41, v41, 0, s[0:1]
	v_and_or_b32 v3, v42, s36, v3
	v_cndmask_b32_e64 v42, v38, v44, s[10:11]
	s_and_b64 s[0:1], s[12:13], s[44:45]
	v_cndmask_b32_e64 v43, v38, v43, s[2:3]
	s_and_b64 s[2:3], s[4:5], s[38:39]
	global_store_byte v[18:19], v41, off
	v_cndmask_b32_e64 v3, v38, v3, s[14:15]
	v_cndmask_b32_e64 v18, v42, 0, s[0:1]
	s_and_b64 s[0:1], s[16:17], s[42:43]
	v_cndmask_b32_e64 v43, v43, 0, s[2:3]
	v_cndmask_b32_e64 v3, v3, 0, s[0:1]
	v_add_u32_e32 v40, -4, v40
	v_lshlrev_b16_e32 v19, 8, v43
	v_lshlrev_b16_e32 v3, 8, v3
	v_cmp_eq_u32_e64 s[6:7], 0, v40
	v_lshrrev_b32_e32 v19, 8, v19
	v_or_b32_sdwa v3, v18, v3 dst_sel:DWORD dst_unused:UNUSED_PAD src0_sel:BYTE_0 src1_sel:DWORD
	v_add_u32_e32 v11, 64, v11
	v_add_u32_e32 v10, 64, v10
	;; [unrolled: 1-line block ×5, first 2 shown]
	s_or_b64 s[28:29], s[6:7], s[28:29]
	global_store_byte v[4:5], v19, off
	global_store_byte v[14:15], v3, off
	v_lshrrev_b32_e32 v3, 8, v3
	global_store_byte v[16:17], v3, off
	s_andn2_b64 exec, exec, s[28:29]
	s_cbranch_execnz .LBB35_101
; %bb.102:
	s_or_b64 exec, exec, s[28:29]
	v_cmp_ne_u32_e32 vcc, v21, v22
	v_lshl_add_u32 v2, v22, 4, v2
	s_and_b64 s[0:1], vcc, exec
                                        ; implicit-def: $vgpr25
	s_andn2_saveexec_b64 s[2:3], s[26:27]
	s_cbranch_execz .LBB35_99
.LBB35_103:
	v_lshlrev_b32_e32 v20, 1, v25
	s_or_b64 s[0:1], s[0:1], exec
	s_or_b64 exec, exec, s[2:3]
	s_and_b64 exec, exec, s[0:1]
	s_cbranch_execz .LBB35_114
.LBB35_104:
	v_add_co_u32_e32 v3, vcc, v27, v12
	v_addc_co_u32_e32 v4, vcc, v28, v13, vcc
	v_ashrrev_i32_e32 v5, 31, v2
	v_add_co_u32_e32 v3, vcc, v3, v2
	v_addc_co_u32_e32 v5, vcc, v4, v5, vcc
	v_lshl_add_u32 v1, v2, 1, v20
	v_mov_b32_e32 v6, s21
	v_add_co_u32_e32 v4, vcc, s20, v3
	v_add3_u32 v1, v1, v29, 0
	v_addc_co_u32_e32 v5, vcc, v6, v5, vcc
	s_mov_b64 s[0:1], 0
	v_max_f32_e64 v3, s18, s18
	v_max_f32_e64 v6, s19, s19
	s_mov_b32 s8, 0x43800000
	s_mov_b32 s9, 0x3bffffff
	s_mov_b32 s10, 0x487ffff
	s_mov_b32 s11, 0x46000000
	s_movk_i32 s12, 0x80
	s_branch .LBB35_107
.LBB35_105:                             ;   in Loop: Header=BB35_107 Depth=1
	s_or_b64 exec, exec, s[6:7]
.LBB35_106:                             ;   in Loop: Header=BB35_107 Depth=1
	s_or_b64 exec, exec, s[2:3]
	v_add_u32_e32 v2, 16, v2
	v_cmp_ge_i32_e32 vcc, v2, v26
	global_store_byte v[4:5], v9, off
	s_or_b64 s[0:1], vcc, s[0:1]
	v_add_co_u32_e32 v4, vcc, 16, v4
	v_add_u32_e32 v1, 32, v1
	v_addc_co_u32_e32 v5, vcc, 0, v5, vcc
	s_andn2_b64 exec, exec, s[0:1]
	s_cbranch_execz .LBB35_114
.LBB35_107:                             ; =>This Inner Loop Header: Depth=1
	ds_read_u16 v7, v1
	s_waitcnt lgkmcnt(0)
	v_lshlrev_b32_e32 v7, 16, v7
	v_div_scale_f32 v8, s[2:3], v0, v0, v7
	v_rcp_f32_e32 v9, v8
	v_div_scale_f32 v10, vcc, v7, v0, v7
	v_fma_f32 v11, -v8, v9, 1.0
	v_fmac_f32_e32 v9, v11, v9
	v_mul_f32_e32 v11, v10, v9
	v_fma_f32 v12, -v8, v11, v10
	v_fmac_f32_e32 v11, v12, v9
	v_fma_f32 v8, -v8, v11, v10
	v_div_fmas_f32 v8, v8, v9, v11
	v_div_fixup_f32 v7, v8, v0, v7
	v_max_f32_e32 v7, v7, v3
	v_min_f32_e32 v7, v7, v6
	v_and_b32_e32 v8, 0x7fffffff, v7
	v_cmp_gt_u32_e32 vcc, s8, v8
	v_mov_b32_e32 v9, 0x80
	s_and_saveexec_b64 s[2:3], vcc
	s_cbranch_execz .LBB35_106
; %bb.108:                              ;   in Loop: Header=BB35_107 Depth=1
	v_cmp_lt_u32_e32 vcc, s9, v8
	s_mov_b64 s[4:5], 0
                                        ; implicit-def: $vgpr8
	s_and_saveexec_b64 s[6:7], vcc
	s_xor_b64 s[6:7], exec, s[6:7]
	s_cbranch_execnz .LBB35_111
; %bb.109:                              ;   in Loop: Header=BB35_107 Depth=1
	s_or_saveexec_b64 s[6:7], s[6:7]
                                        ; implicit-def: $sgpr13
	s_xor_b64 exec, exec, s[6:7]
	s_cbranch_execnz .LBB35_112
.LBB35_110:                             ;   in Loop: Header=BB35_107 Depth=1
	s_or_b64 exec, exec, s[6:7]
	v_mov_b32_e32 v9, s13
	s_and_saveexec_b64 s[6:7], s[4:5]
	s_cbranch_execz .LBB35_105
	s_branch .LBB35_113
.LBB35_111:                             ;   in Loop: Header=BB35_107 Depth=1
	v_bfe_u32 v8, v7, 20, 1
	v_add3_u32 v8, v7, v8, s10
	s_mov_b64 s[4:5], exec
	v_lshrrev_b32_e32 v8, 20, v8
	s_or_saveexec_b64 s[6:7], s[6:7]
                                        ; implicit-def: $sgpr13
	s_xor_b64 exec, exec, s[6:7]
	s_cbranch_execz .LBB35_110
.LBB35_112:                             ;   in Loop: Header=BB35_107 Depth=1
	v_add_f32_e64 v8, |v7|, s11
	v_and_b32_e32 v8, 0xff, v8
	v_cmp_ne_u32_e32 vcc, 0, v8
	s_andn2_b64 s[4:5], s[4:5], exec
	s_and_b64 s[14:15], vcc, exec
	s_mov_b32 s13, 0
	s_or_b64 s[4:5], s[4:5], s[14:15]
	s_or_b64 exec, exec, s[6:7]
	v_mov_b32_e32 v9, s13
	s_and_saveexec_b64 s[6:7], s[4:5]
	s_cbranch_execz .LBB35_105
.LBB35_113:                             ;   in Loop: Header=BB35_107 Depth=1
	v_lshrrev_b32_e32 v7, 24, v7
	v_and_or_b32 v9, v7, s12, v8
	s_branch .LBB35_105
.LBB35_114:
	s_or_b64 exec, exec, s[24:25]
                                        ; implicit-def: $vgpr24
                                        ; implicit-def: $vgpr0
                                        ; implicit-def: $vgpr25
                                        ; implicit-def: $vgpr12_vgpr13
.LBB35_115:
	s_andn2_saveexec_b64 s[0:1], s[22:23]
	s_cbranch_execz .LBB35_183
; %bb.116:
	s_ashr_i32 s10, s31, 3
	v_cmp_gt_i32_e32 vcc, s10, v24
	s_and_saveexec_b64 s[0:1], vcc
	s_cbranch_execz .LBB35_183
; %bb.117:
	v_lshlrev_b32_e32 v1, 1, v25
	v_lshlrev_b32_e32 v2, 4, v24
	v_add3_u32 v1, v1, v2, 0
	v_lshlrev_b32_e32 v2, 3, v24
	v_add_co_u32_e32 v2, vcc, v12, v2
	v_addc_co_u32_e32 v3, vcc, 0, v13, vcc
	v_mov_b32_e32 v4, s21
	v_add_co_u32_e32 v6, vcc, s20, v2
	v_addc_co_u32_e32 v7, vcc, v4, v3, vcc
	s_mov_b64 s[2:3], 0
	v_max_f32_e64 v22, s18, s18
	v_max_f32_e64 v23, s19, s19
	s_mov_b32 s11, 0x43800000
	s_mov_b32 s12, 0x3bffffff
	;; [unrolled: 1-line block ×4, first 2 shown]
	s_movk_i32 s15, 0x80
	s_mov_b32 s16, 0xff00
	s_mov_b32 s17, 0x4020c0c
	s_branch .LBB35_120
.LBB35_118:                             ;   in Loop: Header=BB35_120 Depth=1
	s_or_b64 exec, exec, s[6:7]
.LBB35_119:                             ;   in Loop: Header=BB35_120 Depth=1
	s_or_b64 exec, exec, s[0:1]
	v_lshlrev_b32_e32 v4, 16, v18
	v_lshlrev_b32_e32 v3, 24, v20
	v_and_b32_e32 v4, 0xff0000, v4
	v_or_b32_e32 v3, v3, v4
	v_lshlrev_b32_e32 v4, 8, v16
	v_and_b32_e32 v4, 0xff00, v4
	v_and_b32_e32 v2, 0xff, v2
	v_or3_b32 v3, v3, v4, v2
	v_lshlrev_b32_e32 v2, 16, v14
	v_lshlrev_b32_e32 v4, 8, v8
	v_perm_b32 v2, v12, v2, s17
	v_and_or_b32 v2, v4, s16, v2
	v_or_b32_sdwa v2, v2, v10 dst_sel:DWORD dst_unused:UNUSED_PAD src0_sel:DWORD src1_sel:BYTE_0
	v_add_u32_e32 v24, 16, v24
	global_store_dwordx2 v[6:7], v[2:3], off
	v_add_co_u32_e32 v6, vcc, 0x80, v6
	v_cmp_le_i32_e64 s[0:1], s10, v24
	v_add_u32_e32 v1, 0x100, v1
	s_or_b64 s[2:3], s[0:1], s[2:3]
	v_addc_co_u32_e32 v7, vcc, 0, v7, vcc
	s_andn2_b64 exec, exec, s[2:3]
	s_cbranch_execz .LBB35_183
.LBB35_120:                             ; =>This Inner Loop Header: Depth=1
	ds_read_b128 v[2:5], v1
	v_mov_b32_e32 v8, 0x80
	v_mov_b32_e32 v9, 0
	s_waitcnt lgkmcnt(0)
	v_lshlrev_b32_e32 v10, 16, v2
	v_div_scale_f32 v11, s[0:1], v0, v0, v10
	v_rcp_f32_e32 v12, v11
	v_div_scale_f32 v13, vcc, v10, v0, v10
	v_fma_f32 v14, -v11, v12, 1.0
	v_fmac_f32_e32 v12, v14, v12
	v_mul_f32_e32 v14, v13, v12
	v_fma_f32 v15, -v11, v14, v13
	v_fmac_f32_e32 v14, v15, v12
	v_fma_f32 v11, -v11, v14, v13
	v_div_fmas_f32 v11, v11, v12, v14
	v_div_fixup_f32 v10, v11, v0, v10
	v_max_f32_e32 v10, v10, v22
	v_min_f32_e32 v12, v10, v23
	v_and_b32_e32 v13, 0x7fffffff, v12
	v_cmp_gt_u32_e32 vcc, s11, v13
	v_pk_mov_b32 v[10:11], v[8:9], v[8:9] op_sel:[0,1]
	s_and_saveexec_b64 s[0:1], vcc
	s_cbranch_execz .LBB35_126
; %bb.121:                              ;   in Loop: Header=BB35_120 Depth=1
	v_cmp_lt_u32_e32 vcc, s12, v13
	s_mov_b64 s[4:5], 0
                                        ; implicit-def: $vgpr9
	s_and_saveexec_b64 s[6:7], vcc
	s_xor_b64 s[6:7], exec, s[6:7]
	s_cbranch_execnz .LBB35_166
; %bb.122:                              ;   in Loop: Header=BB35_120 Depth=1
	s_or_saveexec_b64 s[6:7], s[6:7]
                                        ; implicit-def: $sgpr8_sgpr9
	s_xor_b64 exec, exec, s[6:7]
	s_cbranch_execnz .LBB35_167
.LBB35_123:                             ;   in Loop: Header=BB35_120 Depth=1
	s_or_b64 exec, exec, s[6:7]
	v_pk_mov_b32 v[10:11], s[8:9], s[8:9] op_sel:[0,1]
	s_and_saveexec_b64 s[6:7], s[4:5]
.LBB35_124:                             ;   in Loop: Header=BB35_120 Depth=1
	v_lshrrev_b32_e32 v10, 24, v12
	v_and_or_b32 v10, v10, s15, v9
.LBB35_125:                             ;   in Loop: Header=BB35_120 Depth=1
	s_or_b64 exec, exec, s[6:7]
.LBB35_126:                             ;   in Loop: Header=BB35_120 Depth=1
	s_or_b64 exec, exec, s[0:1]
	v_and_b32_e32 v2, 0xffff0000, v2
	v_div_scale_f32 v9, s[0:1], v0, v0, v2
	v_rcp_f32_e32 v11, v9
	v_div_scale_f32 v12, vcc, v2, v0, v2
	v_fma_f32 v13, -v9, v11, 1.0
	v_fmac_f32_e32 v11, v13, v11
	v_mul_f32_e32 v13, v12, v11
	v_fma_f32 v14, -v9, v13, v12
	v_fmac_f32_e32 v13, v14, v11
	v_fma_f32 v9, -v9, v13, v12
	v_div_fmas_f32 v9, v9, v11, v13
	v_div_fixup_f32 v2, v9, v0, v2
	v_max_f32_e32 v2, v2, v22
	v_min_f32_e32 v2, v2, v23
	v_and_b32_e32 v9, 0x7fffffff, v2
	v_cmp_gt_u32_e32 vcc, s11, v9
	s_and_saveexec_b64 s[0:1], vcc
	s_cbranch_execz .LBB35_132
; %bb.127:                              ;   in Loop: Header=BB35_120 Depth=1
	v_cmp_lt_u32_e32 vcc, s12, v9
	s_mov_b64 s[4:5], 0
                                        ; implicit-def: $vgpr11
	s_and_saveexec_b64 s[6:7], vcc
	s_xor_b64 s[6:7], exec, s[6:7]
	s_cbranch_execnz .LBB35_168
; %bb.128:                              ;   in Loop: Header=BB35_120 Depth=1
	s_or_saveexec_b64 s[6:7], s[6:7]
                                        ; implicit-def: $sgpr8_sgpr9
	s_xor_b64 exec, exec, s[6:7]
	s_cbranch_execnz .LBB35_169
.LBB35_129:                             ;   in Loop: Header=BB35_120 Depth=1
	s_or_b64 exec, exec, s[6:7]
	v_pk_mov_b32 v[8:9], s[8:9], s[8:9] op_sel:[0,1]
	s_and_saveexec_b64 s[6:7], s[4:5]
.LBB35_130:                             ;   in Loop: Header=BB35_120 Depth=1
	v_lshrrev_b32_e32 v2, 24, v2
	v_and_or_b32 v8, v2, s15, v11
.LBB35_131:                             ;   in Loop: Header=BB35_120 Depth=1
	s_or_b64 exec, exec, s[6:7]
.LBB35_132:                             ;   in Loop: Header=BB35_120 Depth=1
	s_or_b64 exec, exec, s[0:1]
	v_lshlrev_b32_e32 v2, 16, v3
	v_div_scale_f32 v9, s[0:1], v0, v0, v2
	v_rcp_f32_e32 v11, v9
	v_div_scale_f32 v12, vcc, v2, v0, v2
	v_fma_f32 v13, -v9, v11, 1.0
	v_fmac_f32_e32 v11, v13, v11
	v_mul_f32_e32 v13, v12, v11
	v_fma_f32 v14, -v9, v13, v12
	v_fmac_f32_e32 v13, v14, v11
	v_fma_f32 v9, -v9, v13, v12
	v_div_fmas_f32 v9, v9, v11, v13
	v_div_fixup_f32 v2, v9, v0, v2
	v_max_f32_e32 v2, v2, v22
	v_min_f32_e32 v2, v2, v23
	v_mov_b32_e32 v12, 0x80
	v_and_b32_e32 v9, 0x7fffffff, v2
	v_mov_b32_e32 v13, 0
	v_cmp_gt_u32_e32 vcc, s11, v9
	v_pk_mov_b32 v[14:15], v[12:13], v[12:13] op_sel:[0,1]
	s_and_saveexec_b64 s[0:1], vcc
	s_cbranch_execz .LBB35_138
; %bb.133:                              ;   in Loop: Header=BB35_120 Depth=1
	v_cmp_lt_u32_e32 vcc, s12, v9
	s_mov_b64 s[4:5], 0
                                        ; implicit-def: $vgpr9
	s_and_saveexec_b64 s[6:7], vcc
	s_xor_b64 s[6:7], exec, s[6:7]
	s_cbranch_execnz .LBB35_170
; %bb.134:                              ;   in Loop: Header=BB35_120 Depth=1
	s_or_saveexec_b64 s[6:7], s[6:7]
                                        ; implicit-def: $sgpr8_sgpr9
	s_xor_b64 exec, exec, s[6:7]
	s_cbranch_execnz .LBB35_171
.LBB35_135:                             ;   in Loop: Header=BB35_120 Depth=1
	s_or_b64 exec, exec, s[6:7]
	v_pk_mov_b32 v[14:15], s[8:9], s[8:9] op_sel:[0,1]
	s_and_saveexec_b64 s[6:7], s[4:5]
.LBB35_136:                             ;   in Loop: Header=BB35_120 Depth=1
	v_lshrrev_b32_e32 v2, 24, v2
	v_and_or_b32 v14, v2, s15, v9
.LBB35_137:                             ;   in Loop: Header=BB35_120 Depth=1
	s_or_b64 exec, exec, s[6:7]
.LBB35_138:                             ;   in Loop: Header=BB35_120 Depth=1
	s_or_b64 exec, exec, s[0:1]
	v_and_b32_e32 v2, 0xffff0000, v3
	v_div_scale_f32 v3, s[0:1], v0, v0, v2
	v_rcp_f32_e32 v9, v3
	v_div_scale_f32 v11, vcc, v2, v0, v2
	v_fma_f32 v13, -v3, v9, 1.0
	v_fmac_f32_e32 v9, v13, v9
	v_mul_f32_e32 v13, v11, v9
	v_fma_f32 v15, -v3, v13, v11
	v_fmac_f32_e32 v13, v15, v9
	v_fma_f32 v3, -v3, v13, v11
	v_div_fmas_f32 v3, v3, v9, v13
	v_div_fixup_f32 v2, v3, v0, v2
	v_max_f32_e32 v2, v2, v22
	v_min_f32_e32 v2, v2, v23
	v_and_b32_e32 v3, 0x7fffffff, v2
	v_cmp_gt_u32_e32 vcc, s11, v3
	s_and_saveexec_b64 s[0:1], vcc
	s_cbranch_execz .LBB35_144
; %bb.139:                              ;   in Loop: Header=BB35_120 Depth=1
	v_cmp_lt_u32_e32 vcc, s12, v3
	s_mov_b64 s[4:5], 0
                                        ; implicit-def: $vgpr3
	s_and_saveexec_b64 s[6:7], vcc
	s_xor_b64 s[6:7], exec, s[6:7]
	s_cbranch_execnz .LBB35_172
; %bb.140:                              ;   in Loop: Header=BB35_120 Depth=1
	s_or_saveexec_b64 s[6:7], s[6:7]
                                        ; implicit-def: $sgpr8_sgpr9
	s_xor_b64 exec, exec, s[6:7]
	s_cbranch_execnz .LBB35_173
.LBB35_141:                             ;   in Loop: Header=BB35_120 Depth=1
	s_or_b64 exec, exec, s[6:7]
	v_pk_mov_b32 v[12:13], s[8:9], s[8:9] op_sel:[0,1]
	s_and_saveexec_b64 s[6:7], s[4:5]
.LBB35_142:                             ;   in Loop: Header=BB35_120 Depth=1
	v_lshrrev_b32_e32 v2, 24, v2
	v_and_or_b32 v12, v2, s15, v3
.LBB35_143:                             ;   in Loop: Header=BB35_120 Depth=1
	s_or_b64 exec, exec, s[6:7]
.LBB35_144:                             ;   in Loop: Header=BB35_120 Depth=1
	s_or_b64 exec, exec, s[0:1]
	v_lshlrev_b32_e32 v2, 16, v4
	v_div_scale_f32 v3, s[0:1], v0, v0, v2
	v_rcp_f32_e32 v9, v3
	v_div_scale_f32 v11, vcc, v2, v0, v2
	v_mov_b32_e32 v16, 0x80
	v_fma_f32 v13, -v3, v9, 1.0
	v_fmac_f32_e32 v9, v13, v9
	v_mul_f32_e32 v13, v11, v9
	v_fma_f32 v15, -v3, v13, v11
	v_fmac_f32_e32 v13, v15, v9
	v_fma_f32 v3, -v3, v13, v11
	v_div_fmas_f32 v3, v3, v9, v13
	v_div_fixup_f32 v2, v3, v0, v2
	v_max_f32_e32 v2, v2, v22
	v_min_f32_e32 v9, v2, v23
	v_and_b32_e32 v11, 0x7fffffff, v9
	v_mov_b32_e32 v17, 0
	v_cmp_gt_u32_e32 vcc, s11, v11
	v_pk_mov_b32 v[2:3], v[16:17], v[16:17] op_sel:[0,1]
	s_and_saveexec_b64 s[0:1], vcc
	s_cbranch_execz .LBB35_150
; %bb.145:                              ;   in Loop: Header=BB35_120 Depth=1
	v_cmp_lt_u32_e32 vcc, s12, v11
	s_mov_b64 s[4:5], 0
                                        ; implicit-def: $vgpr11
	s_and_saveexec_b64 s[6:7], vcc
	s_xor_b64 s[6:7], exec, s[6:7]
	s_cbranch_execnz .LBB35_174
; %bb.146:                              ;   in Loop: Header=BB35_120 Depth=1
	s_or_saveexec_b64 s[6:7], s[6:7]
                                        ; implicit-def: $sgpr8_sgpr9
	s_xor_b64 exec, exec, s[6:7]
	s_cbranch_execnz .LBB35_175
.LBB35_147:                             ;   in Loop: Header=BB35_120 Depth=1
	s_or_b64 exec, exec, s[6:7]
	v_pk_mov_b32 v[2:3], s[8:9], s[8:9] op_sel:[0,1]
	s_and_saveexec_b64 s[6:7], s[4:5]
.LBB35_148:                             ;   in Loop: Header=BB35_120 Depth=1
	v_lshrrev_b32_e32 v2, 24, v9
	v_and_or_b32 v2, v2, s15, v11
.LBB35_149:                             ;   in Loop: Header=BB35_120 Depth=1
	s_or_b64 exec, exec, s[6:7]
.LBB35_150:                             ;   in Loop: Header=BB35_120 Depth=1
	s_or_b64 exec, exec, s[0:1]
	v_and_b32_e32 v3, 0xffff0000, v4
	v_div_scale_f32 v4, s[0:1], v0, v0, v3
	v_rcp_f32_e32 v9, v4
	v_div_scale_f32 v11, vcc, v3, v0, v3
	v_fma_f32 v13, -v4, v9, 1.0
	v_fmac_f32_e32 v9, v13, v9
	v_mul_f32_e32 v13, v11, v9
	v_fma_f32 v15, -v4, v13, v11
	v_fmac_f32_e32 v13, v15, v9
	v_fma_f32 v4, -v4, v13, v11
	v_div_fmas_f32 v4, v4, v9, v13
	v_div_fixup_f32 v3, v4, v0, v3
	v_max_f32_e32 v3, v3, v22
	v_min_f32_e32 v3, v3, v23
	v_and_b32_e32 v4, 0x7fffffff, v3
	v_cmp_gt_u32_e32 vcc, s11, v4
	s_and_saveexec_b64 s[0:1], vcc
	s_cbranch_execz .LBB35_156
; %bb.151:                              ;   in Loop: Header=BB35_120 Depth=1
	v_cmp_lt_u32_e32 vcc, s12, v4
	s_mov_b64 s[4:5], 0
                                        ; implicit-def: $vgpr4
	s_and_saveexec_b64 s[6:7], vcc
	s_xor_b64 s[6:7], exec, s[6:7]
	s_cbranch_execnz .LBB35_176
; %bb.152:                              ;   in Loop: Header=BB35_120 Depth=1
	s_or_saveexec_b64 s[6:7], s[6:7]
                                        ; implicit-def: $sgpr8_sgpr9
	s_xor_b64 exec, exec, s[6:7]
	s_cbranch_execnz .LBB35_177
.LBB35_153:                             ;   in Loop: Header=BB35_120 Depth=1
	s_or_b64 exec, exec, s[6:7]
	v_pk_mov_b32 v[16:17], s[8:9], s[8:9] op_sel:[0,1]
	s_and_saveexec_b64 s[6:7], s[4:5]
.LBB35_154:                             ;   in Loop: Header=BB35_120 Depth=1
	v_lshrrev_b32_e32 v3, 24, v3
	v_and_or_b32 v16, v3, s15, v4
.LBB35_155:                             ;   in Loop: Header=BB35_120 Depth=1
	s_or_b64 exec, exec, s[6:7]
.LBB35_156:                             ;   in Loop: Header=BB35_120 Depth=1
	s_or_b64 exec, exec, s[0:1]
	v_lshlrev_b32_e32 v3, 16, v5
	v_div_scale_f32 v4, s[0:1], v0, v0, v3
	v_rcp_f32_e32 v9, v4
	v_div_scale_f32 v11, vcc, v3, v0, v3
	v_mov_b32_e32 v20, 0x80
	v_fma_f32 v13, -v4, v9, 1.0
	v_fmac_f32_e32 v9, v13, v9
	v_mul_f32_e32 v13, v11, v9
	v_fma_f32 v15, -v4, v13, v11
	v_fmac_f32_e32 v13, v15, v9
	v_fma_f32 v4, -v4, v13, v11
	v_div_fmas_f32 v4, v4, v9, v13
	v_div_fixup_f32 v3, v4, v0, v3
	v_max_f32_e32 v3, v3, v22
	v_min_f32_e32 v3, v3, v23
	v_and_b32_e32 v4, 0x7fffffff, v3
	v_mov_b32_e32 v21, 0
	v_cmp_gt_u32_e32 vcc, s11, v4
	v_pk_mov_b32 v[18:19], v[20:21], v[20:21] op_sel:[0,1]
	s_and_saveexec_b64 s[0:1], vcc
	s_cbranch_execz .LBB35_162
; %bb.157:                              ;   in Loop: Header=BB35_120 Depth=1
	v_cmp_lt_u32_e32 vcc, s12, v4
	s_mov_b64 s[4:5], 0
                                        ; implicit-def: $vgpr4
	s_and_saveexec_b64 s[6:7], vcc
	s_xor_b64 s[6:7], exec, s[6:7]
	s_cbranch_execnz .LBB35_178
; %bb.158:                              ;   in Loop: Header=BB35_120 Depth=1
	s_or_saveexec_b64 s[6:7], s[6:7]
                                        ; implicit-def: $sgpr8_sgpr9
	s_xor_b64 exec, exec, s[6:7]
	s_cbranch_execnz .LBB35_179
.LBB35_159:                             ;   in Loop: Header=BB35_120 Depth=1
	s_or_b64 exec, exec, s[6:7]
	v_pk_mov_b32 v[18:19], s[8:9], s[8:9] op_sel:[0,1]
	s_and_saveexec_b64 s[6:7], s[4:5]
.LBB35_160:                             ;   in Loop: Header=BB35_120 Depth=1
	v_lshrrev_b32_e32 v3, 24, v3
	v_and_or_b32 v18, v3, s15, v4
.LBB35_161:                             ;   in Loop: Header=BB35_120 Depth=1
	s_or_b64 exec, exec, s[6:7]
.LBB35_162:                             ;   in Loop: Header=BB35_120 Depth=1
	s_or_b64 exec, exec, s[0:1]
	v_and_b32_e32 v3, 0xffff0000, v5
	v_div_scale_f32 v4, s[0:1], v0, v0, v3
	v_rcp_f32_e32 v5, v4
	v_div_scale_f32 v9, vcc, v3, v0, v3
	v_fma_f32 v11, -v4, v5, 1.0
	v_fmac_f32_e32 v5, v11, v5
	v_mul_f32_e32 v11, v9, v5
	v_fma_f32 v13, -v4, v11, v9
	v_fmac_f32_e32 v11, v13, v5
	v_fma_f32 v4, -v4, v11, v9
	v_div_fmas_f32 v4, v4, v5, v11
	v_div_fixup_f32 v3, v4, v0, v3
	v_max_f32_e32 v3, v3, v22
	v_min_f32_e32 v3, v3, v23
	v_and_b32_e32 v4, 0x7fffffff, v3
	v_cmp_gt_u32_e32 vcc, s11, v4
	s_and_saveexec_b64 s[0:1], vcc
	s_cbranch_execz .LBB35_119
; %bb.163:                              ;   in Loop: Header=BB35_120 Depth=1
	v_cmp_lt_u32_e32 vcc, s12, v4
	s_mov_b64 s[4:5], 0
                                        ; implicit-def: $vgpr4
	s_and_saveexec_b64 s[6:7], vcc
	s_xor_b64 s[6:7], exec, s[6:7]
	s_cbranch_execnz .LBB35_180
; %bb.164:                              ;   in Loop: Header=BB35_120 Depth=1
	s_or_saveexec_b64 s[6:7], s[6:7]
                                        ; implicit-def: $sgpr8_sgpr9
	s_xor_b64 exec, exec, s[6:7]
	s_cbranch_execnz .LBB35_181
.LBB35_165:                             ;   in Loop: Header=BB35_120 Depth=1
	s_or_b64 exec, exec, s[6:7]
	v_pk_mov_b32 v[20:21], s[8:9], s[8:9] op_sel:[0,1]
	s_and_saveexec_b64 s[6:7], s[4:5]
	s_cbranch_execz .LBB35_118
	s_branch .LBB35_182
.LBB35_166:                             ;   in Loop: Header=BB35_120 Depth=1
	v_bfe_u32 v9, v12, 20, 1
	v_add3_u32 v9, v12, v9, s13
	s_mov_b64 s[4:5], exec
	v_lshrrev_b32_e32 v9, 20, v9
	s_or_saveexec_b64 s[6:7], s[6:7]
                                        ; implicit-def: $sgpr8_sgpr9
	s_xor_b64 exec, exec, s[6:7]
	s_cbranch_execz .LBB35_123
.LBB35_167:                             ;   in Loop: Header=BB35_120 Depth=1
	v_add_f32_e64 v9, |v12|, s14
	v_and_b32_e32 v9, 0xff, v9
	v_cmp_ne_u32_e32 vcc, 0, v9
	s_andn2_b64 s[4:5], s[4:5], exec
	s_and_b64 s[18:19], vcc, exec
	s_mov_b64 s[8:9], 0
	s_or_b64 s[4:5], s[4:5], s[18:19]
	s_or_b64 exec, exec, s[6:7]
	v_pk_mov_b32 v[10:11], s[8:9], s[8:9] op_sel:[0,1]
	s_and_saveexec_b64 s[6:7], s[4:5]
	s_cbranch_execnz .LBB35_124
	s_branch .LBB35_125
.LBB35_168:                             ;   in Loop: Header=BB35_120 Depth=1
	v_bfe_u32 v8, v2, 20, 1
	v_add3_u32 v8, v2, v8, s13
	s_mov_b64 s[4:5], exec
	v_lshrrev_b32_e32 v11, 20, v8
	s_or_saveexec_b64 s[6:7], s[6:7]
                                        ; implicit-def: $sgpr8_sgpr9
	s_xor_b64 exec, exec, s[6:7]
	s_cbranch_execz .LBB35_129
.LBB35_169:                             ;   in Loop: Header=BB35_120 Depth=1
	v_add_f32_e64 v8, |v2|, s14
	v_and_b32_e32 v11, 0xff, v8
	v_cmp_ne_u32_e32 vcc, 0, v11
	s_andn2_b64 s[4:5], s[4:5], exec
	s_and_b64 s[18:19], vcc, exec
	s_mov_b64 s[8:9], 0
	s_or_b64 s[4:5], s[4:5], s[18:19]
	s_or_b64 exec, exec, s[6:7]
	v_pk_mov_b32 v[8:9], s[8:9], s[8:9] op_sel:[0,1]
	s_and_saveexec_b64 s[6:7], s[4:5]
	s_cbranch_execnz .LBB35_130
	s_branch .LBB35_131
.LBB35_170:                             ;   in Loop: Header=BB35_120 Depth=1
	v_bfe_u32 v9, v2, 20, 1
	v_add3_u32 v9, v2, v9, s13
	s_mov_b64 s[4:5], exec
	v_lshrrev_b32_e32 v9, 20, v9
	s_or_saveexec_b64 s[6:7], s[6:7]
                                        ; implicit-def: $sgpr8_sgpr9
	s_xor_b64 exec, exec, s[6:7]
	s_cbranch_execz .LBB35_135
.LBB35_171:                             ;   in Loop: Header=BB35_120 Depth=1
	v_add_f32_e64 v9, |v2|, s14
	v_and_b32_e32 v9, 0xff, v9
	v_cmp_ne_u32_e32 vcc, 0, v9
	s_andn2_b64 s[4:5], s[4:5], exec
	s_and_b64 s[18:19], vcc, exec
	s_mov_b64 s[8:9], 0
	s_or_b64 s[4:5], s[4:5], s[18:19]
	s_or_b64 exec, exec, s[6:7]
	v_pk_mov_b32 v[14:15], s[8:9], s[8:9] op_sel:[0,1]
	s_and_saveexec_b64 s[6:7], s[4:5]
	s_cbranch_execnz .LBB35_136
	s_branch .LBB35_137
.LBB35_172:                             ;   in Loop: Header=BB35_120 Depth=1
	v_bfe_u32 v3, v2, 20, 1
	v_add3_u32 v3, v2, v3, s13
	s_mov_b64 s[4:5], exec
	v_lshrrev_b32_e32 v3, 20, v3
	s_or_saveexec_b64 s[6:7], s[6:7]
                                        ; implicit-def: $sgpr8_sgpr9
	s_xor_b64 exec, exec, s[6:7]
	s_cbranch_execz .LBB35_141
.LBB35_173:                             ;   in Loop: Header=BB35_120 Depth=1
	v_add_f32_e64 v3, |v2|, s14
	v_and_b32_e32 v3, 0xff, v3
	v_cmp_ne_u32_e32 vcc, 0, v3
	s_andn2_b64 s[4:5], s[4:5], exec
	s_and_b64 s[18:19], vcc, exec
	s_mov_b64 s[8:9], 0
	s_or_b64 s[4:5], s[4:5], s[18:19]
	s_or_b64 exec, exec, s[6:7]
	v_pk_mov_b32 v[12:13], s[8:9], s[8:9] op_sel:[0,1]
	s_and_saveexec_b64 s[6:7], s[4:5]
	s_cbranch_execnz .LBB35_142
	s_branch .LBB35_143
.LBB35_174:                             ;   in Loop: Header=BB35_120 Depth=1
	v_bfe_u32 v2, v9, 20, 1
	v_add3_u32 v2, v9, v2, s13
	s_mov_b64 s[4:5], exec
	v_lshrrev_b32_e32 v11, 20, v2
	s_or_saveexec_b64 s[6:7], s[6:7]
                                        ; implicit-def: $sgpr8_sgpr9
	s_xor_b64 exec, exec, s[6:7]
	s_cbranch_execz .LBB35_147
.LBB35_175:                             ;   in Loop: Header=BB35_120 Depth=1
	v_add_f32_e64 v2, |v9|, s14
	v_and_b32_e32 v11, 0xff, v2
	v_cmp_ne_u32_e32 vcc, 0, v11
	s_andn2_b64 s[4:5], s[4:5], exec
	s_and_b64 s[18:19], vcc, exec
	s_mov_b64 s[8:9], 0
	s_or_b64 s[4:5], s[4:5], s[18:19]
	s_or_b64 exec, exec, s[6:7]
	v_pk_mov_b32 v[2:3], s[8:9], s[8:9] op_sel:[0,1]
	s_and_saveexec_b64 s[6:7], s[4:5]
	s_cbranch_execnz .LBB35_148
	s_branch .LBB35_149
.LBB35_176:                             ;   in Loop: Header=BB35_120 Depth=1
	v_bfe_u32 v4, v3, 20, 1
	v_add3_u32 v4, v3, v4, s13
	s_mov_b64 s[4:5], exec
	v_lshrrev_b32_e32 v4, 20, v4
	s_or_saveexec_b64 s[6:7], s[6:7]
                                        ; implicit-def: $sgpr8_sgpr9
	s_xor_b64 exec, exec, s[6:7]
	s_cbranch_execz .LBB35_153
.LBB35_177:                             ;   in Loop: Header=BB35_120 Depth=1
	v_add_f32_e64 v4, |v3|, s14
	v_and_b32_e32 v4, 0xff, v4
	v_cmp_ne_u32_e32 vcc, 0, v4
	s_andn2_b64 s[4:5], s[4:5], exec
	s_and_b64 s[18:19], vcc, exec
	s_mov_b64 s[8:9], 0
	s_or_b64 s[4:5], s[4:5], s[18:19]
	s_or_b64 exec, exec, s[6:7]
	v_pk_mov_b32 v[16:17], s[8:9], s[8:9] op_sel:[0,1]
	s_and_saveexec_b64 s[6:7], s[4:5]
	s_cbranch_execnz .LBB35_154
	s_branch .LBB35_155
.LBB35_178:                             ;   in Loop: Header=BB35_120 Depth=1
	v_bfe_u32 v4, v3, 20, 1
	v_add3_u32 v4, v3, v4, s13
	s_mov_b64 s[4:5], exec
	v_lshrrev_b32_e32 v4, 20, v4
	s_or_saveexec_b64 s[6:7], s[6:7]
                                        ; implicit-def: $sgpr8_sgpr9
	s_xor_b64 exec, exec, s[6:7]
	s_cbranch_execz .LBB35_159
.LBB35_179:                             ;   in Loop: Header=BB35_120 Depth=1
	v_add_f32_e64 v4, |v3|, s14
	v_and_b32_e32 v4, 0xff, v4
	v_cmp_ne_u32_e32 vcc, 0, v4
	s_andn2_b64 s[4:5], s[4:5], exec
	s_and_b64 s[18:19], vcc, exec
	s_mov_b64 s[8:9], 0
	s_or_b64 s[4:5], s[4:5], s[18:19]
	s_or_b64 exec, exec, s[6:7]
	v_pk_mov_b32 v[18:19], s[8:9], s[8:9] op_sel:[0,1]
	s_and_saveexec_b64 s[6:7], s[4:5]
	s_cbranch_execnz .LBB35_160
	s_branch .LBB35_161
.LBB35_180:                             ;   in Loop: Header=BB35_120 Depth=1
	v_bfe_u32 v4, v3, 20, 1
	v_add3_u32 v4, v3, v4, s13
	s_mov_b64 s[4:5], exec
	v_lshrrev_b32_e32 v4, 20, v4
	s_or_saveexec_b64 s[6:7], s[6:7]
                                        ; implicit-def: $sgpr8_sgpr9
	s_xor_b64 exec, exec, s[6:7]
	s_cbranch_execz .LBB35_165
.LBB35_181:                             ;   in Loop: Header=BB35_120 Depth=1
	v_add_f32_e64 v4, |v3|, s14
	v_and_b32_e32 v4, 0xff, v4
	v_cmp_ne_u32_e32 vcc, 0, v4
	s_andn2_b64 s[4:5], s[4:5], exec
	s_and_b64 s[18:19], vcc, exec
	s_mov_b64 s[8:9], 0
	s_or_b64 s[4:5], s[4:5], s[18:19]
	s_or_b64 exec, exec, s[6:7]
	v_pk_mov_b32 v[20:21], s[8:9], s[8:9] op_sel:[0,1]
	s_and_saveexec_b64 s[6:7], s[4:5]
	s_cbranch_execz .LBB35_118
.LBB35_182:                             ;   in Loop: Header=BB35_120 Depth=1
	v_lshrrev_b32_e32 v3, 24, v3
	v_and_or_b32 v20, v3, s15, v4
	s_branch .LBB35_118
.LBB35_183:
	s_endpgm
.LBB35_184:
	v_bfe_u32 v3, v2, 20, 1
	s_mov_b32 s8, 0x487ffff
	v_add3_u32 v3, v2, v3, s8
	s_mov_b64 s[4:5], exec
	v_lshrrev_b32_e32 v3, 20, v3
	s_or_saveexec_b64 s[6:7], s[6:7]
                                        ; implicit-def: $sgpr8
	s_xor_b64 exec, exec, s[6:7]
	s_cbranch_execz .LBB35_25
.LBB35_185:
	s_mov_b32 s8, 0x46000000
	v_add_f32_e64 v3, |v2|, s8
	v_and_b32_e32 v3, 0xff, v3
	v_cmp_ne_u32_e32 vcc, 0, v3
	s_andn2_b64 s[4:5], s[4:5], exec
	s_and_b64 s[10:11], vcc, exec
	s_mov_b32 s8, 0
	s_or_b64 s[4:5], s[4:5], s[10:11]
	s_or_b64 exec, exec, s[6:7]
	v_mov_b32_e32 v4, s8
	s_and_saveexec_b64 s[6:7], s[4:5]
	s_cbranch_execnz .LBB35_26
	s_branch .LBB35_27
	.section	.rodata,"a",@progbits
	.p2align	6, 0x0
	.amdhsa_kernel _Z33per_token_group_quant_8bit_kernelIN3c108BFloat16ENS0_15Float8_e4m3fnuzELb0ELb0EfEvPKT_PvPT3_iiifffii
		.amdhsa_group_segment_fixed_size 0
		.amdhsa_private_segment_fixed_size 0
		.amdhsa_kernarg_size 56
		.amdhsa_user_sgpr_count 6
		.amdhsa_user_sgpr_private_segment_buffer 1
		.amdhsa_user_sgpr_dispatch_ptr 0
		.amdhsa_user_sgpr_queue_ptr 0
		.amdhsa_user_sgpr_kernarg_segment_ptr 1
		.amdhsa_user_sgpr_dispatch_id 0
		.amdhsa_user_sgpr_flat_scratch_init 0
		.amdhsa_user_sgpr_kernarg_preload_length 0
		.amdhsa_user_sgpr_kernarg_preload_offset 0
		.amdhsa_user_sgpr_private_segment_size 0
		.amdhsa_uses_dynamic_stack 0
		.amdhsa_system_sgpr_private_segment_wavefront_offset 0
		.amdhsa_system_sgpr_workgroup_id_x 1
		.amdhsa_system_sgpr_workgroup_id_y 0
		.amdhsa_system_sgpr_workgroup_id_z 0
		.amdhsa_system_sgpr_workgroup_info 0
		.amdhsa_system_vgpr_workitem_id 0
		.amdhsa_next_free_vgpr 61
		.amdhsa_next_free_sgpr 46
		.amdhsa_accum_offset 64
		.amdhsa_reserve_vcc 1
		.amdhsa_reserve_flat_scratch 0
		.amdhsa_float_round_mode_32 0
		.amdhsa_float_round_mode_16_64 0
		.amdhsa_float_denorm_mode_32 3
		.amdhsa_float_denorm_mode_16_64 3
		.amdhsa_dx10_clamp 1
		.amdhsa_ieee_mode 1
		.amdhsa_fp16_overflow 0
		.amdhsa_tg_split 0
		.amdhsa_exception_fp_ieee_invalid_op 0
		.amdhsa_exception_fp_denorm_src 0
		.amdhsa_exception_fp_ieee_div_zero 0
		.amdhsa_exception_fp_ieee_overflow 0
		.amdhsa_exception_fp_ieee_underflow 0
		.amdhsa_exception_fp_ieee_inexact 0
		.amdhsa_exception_int_div_zero 0
	.end_amdhsa_kernel
	.section	.text._Z33per_token_group_quant_8bit_kernelIN3c108BFloat16ENS0_15Float8_e4m3fnuzELb0ELb0EfEvPKT_PvPT3_iiifffii,"axG",@progbits,_Z33per_token_group_quant_8bit_kernelIN3c108BFloat16ENS0_15Float8_e4m3fnuzELb0ELb0EfEvPKT_PvPT3_iiifffii,comdat
.Lfunc_end35:
	.size	_Z33per_token_group_quant_8bit_kernelIN3c108BFloat16ENS0_15Float8_e4m3fnuzELb0ELb0EfEvPKT_PvPT3_iiifffii, .Lfunc_end35-_Z33per_token_group_quant_8bit_kernelIN3c108BFloat16ENS0_15Float8_e4m3fnuzELb0ELb0EfEvPKT_PvPT3_iiifffii
                                        ; -- End function
	.section	.AMDGPU.csdata,"",@progbits
; Kernel info:
; codeLenInByte = 8556
; NumSgprs: 50
; NumVgprs: 61
; NumAgprs: 0
; TotalNumVgprs: 61
; ScratchSize: 0
; MemoryBound: 0
; FloatMode: 240
; IeeeMode: 1
; LDSByteSize: 0 bytes/workgroup (compile time only)
; SGPRBlocks: 6
; VGPRBlocks: 7
; NumSGPRsForWavesPerEU: 50
; NumVGPRsForWavesPerEU: 61
; AccumOffset: 64
; Occupancy: 8
; WaveLimiterHint : 0
; COMPUTE_PGM_RSRC2:SCRATCH_EN: 0
; COMPUTE_PGM_RSRC2:USER_SGPR: 6
; COMPUTE_PGM_RSRC2:TRAP_HANDLER: 0
; COMPUTE_PGM_RSRC2:TGID_X_EN: 1
; COMPUTE_PGM_RSRC2:TGID_Y_EN: 0
; COMPUTE_PGM_RSRC2:TGID_Z_EN: 0
; COMPUTE_PGM_RSRC2:TIDIG_COMP_CNT: 0
; COMPUTE_PGM_RSRC3_GFX90A:ACCUM_OFFSET: 15
; COMPUTE_PGM_RSRC3_GFX90A:TG_SPLIT: 0
	.section	.text._Z49per_token_group_quant_8bit_packed_register_kernelIN3c104HalfEaLi128ELi16ELi1EEvPKT_PvPjiiiiilfff,"axG",@progbits,_Z49per_token_group_quant_8bit_packed_register_kernelIN3c104HalfEaLi128ELi16ELi1EEvPKT_PvPjiiiiilfff,comdat
	.protected	_Z49per_token_group_quant_8bit_packed_register_kernelIN3c104HalfEaLi128ELi16ELi1EEvPKT_PvPjiiiiilfff ; -- Begin function _Z49per_token_group_quant_8bit_packed_register_kernelIN3c104HalfEaLi128ELi16ELi1EEvPKT_PvPjiiiiilfff
	.globl	_Z49per_token_group_quant_8bit_packed_register_kernelIN3c104HalfEaLi128ELi16ELi1EEvPKT_PvPjiiiiilfff
	.p2align	8
	.type	_Z49per_token_group_quant_8bit_packed_register_kernelIN3c104HalfEaLi128ELi16ELi1EEvPKT_PvPjiiiiilfff,@function
_Z49per_token_group_quant_8bit_packed_register_kernelIN3c104HalfEaLi128ELi16ELi1EEvPKT_PvPjiiiiilfff: ; @_Z49per_token_group_quant_8bit_packed_register_kernelIN3c104HalfEaLi128ELi16ELi1EEvPKT_PvPjiiiiilfff
; %bb.0:
	s_load_dwordx4 s[8:11], s[4:5], 0x1c
	v_lshrrev_b32_e32 v1, 7, v0
	v_add_u32_e32 v4, s7, v1
	s_waitcnt lgkmcnt(0)
	v_cmp_gt_i32_e32 vcc, s11, v4
	s_and_saveexec_b64 s[0:1], vcc
	s_cbranch_execz .LBB36_14
; %bb.1:
	s_load_dwordx4 s[12:15], s[4:5], 0x38
	v_lshrrev_b32_e32 v1, 3, v0
	s_lshl_b32 s0, s6, 4
	v_and_or_b32 v2, v1, 15, s0
	v_cmp_gt_i32_e64 s[2:3], s9, v4
	v_cmp_gt_i32_e64 s[0:1], s8, v2
	v_and_b32_e32 v5, 7, v0
	s_and_b64 s[6:7], s[2:3], s[0:1]
	s_waitcnt lgkmcnt(0)
	v_mov_b32_e32 v0, s12
	v_ashrrev_i32_e32 v8, 31, v4
	v_lshlrev_b32_e32 v6, 7, v2
                                        ; implicit-def: $vgpr7
                                        ; implicit-def: $vgpr9
                                        ; implicit-def: $vgpr10
                                        ; implicit-def: $vgpr11
                                        ; implicit-def: $vgpr12
                                        ; implicit-def: $vgpr13
                                        ; implicit-def: $vgpr14
                                        ; implicit-def: $vgpr15
                                        ; implicit-def: $vgpr16
                                        ; implicit-def: $vgpr17
                                        ; implicit-def: $vgpr18
                                        ; implicit-def: $vgpr19
                                        ; implicit-def: $vgpr20
                                        ; implicit-def: $vgpr21
                                        ; implicit-def: $vgpr22
                                        ; implicit-def: $vgpr23
	s_and_saveexec_b64 s[16:17], s[6:7]
	s_cbranch_execz .LBB36_3
; %bb.2:
	s_load_dwordx2 s[18:19], s[4:5], 0x0
	v_alignbit_b32 v0, v8, v4, 24
	s_ashr_i32 s9, s8, 31
	v_lshlrev_b32_e32 v3, 8, v4
	v_mul_lo_u32 v9, v0, s8
	s_waitcnt lgkmcnt(0)
	v_pk_mov_b32 v[0:1], s[18:19], s[18:19] op_sel:[0,1]
	v_mul_lo_u32 v7, v3, s9
	v_mad_u64_u32 v[0:1], s[18:19], v3, s8, v[0:1]
	v_add3_u32 v1, v9, v1, v7
	v_ashrrev_i32_e32 v7, 31, v6
	v_lshlrev_b64 v[10:11], 1, v[6:7]
	v_add_co_u32_e32 v0, vcc, v0, v10
	v_addc_co_u32_e32 v1, vcc, v1, v11, vcc
	v_lshlrev_b32_e32 v3, 5, v5
	v_add_co_u32_e32 v0, vcc, v0, v3
	v_addc_co_u32_e32 v1, vcc, 0, v1, vcc
	global_load_dwordx4 v[10:13], v[0:1], off
	global_load_dwordx4 v[24:27], v[0:1], off offset:16
	s_waitcnt vmcnt(1)
	v_cvt_f32_f16_e64 v0, |v10|
	v_cvt_f32_f16_sdwa v1, |v10| dst_sel:DWORD dst_unused:UNUSED_PAD src0_sel:WORD_1
	v_cvt_f32_f16_e64 v3, |v11|
	v_cvt_f32_f16_sdwa v7, |v11| dst_sel:DWORD dst_unused:UNUSED_PAD src0_sel:WORD_1
	;; [unrolled: 2-line block ×4, first 2 shown]
	s_waitcnt vmcnt(0)
	v_cvt_f32_f16_e64 v32, |v24|
	v_cvt_f32_f16_sdwa v33, |v24| dst_sel:DWORD dst_unused:UNUSED_PAD src0_sel:WORD_1
	v_max3_f32 v0, s12, v0, v1
	v_cvt_f32_f16_e64 v34, |v25|
	v_cvt_f32_f16_sdwa v35, |v25| dst_sel:DWORD dst_unused:UNUSED_PAD src0_sel:WORD_1
	v_max3_f32 v0, v0, v3, v7
	;; [unrolled: 3-line block ×4, first 2 shown]
	v_cvt_f32_f16_e32 v23, v10
	v_cvt_f32_f16_sdwa v22, v10 dst_sel:DWORD dst_unused:UNUSED_PAD src0_sel:WORD_1
	v_cvt_f32_f16_e32 v21, v11
	v_cvt_f32_f16_sdwa v20, v11 dst_sel:DWORD dst_unused:UNUSED_PAD src0_sel:WORD_1
	;; [unrolled: 2-line block ×7, first 2 shown]
	v_cvt_f32_f16_e32 v9, v27
	v_max3_f32 v0, v0, v32, v33
	v_cvt_f32_f16_sdwa v7, v27 dst_sel:DWORD dst_unused:UNUSED_PAD src0_sel:WORD_1
	v_max3_f32 v0, v0, v34, v35
	v_max3_f32 v0, v0, v36, v37
	;; [unrolled: 1-line block ×3, first 2 shown]
.LBB36_3:
	s_or_b64 exec, exec, s[16:17]
	v_mbcnt_lo_u32_b32 v1, -1, 0
	v_mbcnt_hi_u32_b32 v1, -1, v1
	v_and_b32_e32 v24, 0x78, v1
	v_xor_b32_e32 v3, 4, v1
	v_add_u32_e32 v24, 8, v24
	v_cmp_lt_i32_e32 vcc, v3, v24
	v_cndmask_b32_e32 v3, v1, v3, vcc
	v_lshlrev_b32_e32 v3, 2, v3
	ds_bpermute_b32 v3, v3, v0
	v_xor_b32_e32 v25, 2, v1
	v_max_f32_e32 v0, v0, v0
	v_cmp_lt_i32_e32 vcc, v25, v24
	s_waitcnt lgkmcnt(0)
	v_max_f32_e32 v3, v3, v3
	v_max_f32_e32 v0, v0, v3
	v_cndmask_b32_e32 v3, v1, v25, vcc
	v_lshlrev_b32_e32 v3, 2, v3
	ds_bpermute_b32 v3, v3, v0
	v_xor_b32_e32 v25, 1, v1
	v_cmp_lt_i32_e32 vcc, v25, v24
	v_cndmask_b32_e32 v1, v1, v25, vcc
	v_lshlrev_b32_e32 v1, 2, v1
	s_waitcnt lgkmcnt(0)
	v_max_f32_e32 v3, v3, v3
	v_max_f32_e32 v0, v0, v3
	ds_bpermute_b32 v1, v1, v0
	s_waitcnt lgkmcnt(0)
	v_max_f32_e32 v1, v1, v1
	v_max_f32_e32 v0, v0, v1
	v_div_scale_f32 v1, s[16:17], s14, s14, v0
	v_rcp_f32_e32 v3, v1
	v_div_scale_f32 v24, vcc, v0, s14, v0
	s_xor_b64 s[16:17], s[6:7], -1
	v_fma_f32 v25, -v1, v3, 1.0
	v_fmac_f32_e32 v3, v25, v3
	v_mul_f32_e32 v25, v24, v3
	v_fma_f32 v26, -v1, v25, v24
	v_fmac_f32_e32 v25, v26, v3
	v_fma_f32 v1, -v1, v25, v24
	v_div_fmas_f32 v1, v1, v3, v25
	v_div_fixup_f32 v0, v1, s14, v0
	v_max_f32_e32 v0, 0x2edbe6ff, v0
	v_lshrrev_b32_e32 v1, 23, v0
	v_and_b32_e32 v0, 0x7fffff, v0
	v_cmp_ne_u32_e32 vcc, 0, v0
	v_addc_co_u32_e32 v24, vcc, 0, v1, vcc
	v_cmp_eq_u32_e32 vcc, 0, v5
	s_and_saveexec_b64 s[18:19], vcc
	s_cbranch_execz .LBB36_8
; %bb.4:
	v_ashrrev_i32_e32 v0, 31, v2
	v_lshrrev_b32_e32 v0, 30, v0
	v_add_u32_e32 v0, v2, v0
	v_ashrrev_i32_e32 v3, 2, v0
	v_mad_u64_u32 v[0:1], s[20:21], v3, s11, v[4:5]
	v_mov_b32_e32 v25, v24
	s_and_saveexec_b64 s[20:21], s[16:17]
	s_cbranch_execz .LBB36_6
; %bb.5:
	s_load_dwordx2 s[22:23], s[4:5], 0x30
	v_ashrrev_i32_e32 v1, 31, v0
	s_andn2_b64 s[6:7], s[6:7], exec
	v_mov_b32_e32 v25, 0
	s_waitcnt lgkmcnt(0)
	v_cmp_gt_i64_e32 vcc, s[22:23], v[0:1]
	s_and_b64 s[22:23], vcc, exec
	s_or_b64 s[6:7], s[6:7], s[22:23]
.LBB36_6:
	s_or_b64 exec, exec, s[20:21]
	s_and_b64 exec, exec, s[6:7]
	s_cbranch_execz .LBB36_8
; %bb.7:
	s_load_dwordx2 s[6:7], s[4:5], 0x10
	v_lshlrev_b32_e32 v1, 2, v3
	v_sub_u32_e32 v1, v2, v1
	v_lshl_add_u32 v0, v0, 2, v1
	v_ashrrev_i32_e32 v1, 31, v0
	s_waitcnt lgkmcnt(0)
	v_mov_b32_e32 v2, s7
	v_add_co_u32_e32 v0, vcc, s6, v0
	v_addc_co_u32_e32 v1, vcc, v2, v1, vcc
	global_store_byte v[0:1], v25, off
.LBB36_8:
	s_or_b64 exec, exec, s[18:19]
	s_mov_b64 s[6:7], 0
                                        ; implicit-def: $sgpr9
	s_and_saveexec_b64 s[18:19], s[16:17]
	s_xor_b64 s[16:17], exec, s[18:19]
; %bb.9:
	s_xor_b64 s[2:3], s[2:3], -1
	v_cmp_gt_i32_e32 vcc, s10, v4
	s_and_b64 s[2:3], vcc, s[2:3]
	s_and_b64 s[0:1], s[0:1], s[2:3]
	s_mov_b32 s9, 0
	s_and_b64 s[6:7], s[0:1], exec
                                        ; implicit-def: $vgpr7
                                        ; implicit-def: $vgpr9
                                        ; implicit-def: $vgpr10
                                        ; implicit-def: $vgpr11
                                        ; implicit-def: $vgpr12
                                        ; implicit-def: $vgpr13
                                        ; implicit-def: $vgpr14
                                        ; implicit-def: $vgpr15
                                        ; implicit-def: $vgpr16
                                        ; implicit-def: $vgpr17
                                        ; implicit-def: $vgpr18
                                        ; implicit-def: $vgpr19
                                        ; implicit-def: $vgpr20
                                        ; implicit-def: $vgpr21
                                        ; implicit-def: $vgpr22
                                        ; implicit-def: $vgpr23
                                        ; implicit-def: $vgpr24
; %bb.10:
	s_or_saveexec_b64 s[0:1], s[16:17]
	v_mov_b32_e32 v3, s9
	v_mov_b32_e32 v2, s9
	;; [unrolled: 1-line block ×4, first 2 shown]
	s_xor_b64 exec, exec, s[0:1]
	s_cbranch_execz .LBB36_12
; %bb.11:
	v_lshlrev_b32_e32 v0, 23, v24
	v_and_b32_e32 v0, 0x7f800000, v0
	v_div_scale_f32 v1, s[2:3], v0, v0, 1.0
	v_rcp_f32_e32 v2, v1
	v_div_scale_f32 v3, vcc, 1.0, v0, 1.0
	s_mov_b32 s2, 0x6050400
	v_fma_f32 v24, -v1, v2, 1.0
	v_fmac_f32_e32 v2, v24, v2
	v_mul_f32_e32 v24, v3, v2
	v_fma_f32 v25, -v1, v24, v3
	v_fmac_f32_e32 v24, v25, v2
	v_fma_f32 v1, -v1, v24, v3
	v_div_fmas_f32 v1, v1, v2, v24
	v_div_fixup_f32 v3, v1, v0, 1.0
	v_mul_f32_e32 v0, v3, v23
	v_max_f32_e64 v23, s13, s13
	v_mul_f32_e32 v1, v3, v22
	v_max_f32_e64 v24, s14, s14
	v_max_f32_e32 v1, v1, v23
	v_mul_f32_e32 v2, v3, v21
	v_min_f32_e32 v1, v1, v24
	v_max_f32_e32 v0, v0, v23
	v_max_f32_e32 v2, v2, v23
	v_cvt_i32_f32_e32 v1, v1
	v_min_f32_e32 v0, v0, v24
	v_min_f32_e32 v2, v2, v24
	v_cvt_i32_f32_e32 v0, v0
	v_cvt_i32_f32_e32 v2, v2
	v_and_b32_e32 v1, 0xff, v1
	v_mul_f32_e32 v17, v3, v17
	v_perm_b32 v0, v1, v0, s2
	v_and_b32_e32 v1, 0xff, v2
	v_mul_f32_e32 v2, v3, v18
	v_lshl_or_b32 v0, v1, 16, v0
	v_mul_f32_e32 v1, v3, v19
	v_max_f32_e32 v2, v2, v23
	v_min_f32_e32 v2, v2, v24
	v_max_f32_e32 v1, v1, v23
	v_max_f32_e32 v17, v17, v23
	v_cvt_i32_f32_e32 v2, v2
	v_min_f32_e32 v1, v1, v24
	v_min_f32_e32 v17, v17, v24
	v_cvt_i32_f32_e32 v1, v1
	v_cvt_i32_f32_e32 v17, v17
	v_and_b32_e32 v2, 0xff, v2
	v_mul_f32_e32 v14, v3, v14
	v_perm_b32 v1, v2, v1, s2
	v_and_b32_e32 v2, 0xff, v17
	v_mul_f32_e32 v10, v3, v10
	v_lshl_or_b32 v1, v2, 16, v1
	v_mul_f32_e32 v2, v3, v15
	v_max_f32_e32 v14, v14, v23
	v_mul_f32_e32 v13, v3, v13
	v_mul_f32_e32 v11, v3, v11
	v_max_f32_e32 v10, v10, v23
	v_mul_f32_e32 v9, v3, v9
	v_min_f32_e32 v14, v14, v24
	v_max_f32_e32 v2, v2, v23
	v_max_f32_e32 v13, v13, v23
	v_min_f32_e32 v10, v10, v24
	v_max_f32_e32 v11, v11, v23
	v_max_f32_e32 v9, v9, v23
	v_mul_f32_e32 v20, v3, v20
	v_mul_f32_e32 v16, v3, v16
	v_cvt_i32_f32_e32 v14, v14
	v_min_f32_e32 v2, v2, v24
	v_min_f32_e32 v13, v13, v24
	v_mul_f32_e32 v12, v3, v12
	v_cvt_i32_f32_e32 v10, v10
	v_min_f32_e32 v11, v11, v24
	v_min_f32_e32 v9, v9, v24
	v_mul_f32_e32 v3, v3, v7
	v_max_f32_e32 v20, v20, v23
	v_max_f32_e32 v16, v16, v23
	v_cvt_i32_f32_e32 v2, v2
	v_cvt_i32_f32_e32 v13, v13
	v_max_f32_e32 v12, v12, v23
	v_cvt_i32_f32_e32 v11, v11
	v_cvt_i32_f32_e32 v9, v9
	v_max_f32_e32 v3, v3, v23
	v_min_f32_e32 v20, v20, v24
	v_min_f32_e32 v16, v16, v24
	;; [unrolled: 1-line block ×4, first 2 shown]
	v_cvt_i32_f32_e32 v20, v20
	v_cvt_i32_f32_e32 v16, v16
	;; [unrolled: 1-line block ×4, first 2 shown]
	v_and_b32_e32 v14, 0xff, v14
	v_and_b32_e32 v10, 0xff, v10
	v_perm_b32 v2, v14, v2, s2
	v_and_b32_e32 v13, 0xff, v13
	v_perm_b32 v7, v10, v11, s2
	v_and_b32_e32 v9, 0xff, v9
	v_lshl_or_b32 v2, v13, 16, v2
	v_lshl_or_b32 v7, v9, 16, v7
	;; [unrolled: 1-line block ×6, first 2 shown]
	s_or_b64 s[6:7], s[6:7], exec
.LBB36_12:
	s_or_b64 exec, exec, s[0:1]
	s_and_b64 exec, exec, s[6:7]
	s_cbranch_execz .LBB36_14
; %bb.13:
	s_load_dwordx2 s[0:1], s[4:5], 0x8
	s_ashr_i32 s2, s8, 31
	v_lshlrev_b32_e32 v7, 7, v4
	v_alignbit_b32 v4, v8, v4, 25
	v_mul_lo_u32 v10, v7, s2
	s_waitcnt lgkmcnt(0)
	v_pk_mov_b32 v[8:9], s[0:1], s[0:1] op_sel:[0,1]
	v_mul_lo_u32 v4, v4, s8
	v_mad_u64_u32 v[8:9], s[0:1], v7, s8, v[8:9]
	v_add3_u32 v4, v4, v9, v10
	v_ashrrev_i32_e32 v7, 31, v6
	v_add_co_u32_e32 v6, vcc, v8, v6
	v_addc_co_u32_e32 v7, vcc, v4, v7, vcc
	v_lshlrev_b32_e32 v4, 4, v5
	v_add_co_u32_e32 v4, vcc, v6, v4
	v_addc_co_u32_e32 v5, vcc, 0, v7, vcc
	global_store_dwordx4 v[4:5], v[0:3], off
.LBB36_14:
	s_endpgm
	.section	.rodata,"a",@progbits
	.p2align	6, 0x0
	.amdhsa_kernel _Z49per_token_group_quant_8bit_packed_register_kernelIN3c104HalfEaLi128ELi16ELi1EEvPKT_PvPjiiiiilfff
		.amdhsa_group_segment_fixed_size 0
		.amdhsa_private_segment_fixed_size 0
		.amdhsa_kernarg_size 68
		.amdhsa_user_sgpr_count 6
		.amdhsa_user_sgpr_private_segment_buffer 1
		.amdhsa_user_sgpr_dispatch_ptr 0
		.amdhsa_user_sgpr_queue_ptr 0
		.amdhsa_user_sgpr_kernarg_segment_ptr 1
		.amdhsa_user_sgpr_dispatch_id 0
		.amdhsa_user_sgpr_flat_scratch_init 0
		.amdhsa_user_sgpr_kernarg_preload_length 0
		.amdhsa_user_sgpr_kernarg_preload_offset 0
		.amdhsa_user_sgpr_private_segment_size 0
		.amdhsa_uses_dynamic_stack 0
		.amdhsa_system_sgpr_private_segment_wavefront_offset 0
		.amdhsa_system_sgpr_workgroup_id_x 1
		.amdhsa_system_sgpr_workgroup_id_y 1
		.amdhsa_system_sgpr_workgroup_id_z 0
		.amdhsa_system_sgpr_workgroup_info 0
		.amdhsa_system_vgpr_workitem_id 0
		.amdhsa_next_free_vgpr 40
		.amdhsa_next_free_sgpr 24
		.amdhsa_accum_offset 40
		.amdhsa_reserve_vcc 1
		.amdhsa_reserve_flat_scratch 0
		.amdhsa_float_round_mode_32 0
		.amdhsa_float_round_mode_16_64 0
		.amdhsa_float_denorm_mode_32 3
		.amdhsa_float_denorm_mode_16_64 3
		.amdhsa_dx10_clamp 1
		.amdhsa_ieee_mode 1
		.amdhsa_fp16_overflow 0
		.amdhsa_tg_split 0
		.amdhsa_exception_fp_ieee_invalid_op 0
		.amdhsa_exception_fp_denorm_src 0
		.amdhsa_exception_fp_ieee_div_zero 0
		.amdhsa_exception_fp_ieee_overflow 0
		.amdhsa_exception_fp_ieee_underflow 0
		.amdhsa_exception_fp_ieee_inexact 0
		.amdhsa_exception_int_div_zero 0
	.end_amdhsa_kernel
	.section	.text._Z49per_token_group_quant_8bit_packed_register_kernelIN3c104HalfEaLi128ELi16ELi1EEvPKT_PvPjiiiiilfff,"axG",@progbits,_Z49per_token_group_quant_8bit_packed_register_kernelIN3c104HalfEaLi128ELi16ELi1EEvPKT_PvPjiiiiilfff,comdat
.Lfunc_end36:
	.size	_Z49per_token_group_quant_8bit_packed_register_kernelIN3c104HalfEaLi128ELi16ELi1EEvPKT_PvPjiiiiilfff, .Lfunc_end36-_Z49per_token_group_quant_8bit_packed_register_kernelIN3c104HalfEaLi128ELi16ELi1EEvPKT_PvPjiiiiilfff
                                        ; -- End function
	.section	.AMDGPU.csdata,"",@progbits
; Kernel info:
; codeLenInByte = 1624
; NumSgprs: 28
; NumVgprs: 40
; NumAgprs: 0
; TotalNumVgprs: 40
; ScratchSize: 0
; MemoryBound: 0
; FloatMode: 240
; IeeeMode: 1
; LDSByteSize: 0 bytes/workgroup (compile time only)
; SGPRBlocks: 3
; VGPRBlocks: 4
; NumSGPRsForWavesPerEU: 28
; NumVGPRsForWavesPerEU: 40
; AccumOffset: 40
; Occupancy: 8
; WaveLimiterHint : 0
; COMPUTE_PGM_RSRC2:SCRATCH_EN: 0
; COMPUTE_PGM_RSRC2:USER_SGPR: 6
; COMPUTE_PGM_RSRC2:TRAP_HANDLER: 0
; COMPUTE_PGM_RSRC2:TGID_X_EN: 1
; COMPUTE_PGM_RSRC2:TGID_Y_EN: 1
; COMPUTE_PGM_RSRC2:TGID_Z_EN: 0
; COMPUTE_PGM_RSRC2:TIDIG_COMP_CNT: 0
; COMPUTE_PGM_RSRC3_GFX90A:ACCUM_OFFSET: 9
; COMPUTE_PGM_RSRC3_GFX90A:TG_SPLIT: 0
	.section	.text._Z49per_token_group_quant_8bit_packed_register_kernelIN3c104HalfEaLi128ELi8ELi2EEvPKT_PvPjiiiiilfff,"axG",@progbits,_Z49per_token_group_quant_8bit_packed_register_kernelIN3c104HalfEaLi128ELi8ELi2EEvPKT_PvPjiiiiilfff,comdat
	.protected	_Z49per_token_group_quant_8bit_packed_register_kernelIN3c104HalfEaLi128ELi8ELi2EEvPKT_PvPjiiiiilfff ; -- Begin function _Z49per_token_group_quant_8bit_packed_register_kernelIN3c104HalfEaLi128ELi8ELi2EEvPKT_PvPjiiiiilfff
	.globl	_Z49per_token_group_quant_8bit_packed_register_kernelIN3c104HalfEaLi128ELi8ELi2EEvPKT_PvPjiiiiilfff
	.p2align	8
	.type	_Z49per_token_group_quant_8bit_packed_register_kernelIN3c104HalfEaLi128ELi8ELi2EEvPKT_PvPjiiiiilfff,@function
_Z49per_token_group_quant_8bit_packed_register_kernelIN3c104HalfEaLi128ELi8ELi2EEvPKT_PvPjiiiiilfff: ; @_Z49per_token_group_quant_8bit_packed_register_kernelIN3c104HalfEaLi128ELi8ELi2EEvPKT_PvPjiiiiilfff
; %bb.0:
	s_load_dwordx4 s[8:11], s[4:5], 0x1c
	v_lshrrev_b32_e32 v1, 6, v0
	v_lshl_add_u32 v4, s7, 1, v1
	s_waitcnt lgkmcnt(0)
	v_cmp_gt_i32_e32 vcc, s11, v4
	s_and_saveexec_b64 s[0:1], vcc
	s_cbranch_execz .LBB37_14
; %bb.1:
	s_load_dwordx4 s[12:15], s[4:5], 0x38
	v_lshrrev_b32_e32 v1, 3, v0
	s_lshl_b32 s0, s6, 3
	v_and_or_b32 v2, v1, 7, s0
	v_cmp_gt_i32_e64 s[2:3], s9, v4
	v_cmp_gt_i32_e64 s[0:1], s8, v2
	v_and_b32_e32 v5, 7, v0
	s_and_b64 s[6:7], s[2:3], s[0:1]
	s_waitcnt lgkmcnt(0)
	v_mov_b32_e32 v0, s12
	v_ashrrev_i32_e32 v8, 31, v4
	v_lshlrev_b32_e32 v6, 7, v2
                                        ; implicit-def: $vgpr7
                                        ; implicit-def: $vgpr9
                                        ; implicit-def: $vgpr10
                                        ; implicit-def: $vgpr11
                                        ; implicit-def: $vgpr12
                                        ; implicit-def: $vgpr13
                                        ; implicit-def: $vgpr14
                                        ; implicit-def: $vgpr15
                                        ; implicit-def: $vgpr16
                                        ; implicit-def: $vgpr17
                                        ; implicit-def: $vgpr18
                                        ; implicit-def: $vgpr19
                                        ; implicit-def: $vgpr20
                                        ; implicit-def: $vgpr21
                                        ; implicit-def: $vgpr22
                                        ; implicit-def: $vgpr23
	s_and_saveexec_b64 s[16:17], s[6:7]
	s_cbranch_execz .LBB37_3
; %bb.2:
	s_load_dwordx2 s[18:19], s[4:5], 0x0
	v_alignbit_b32 v0, v8, v4, 24
	s_ashr_i32 s9, s8, 31
	v_lshlrev_b32_e32 v3, 8, v4
	v_mul_lo_u32 v9, v0, s8
	s_waitcnt lgkmcnt(0)
	v_pk_mov_b32 v[0:1], s[18:19], s[18:19] op_sel:[0,1]
	v_mul_lo_u32 v7, v3, s9
	v_mad_u64_u32 v[0:1], s[18:19], v3, s8, v[0:1]
	v_add3_u32 v1, v9, v1, v7
	v_ashrrev_i32_e32 v7, 31, v6
	v_lshlrev_b64 v[10:11], 1, v[6:7]
	v_add_co_u32_e32 v0, vcc, v0, v10
	v_addc_co_u32_e32 v1, vcc, v1, v11, vcc
	v_lshlrev_b32_e32 v3, 5, v5
	v_add_co_u32_e32 v0, vcc, v0, v3
	v_addc_co_u32_e32 v1, vcc, 0, v1, vcc
	global_load_dwordx4 v[10:13], v[0:1], off
	global_load_dwordx4 v[24:27], v[0:1], off offset:16
	s_waitcnt vmcnt(1)
	v_cvt_f32_f16_e64 v0, |v10|
	v_cvt_f32_f16_sdwa v1, |v10| dst_sel:DWORD dst_unused:UNUSED_PAD src0_sel:WORD_1
	v_cvt_f32_f16_e64 v3, |v11|
	v_cvt_f32_f16_sdwa v7, |v11| dst_sel:DWORD dst_unused:UNUSED_PAD src0_sel:WORD_1
	;; [unrolled: 2-line block ×4, first 2 shown]
	s_waitcnt vmcnt(0)
	v_cvt_f32_f16_e64 v32, |v24|
	v_cvt_f32_f16_sdwa v33, |v24| dst_sel:DWORD dst_unused:UNUSED_PAD src0_sel:WORD_1
	v_max3_f32 v0, s12, v0, v1
	v_cvt_f32_f16_e64 v34, |v25|
	v_cvt_f32_f16_sdwa v35, |v25| dst_sel:DWORD dst_unused:UNUSED_PAD src0_sel:WORD_1
	v_max3_f32 v0, v0, v3, v7
	v_cvt_f32_f16_e64 v36, |v26|
	v_cvt_f32_f16_sdwa v37, |v26| dst_sel:DWORD dst_unused:UNUSED_PAD src0_sel:WORD_1
	v_max3_f32 v0, v0, v28, v29
	v_cvt_f32_f16_e64 v38, |v27|
	v_cvt_f32_f16_sdwa v39, |v27| dst_sel:DWORD dst_unused:UNUSED_PAD src0_sel:WORD_1
	v_max3_f32 v0, v0, v30, v31
	v_cvt_f32_f16_e32 v23, v10
	v_cvt_f32_f16_sdwa v22, v10 dst_sel:DWORD dst_unused:UNUSED_PAD src0_sel:WORD_1
	v_cvt_f32_f16_e32 v21, v11
	v_cvt_f32_f16_sdwa v20, v11 dst_sel:DWORD dst_unused:UNUSED_PAD src0_sel:WORD_1
	;; [unrolled: 2-line block ×7, first 2 shown]
	v_cvt_f32_f16_e32 v9, v27
	v_max3_f32 v0, v0, v32, v33
	v_cvt_f32_f16_sdwa v7, v27 dst_sel:DWORD dst_unused:UNUSED_PAD src0_sel:WORD_1
	v_max3_f32 v0, v0, v34, v35
	v_max3_f32 v0, v0, v36, v37
	v_max3_f32 v0, v0, v38, v39
.LBB37_3:
	s_or_b64 exec, exec, s[16:17]
	v_mbcnt_lo_u32_b32 v1, -1, 0
	v_mbcnt_hi_u32_b32 v1, -1, v1
	v_and_b32_e32 v24, 0x78, v1
	v_xor_b32_e32 v3, 4, v1
	v_add_u32_e32 v24, 8, v24
	v_cmp_lt_i32_e32 vcc, v3, v24
	v_cndmask_b32_e32 v3, v1, v3, vcc
	v_lshlrev_b32_e32 v3, 2, v3
	ds_bpermute_b32 v3, v3, v0
	v_xor_b32_e32 v25, 2, v1
	v_max_f32_e32 v0, v0, v0
	v_cmp_lt_i32_e32 vcc, v25, v24
	s_waitcnt lgkmcnt(0)
	v_max_f32_e32 v3, v3, v3
	v_max_f32_e32 v0, v0, v3
	v_cndmask_b32_e32 v3, v1, v25, vcc
	v_lshlrev_b32_e32 v3, 2, v3
	ds_bpermute_b32 v3, v3, v0
	v_xor_b32_e32 v25, 1, v1
	v_cmp_lt_i32_e32 vcc, v25, v24
	v_cndmask_b32_e32 v1, v1, v25, vcc
	v_lshlrev_b32_e32 v1, 2, v1
	s_waitcnt lgkmcnt(0)
	v_max_f32_e32 v3, v3, v3
	v_max_f32_e32 v0, v0, v3
	ds_bpermute_b32 v1, v1, v0
	s_waitcnt lgkmcnt(0)
	v_max_f32_e32 v1, v1, v1
	v_max_f32_e32 v0, v0, v1
	v_div_scale_f32 v1, s[16:17], s14, s14, v0
	v_rcp_f32_e32 v3, v1
	v_div_scale_f32 v24, vcc, v0, s14, v0
	s_xor_b64 s[16:17], s[6:7], -1
	v_fma_f32 v25, -v1, v3, 1.0
	v_fmac_f32_e32 v3, v25, v3
	v_mul_f32_e32 v25, v24, v3
	v_fma_f32 v26, -v1, v25, v24
	v_fmac_f32_e32 v25, v26, v3
	v_fma_f32 v1, -v1, v25, v24
	v_div_fmas_f32 v1, v1, v3, v25
	v_div_fixup_f32 v0, v1, s14, v0
	v_max_f32_e32 v0, 0x2edbe6ff, v0
	v_lshrrev_b32_e32 v1, 23, v0
	v_and_b32_e32 v0, 0x7fffff, v0
	v_cmp_ne_u32_e32 vcc, 0, v0
	v_addc_co_u32_e32 v24, vcc, 0, v1, vcc
	v_cmp_eq_u32_e32 vcc, 0, v5
	s_and_saveexec_b64 s[18:19], vcc
	s_cbranch_execz .LBB37_8
; %bb.4:
	v_ashrrev_i32_e32 v0, 31, v2
	v_lshrrev_b32_e32 v0, 30, v0
	v_add_u32_e32 v0, v2, v0
	v_ashrrev_i32_e32 v3, 2, v0
	v_mad_u64_u32 v[0:1], s[20:21], v3, s11, v[4:5]
	v_mov_b32_e32 v25, v24
	s_and_saveexec_b64 s[20:21], s[16:17]
	s_cbranch_execz .LBB37_6
; %bb.5:
	s_load_dwordx2 s[22:23], s[4:5], 0x30
	v_ashrrev_i32_e32 v1, 31, v0
	s_andn2_b64 s[6:7], s[6:7], exec
	v_mov_b32_e32 v25, 0
	s_waitcnt lgkmcnt(0)
	v_cmp_gt_i64_e32 vcc, s[22:23], v[0:1]
	s_and_b64 s[22:23], vcc, exec
	s_or_b64 s[6:7], s[6:7], s[22:23]
.LBB37_6:
	s_or_b64 exec, exec, s[20:21]
	s_and_b64 exec, exec, s[6:7]
	s_cbranch_execz .LBB37_8
; %bb.7:
	s_load_dwordx2 s[6:7], s[4:5], 0x10
	v_lshlrev_b32_e32 v1, 2, v3
	v_sub_u32_e32 v1, v2, v1
	v_lshl_add_u32 v0, v0, 2, v1
	v_ashrrev_i32_e32 v1, 31, v0
	s_waitcnt lgkmcnt(0)
	v_mov_b32_e32 v2, s7
	v_add_co_u32_e32 v0, vcc, s6, v0
	v_addc_co_u32_e32 v1, vcc, v2, v1, vcc
	global_store_byte v[0:1], v25, off
.LBB37_8:
	s_or_b64 exec, exec, s[18:19]
	s_mov_b64 s[6:7], 0
                                        ; implicit-def: $sgpr9
	s_and_saveexec_b64 s[18:19], s[16:17]
	s_xor_b64 s[16:17], exec, s[18:19]
; %bb.9:
	s_xor_b64 s[2:3], s[2:3], -1
	v_cmp_gt_i32_e32 vcc, s10, v4
	s_and_b64 s[2:3], vcc, s[2:3]
	s_and_b64 s[0:1], s[0:1], s[2:3]
	s_mov_b32 s9, 0
	s_and_b64 s[6:7], s[0:1], exec
                                        ; implicit-def: $vgpr7
                                        ; implicit-def: $vgpr9
                                        ; implicit-def: $vgpr10
                                        ; implicit-def: $vgpr11
                                        ; implicit-def: $vgpr12
                                        ; implicit-def: $vgpr13
                                        ; implicit-def: $vgpr14
                                        ; implicit-def: $vgpr15
                                        ; implicit-def: $vgpr16
                                        ; implicit-def: $vgpr17
                                        ; implicit-def: $vgpr18
                                        ; implicit-def: $vgpr19
                                        ; implicit-def: $vgpr20
                                        ; implicit-def: $vgpr21
                                        ; implicit-def: $vgpr22
                                        ; implicit-def: $vgpr23
                                        ; implicit-def: $vgpr24
; %bb.10:
	s_or_saveexec_b64 s[0:1], s[16:17]
	v_mov_b32_e32 v3, s9
	v_mov_b32_e32 v2, s9
	v_mov_b32_e32 v1, s9
	v_mov_b32_e32 v0, s9
	s_xor_b64 exec, exec, s[0:1]
	s_cbranch_execz .LBB37_12
; %bb.11:
	v_lshlrev_b32_e32 v0, 23, v24
	v_and_b32_e32 v0, 0x7f800000, v0
	v_div_scale_f32 v1, s[2:3], v0, v0, 1.0
	v_rcp_f32_e32 v2, v1
	v_div_scale_f32 v3, vcc, 1.0, v0, 1.0
	s_mov_b32 s2, 0x6050400
	v_fma_f32 v24, -v1, v2, 1.0
	v_fmac_f32_e32 v2, v24, v2
	v_mul_f32_e32 v24, v3, v2
	v_fma_f32 v25, -v1, v24, v3
	v_fmac_f32_e32 v24, v25, v2
	v_fma_f32 v1, -v1, v24, v3
	v_div_fmas_f32 v1, v1, v2, v24
	v_div_fixup_f32 v3, v1, v0, 1.0
	v_mul_f32_e32 v0, v3, v23
	v_max_f32_e64 v23, s13, s13
	v_mul_f32_e32 v1, v3, v22
	v_max_f32_e64 v24, s14, s14
	v_max_f32_e32 v1, v1, v23
	v_mul_f32_e32 v2, v3, v21
	v_min_f32_e32 v1, v1, v24
	v_max_f32_e32 v0, v0, v23
	v_max_f32_e32 v2, v2, v23
	v_cvt_i32_f32_e32 v1, v1
	v_min_f32_e32 v0, v0, v24
	v_min_f32_e32 v2, v2, v24
	v_cvt_i32_f32_e32 v0, v0
	v_cvt_i32_f32_e32 v2, v2
	v_and_b32_e32 v1, 0xff, v1
	v_mul_f32_e32 v17, v3, v17
	v_perm_b32 v0, v1, v0, s2
	v_and_b32_e32 v1, 0xff, v2
	v_mul_f32_e32 v2, v3, v18
	v_lshl_or_b32 v0, v1, 16, v0
	v_mul_f32_e32 v1, v3, v19
	v_max_f32_e32 v2, v2, v23
	v_min_f32_e32 v2, v2, v24
	v_max_f32_e32 v1, v1, v23
	v_max_f32_e32 v17, v17, v23
	v_cvt_i32_f32_e32 v2, v2
	v_min_f32_e32 v1, v1, v24
	v_min_f32_e32 v17, v17, v24
	v_cvt_i32_f32_e32 v1, v1
	v_cvt_i32_f32_e32 v17, v17
	v_and_b32_e32 v2, 0xff, v2
	v_mul_f32_e32 v14, v3, v14
	v_perm_b32 v1, v2, v1, s2
	v_and_b32_e32 v2, 0xff, v17
	v_mul_f32_e32 v10, v3, v10
	v_lshl_or_b32 v1, v2, 16, v1
	v_mul_f32_e32 v2, v3, v15
	v_max_f32_e32 v14, v14, v23
	v_mul_f32_e32 v13, v3, v13
	v_mul_f32_e32 v11, v3, v11
	v_max_f32_e32 v10, v10, v23
	v_mul_f32_e32 v9, v3, v9
	v_min_f32_e32 v14, v14, v24
	v_max_f32_e32 v2, v2, v23
	v_max_f32_e32 v13, v13, v23
	v_min_f32_e32 v10, v10, v24
	v_max_f32_e32 v11, v11, v23
	v_max_f32_e32 v9, v9, v23
	v_mul_f32_e32 v20, v3, v20
	v_mul_f32_e32 v16, v3, v16
	v_cvt_i32_f32_e32 v14, v14
	v_min_f32_e32 v2, v2, v24
	v_min_f32_e32 v13, v13, v24
	v_mul_f32_e32 v12, v3, v12
	v_cvt_i32_f32_e32 v10, v10
	v_min_f32_e32 v11, v11, v24
	v_min_f32_e32 v9, v9, v24
	v_mul_f32_e32 v3, v3, v7
	v_max_f32_e32 v20, v20, v23
	v_max_f32_e32 v16, v16, v23
	v_cvt_i32_f32_e32 v2, v2
	v_cvt_i32_f32_e32 v13, v13
	v_max_f32_e32 v12, v12, v23
	v_cvt_i32_f32_e32 v11, v11
	v_cvt_i32_f32_e32 v9, v9
	v_max_f32_e32 v3, v3, v23
	v_min_f32_e32 v20, v20, v24
	v_min_f32_e32 v16, v16, v24
	;; [unrolled: 1-line block ×4, first 2 shown]
	v_cvt_i32_f32_e32 v20, v20
	v_cvt_i32_f32_e32 v16, v16
	;; [unrolled: 1-line block ×4, first 2 shown]
	v_and_b32_e32 v14, 0xff, v14
	v_and_b32_e32 v10, 0xff, v10
	v_perm_b32 v2, v14, v2, s2
	v_and_b32_e32 v13, 0xff, v13
	v_perm_b32 v7, v10, v11, s2
	v_and_b32_e32 v9, 0xff, v9
	v_lshl_or_b32 v2, v13, 16, v2
	v_lshl_or_b32 v7, v9, 16, v7
	v_lshl_or_b32 v0, v20, 24, v0
	v_lshl_or_b32 v1, v16, 24, v1
	v_lshl_or_b32 v2, v12, 24, v2
	v_lshl_or_b32 v3, v3, 24, v7
	s_or_b64 s[6:7], s[6:7], exec
.LBB37_12:
	s_or_b64 exec, exec, s[0:1]
	s_and_b64 exec, exec, s[6:7]
	s_cbranch_execz .LBB37_14
; %bb.13:
	s_load_dwordx2 s[0:1], s[4:5], 0x8
	s_ashr_i32 s2, s8, 31
	v_lshlrev_b32_e32 v7, 7, v4
	v_alignbit_b32 v4, v8, v4, 25
	v_mul_lo_u32 v10, v7, s2
	s_waitcnt lgkmcnt(0)
	v_pk_mov_b32 v[8:9], s[0:1], s[0:1] op_sel:[0,1]
	v_mul_lo_u32 v4, v4, s8
	v_mad_u64_u32 v[8:9], s[0:1], v7, s8, v[8:9]
	v_add3_u32 v4, v4, v9, v10
	v_ashrrev_i32_e32 v7, 31, v6
	v_add_co_u32_e32 v6, vcc, v8, v6
	v_addc_co_u32_e32 v7, vcc, v4, v7, vcc
	v_lshlrev_b32_e32 v4, 4, v5
	v_add_co_u32_e32 v4, vcc, v6, v4
	v_addc_co_u32_e32 v5, vcc, 0, v7, vcc
	global_store_dwordx4 v[4:5], v[0:3], off
.LBB37_14:
	s_endpgm
	.section	.rodata,"a",@progbits
	.p2align	6, 0x0
	.amdhsa_kernel _Z49per_token_group_quant_8bit_packed_register_kernelIN3c104HalfEaLi128ELi8ELi2EEvPKT_PvPjiiiiilfff
		.amdhsa_group_segment_fixed_size 0
		.amdhsa_private_segment_fixed_size 0
		.amdhsa_kernarg_size 68
		.amdhsa_user_sgpr_count 6
		.amdhsa_user_sgpr_private_segment_buffer 1
		.amdhsa_user_sgpr_dispatch_ptr 0
		.amdhsa_user_sgpr_queue_ptr 0
		.amdhsa_user_sgpr_kernarg_segment_ptr 1
		.amdhsa_user_sgpr_dispatch_id 0
		.amdhsa_user_sgpr_flat_scratch_init 0
		.amdhsa_user_sgpr_kernarg_preload_length 0
		.amdhsa_user_sgpr_kernarg_preload_offset 0
		.amdhsa_user_sgpr_private_segment_size 0
		.amdhsa_uses_dynamic_stack 0
		.amdhsa_system_sgpr_private_segment_wavefront_offset 0
		.amdhsa_system_sgpr_workgroup_id_x 1
		.amdhsa_system_sgpr_workgroup_id_y 1
		.amdhsa_system_sgpr_workgroup_id_z 0
		.amdhsa_system_sgpr_workgroup_info 0
		.amdhsa_system_vgpr_workitem_id 0
		.amdhsa_next_free_vgpr 40
		.amdhsa_next_free_sgpr 24
		.amdhsa_accum_offset 40
		.amdhsa_reserve_vcc 1
		.amdhsa_reserve_flat_scratch 0
		.amdhsa_float_round_mode_32 0
		.amdhsa_float_round_mode_16_64 0
		.amdhsa_float_denorm_mode_32 3
		.amdhsa_float_denorm_mode_16_64 3
		.amdhsa_dx10_clamp 1
		.amdhsa_ieee_mode 1
		.amdhsa_fp16_overflow 0
		.amdhsa_tg_split 0
		.amdhsa_exception_fp_ieee_invalid_op 0
		.amdhsa_exception_fp_denorm_src 0
		.amdhsa_exception_fp_ieee_div_zero 0
		.amdhsa_exception_fp_ieee_overflow 0
		.amdhsa_exception_fp_ieee_underflow 0
		.amdhsa_exception_fp_ieee_inexact 0
		.amdhsa_exception_int_div_zero 0
	.end_amdhsa_kernel
	.section	.text._Z49per_token_group_quant_8bit_packed_register_kernelIN3c104HalfEaLi128ELi8ELi2EEvPKT_PvPjiiiiilfff,"axG",@progbits,_Z49per_token_group_quant_8bit_packed_register_kernelIN3c104HalfEaLi128ELi8ELi2EEvPKT_PvPjiiiiilfff,comdat
.Lfunc_end37:
	.size	_Z49per_token_group_quant_8bit_packed_register_kernelIN3c104HalfEaLi128ELi8ELi2EEvPKT_PvPjiiiiilfff, .Lfunc_end37-_Z49per_token_group_quant_8bit_packed_register_kernelIN3c104HalfEaLi128ELi8ELi2EEvPKT_PvPjiiiiilfff
                                        ; -- End function
	.section	.AMDGPU.csdata,"",@progbits
; Kernel info:
; codeLenInByte = 1628
; NumSgprs: 28
; NumVgprs: 40
; NumAgprs: 0
; TotalNumVgprs: 40
; ScratchSize: 0
; MemoryBound: 0
; FloatMode: 240
; IeeeMode: 1
; LDSByteSize: 0 bytes/workgroup (compile time only)
; SGPRBlocks: 3
; VGPRBlocks: 4
; NumSGPRsForWavesPerEU: 28
; NumVGPRsForWavesPerEU: 40
; AccumOffset: 40
; Occupancy: 8
; WaveLimiterHint : 0
; COMPUTE_PGM_RSRC2:SCRATCH_EN: 0
; COMPUTE_PGM_RSRC2:USER_SGPR: 6
; COMPUTE_PGM_RSRC2:TRAP_HANDLER: 0
; COMPUTE_PGM_RSRC2:TGID_X_EN: 1
; COMPUTE_PGM_RSRC2:TGID_Y_EN: 1
; COMPUTE_PGM_RSRC2:TGID_Z_EN: 0
; COMPUTE_PGM_RSRC2:TIDIG_COMP_CNT: 0
; COMPUTE_PGM_RSRC3_GFX90A:ACCUM_OFFSET: 9
; COMPUTE_PGM_RSRC3_GFX90A:TG_SPLIT: 0
	.section	.text._Z49per_token_group_quant_8bit_packed_register_kernelIN3c104HalfEaLi128ELi4ELi4EEvPKT_PvPjiiiiilfff,"axG",@progbits,_Z49per_token_group_quant_8bit_packed_register_kernelIN3c104HalfEaLi128ELi4ELi4EEvPKT_PvPjiiiiilfff,comdat
	.protected	_Z49per_token_group_quant_8bit_packed_register_kernelIN3c104HalfEaLi128ELi4ELi4EEvPKT_PvPjiiiiilfff ; -- Begin function _Z49per_token_group_quant_8bit_packed_register_kernelIN3c104HalfEaLi128ELi4ELi4EEvPKT_PvPjiiiiilfff
	.globl	_Z49per_token_group_quant_8bit_packed_register_kernelIN3c104HalfEaLi128ELi4ELi4EEvPKT_PvPjiiiiilfff
	.p2align	8
	.type	_Z49per_token_group_quant_8bit_packed_register_kernelIN3c104HalfEaLi128ELi4ELi4EEvPKT_PvPjiiiiilfff,@function
_Z49per_token_group_quant_8bit_packed_register_kernelIN3c104HalfEaLi128ELi4ELi4EEvPKT_PvPjiiiiilfff: ; @_Z49per_token_group_quant_8bit_packed_register_kernelIN3c104HalfEaLi128ELi4ELi4EEvPKT_PvPjiiiiilfff
; %bb.0:
	s_load_dwordx4 s[8:11], s[4:5], 0x1c
	v_lshrrev_b32_e32 v1, 5, v0
	v_lshl_add_u32 v4, s7, 2, v1
	s_waitcnt lgkmcnt(0)
	v_cmp_gt_i32_e32 vcc, s11, v4
	s_and_saveexec_b64 s[0:1], vcc
	s_cbranch_execz .LBB38_14
; %bb.1:
	s_load_dwordx4 s[12:15], s[4:5], 0x38
	v_lshrrev_b32_e32 v1, 3, v0
	s_lshl_b32 s0, s6, 2
	v_and_or_b32 v2, v1, 3, s0
	v_cmp_gt_i32_e64 s[2:3], s9, v4
	v_cmp_gt_i32_e64 s[0:1], s8, v2
	v_and_b32_e32 v5, 7, v0
	s_and_b64 s[6:7], s[2:3], s[0:1]
	s_waitcnt lgkmcnt(0)
	v_mov_b32_e32 v0, s12
	v_ashrrev_i32_e32 v8, 31, v4
	v_lshlrev_b32_e32 v6, 7, v2
                                        ; implicit-def: $vgpr7
                                        ; implicit-def: $vgpr9
                                        ; implicit-def: $vgpr10
                                        ; implicit-def: $vgpr11
                                        ; implicit-def: $vgpr12
                                        ; implicit-def: $vgpr13
                                        ; implicit-def: $vgpr14
                                        ; implicit-def: $vgpr15
                                        ; implicit-def: $vgpr16
                                        ; implicit-def: $vgpr17
                                        ; implicit-def: $vgpr18
                                        ; implicit-def: $vgpr19
                                        ; implicit-def: $vgpr20
                                        ; implicit-def: $vgpr21
                                        ; implicit-def: $vgpr22
                                        ; implicit-def: $vgpr23
	s_and_saveexec_b64 s[16:17], s[6:7]
	s_cbranch_execz .LBB38_3
; %bb.2:
	s_load_dwordx2 s[18:19], s[4:5], 0x0
	v_alignbit_b32 v0, v8, v4, 24
	s_ashr_i32 s9, s8, 31
	v_lshlrev_b32_e32 v3, 8, v4
	v_mul_lo_u32 v9, v0, s8
	s_waitcnt lgkmcnt(0)
	v_pk_mov_b32 v[0:1], s[18:19], s[18:19] op_sel:[0,1]
	v_mul_lo_u32 v7, v3, s9
	v_mad_u64_u32 v[0:1], s[18:19], v3, s8, v[0:1]
	v_add3_u32 v1, v9, v1, v7
	v_ashrrev_i32_e32 v7, 31, v6
	v_lshlrev_b64 v[10:11], 1, v[6:7]
	v_add_co_u32_e32 v0, vcc, v0, v10
	v_addc_co_u32_e32 v1, vcc, v1, v11, vcc
	v_lshlrev_b32_e32 v3, 5, v5
	v_add_co_u32_e32 v0, vcc, v0, v3
	v_addc_co_u32_e32 v1, vcc, 0, v1, vcc
	global_load_dwordx4 v[10:13], v[0:1], off
	global_load_dwordx4 v[24:27], v[0:1], off offset:16
	s_waitcnt vmcnt(1)
	v_cvt_f32_f16_e64 v0, |v10|
	v_cvt_f32_f16_sdwa v1, |v10| dst_sel:DWORD dst_unused:UNUSED_PAD src0_sel:WORD_1
	v_cvt_f32_f16_e64 v3, |v11|
	v_cvt_f32_f16_sdwa v7, |v11| dst_sel:DWORD dst_unused:UNUSED_PAD src0_sel:WORD_1
	;; [unrolled: 2-line block ×4, first 2 shown]
	s_waitcnt vmcnt(0)
	v_cvt_f32_f16_e64 v32, |v24|
	v_cvt_f32_f16_sdwa v33, |v24| dst_sel:DWORD dst_unused:UNUSED_PAD src0_sel:WORD_1
	v_max3_f32 v0, s12, v0, v1
	v_cvt_f32_f16_e64 v34, |v25|
	v_cvt_f32_f16_sdwa v35, |v25| dst_sel:DWORD dst_unused:UNUSED_PAD src0_sel:WORD_1
	v_max3_f32 v0, v0, v3, v7
	;; [unrolled: 3-line block ×4, first 2 shown]
	v_cvt_f32_f16_e32 v23, v10
	v_cvt_f32_f16_sdwa v22, v10 dst_sel:DWORD dst_unused:UNUSED_PAD src0_sel:WORD_1
	v_cvt_f32_f16_e32 v21, v11
	v_cvt_f32_f16_sdwa v20, v11 dst_sel:DWORD dst_unused:UNUSED_PAD src0_sel:WORD_1
	;; [unrolled: 2-line block ×7, first 2 shown]
	v_cvt_f32_f16_e32 v9, v27
	v_max3_f32 v0, v0, v32, v33
	v_cvt_f32_f16_sdwa v7, v27 dst_sel:DWORD dst_unused:UNUSED_PAD src0_sel:WORD_1
	v_max3_f32 v0, v0, v34, v35
	v_max3_f32 v0, v0, v36, v37
	v_max3_f32 v0, v0, v38, v39
.LBB38_3:
	s_or_b64 exec, exec, s[16:17]
	v_mbcnt_lo_u32_b32 v1, -1, 0
	v_mbcnt_hi_u32_b32 v1, -1, v1
	v_and_b32_e32 v24, 0x78, v1
	v_xor_b32_e32 v3, 4, v1
	v_add_u32_e32 v24, 8, v24
	v_cmp_lt_i32_e32 vcc, v3, v24
	v_cndmask_b32_e32 v3, v1, v3, vcc
	v_lshlrev_b32_e32 v3, 2, v3
	ds_bpermute_b32 v3, v3, v0
	v_xor_b32_e32 v25, 2, v1
	v_max_f32_e32 v0, v0, v0
	v_cmp_lt_i32_e32 vcc, v25, v24
	s_waitcnt lgkmcnt(0)
	v_max_f32_e32 v3, v3, v3
	v_max_f32_e32 v0, v0, v3
	v_cndmask_b32_e32 v3, v1, v25, vcc
	v_lshlrev_b32_e32 v3, 2, v3
	ds_bpermute_b32 v3, v3, v0
	v_xor_b32_e32 v25, 1, v1
	v_cmp_lt_i32_e32 vcc, v25, v24
	v_cndmask_b32_e32 v1, v1, v25, vcc
	v_lshlrev_b32_e32 v1, 2, v1
	s_waitcnt lgkmcnt(0)
	v_max_f32_e32 v3, v3, v3
	v_max_f32_e32 v0, v0, v3
	ds_bpermute_b32 v1, v1, v0
	s_waitcnt lgkmcnt(0)
	v_max_f32_e32 v1, v1, v1
	v_max_f32_e32 v0, v0, v1
	v_div_scale_f32 v1, s[16:17], s14, s14, v0
	v_rcp_f32_e32 v3, v1
	v_div_scale_f32 v24, vcc, v0, s14, v0
	s_xor_b64 s[16:17], s[6:7], -1
	v_fma_f32 v25, -v1, v3, 1.0
	v_fmac_f32_e32 v3, v25, v3
	v_mul_f32_e32 v25, v24, v3
	v_fma_f32 v26, -v1, v25, v24
	v_fmac_f32_e32 v25, v26, v3
	v_fma_f32 v1, -v1, v25, v24
	v_div_fmas_f32 v1, v1, v3, v25
	v_div_fixup_f32 v0, v1, s14, v0
	v_max_f32_e32 v0, 0x2edbe6ff, v0
	v_lshrrev_b32_e32 v1, 23, v0
	v_and_b32_e32 v0, 0x7fffff, v0
	v_cmp_ne_u32_e32 vcc, 0, v0
	v_addc_co_u32_e32 v24, vcc, 0, v1, vcc
	v_cmp_eq_u32_e32 vcc, 0, v5
	s_and_saveexec_b64 s[18:19], vcc
	s_cbranch_execz .LBB38_8
; %bb.4:
	v_ashrrev_i32_e32 v0, 31, v2
	v_lshrrev_b32_e32 v0, 30, v0
	v_add_u32_e32 v0, v2, v0
	v_ashrrev_i32_e32 v3, 2, v0
	v_mad_u64_u32 v[0:1], s[20:21], v3, s11, v[4:5]
	v_mov_b32_e32 v25, v24
	s_and_saveexec_b64 s[20:21], s[16:17]
	s_cbranch_execz .LBB38_6
; %bb.5:
	s_load_dwordx2 s[22:23], s[4:5], 0x30
	v_ashrrev_i32_e32 v1, 31, v0
	s_andn2_b64 s[6:7], s[6:7], exec
	v_mov_b32_e32 v25, 0
	s_waitcnt lgkmcnt(0)
	v_cmp_gt_i64_e32 vcc, s[22:23], v[0:1]
	s_and_b64 s[22:23], vcc, exec
	s_or_b64 s[6:7], s[6:7], s[22:23]
.LBB38_6:
	s_or_b64 exec, exec, s[20:21]
	s_and_b64 exec, exec, s[6:7]
	s_cbranch_execz .LBB38_8
; %bb.7:
	s_load_dwordx2 s[6:7], s[4:5], 0x10
	v_lshlrev_b32_e32 v1, 2, v3
	v_sub_u32_e32 v1, v2, v1
	v_lshl_add_u32 v0, v0, 2, v1
	v_ashrrev_i32_e32 v1, 31, v0
	s_waitcnt lgkmcnt(0)
	v_mov_b32_e32 v2, s7
	v_add_co_u32_e32 v0, vcc, s6, v0
	v_addc_co_u32_e32 v1, vcc, v2, v1, vcc
	global_store_byte v[0:1], v25, off
.LBB38_8:
	s_or_b64 exec, exec, s[18:19]
	s_mov_b64 s[6:7], 0
                                        ; implicit-def: $sgpr9
	s_and_saveexec_b64 s[18:19], s[16:17]
	s_xor_b64 s[16:17], exec, s[18:19]
; %bb.9:
	s_xor_b64 s[2:3], s[2:3], -1
	v_cmp_gt_i32_e32 vcc, s10, v4
	s_and_b64 s[2:3], vcc, s[2:3]
	s_and_b64 s[0:1], s[0:1], s[2:3]
	s_mov_b32 s9, 0
	s_and_b64 s[6:7], s[0:1], exec
                                        ; implicit-def: $vgpr7
                                        ; implicit-def: $vgpr9
                                        ; implicit-def: $vgpr10
                                        ; implicit-def: $vgpr11
                                        ; implicit-def: $vgpr12
                                        ; implicit-def: $vgpr13
                                        ; implicit-def: $vgpr14
                                        ; implicit-def: $vgpr15
                                        ; implicit-def: $vgpr16
                                        ; implicit-def: $vgpr17
                                        ; implicit-def: $vgpr18
                                        ; implicit-def: $vgpr19
                                        ; implicit-def: $vgpr20
                                        ; implicit-def: $vgpr21
                                        ; implicit-def: $vgpr22
                                        ; implicit-def: $vgpr23
                                        ; implicit-def: $vgpr24
; %bb.10:
	s_or_saveexec_b64 s[0:1], s[16:17]
	v_mov_b32_e32 v3, s9
	v_mov_b32_e32 v2, s9
	;; [unrolled: 1-line block ×4, first 2 shown]
	s_xor_b64 exec, exec, s[0:1]
	s_cbranch_execz .LBB38_12
; %bb.11:
	v_lshlrev_b32_e32 v0, 23, v24
	v_and_b32_e32 v0, 0x7f800000, v0
	v_div_scale_f32 v1, s[2:3], v0, v0, 1.0
	v_rcp_f32_e32 v2, v1
	v_div_scale_f32 v3, vcc, 1.0, v0, 1.0
	s_mov_b32 s2, 0x6050400
	v_fma_f32 v24, -v1, v2, 1.0
	v_fmac_f32_e32 v2, v24, v2
	v_mul_f32_e32 v24, v3, v2
	v_fma_f32 v25, -v1, v24, v3
	v_fmac_f32_e32 v24, v25, v2
	v_fma_f32 v1, -v1, v24, v3
	v_div_fmas_f32 v1, v1, v2, v24
	v_div_fixup_f32 v3, v1, v0, 1.0
	v_mul_f32_e32 v0, v3, v23
	v_max_f32_e64 v23, s13, s13
	v_mul_f32_e32 v1, v3, v22
	v_max_f32_e64 v24, s14, s14
	v_max_f32_e32 v1, v1, v23
	v_mul_f32_e32 v2, v3, v21
	v_min_f32_e32 v1, v1, v24
	v_max_f32_e32 v0, v0, v23
	v_max_f32_e32 v2, v2, v23
	v_cvt_i32_f32_e32 v1, v1
	v_min_f32_e32 v0, v0, v24
	v_min_f32_e32 v2, v2, v24
	v_cvt_i32_f32_e32 v0, v0
	v_cvt_i32_f32_e32 v2, v2
	v_and_b32_e32 v1, 0xff, v1
	v_mul_f32_e32 v17, v3, v17
	v_perm_b32 v0, v1, v0, s2
	v_and_b32_e32 v1, 0xff, v2
	v_mul_f32_e32 v2, v3, v18
	v_lshl_or_b32 v0, v1, 16, v0
	v_mul_f32_e32 v1, v3, v19
	v_max_f32_e32 v2, v2, v23
	v_min_f32_e32 v2, v2, v24
	v_max_f32_e32 v1, v1, v23
	v_max_f32_e32 v17, v17, v23
	v_cvt_i32_f32_e32 v2, v2
	v_min_f32_e32 v1, v1, v24
	v_min_f32_e32 v17, v17, v24
	v_cvt_i32_f32_e32 v1, v1
	v_cvt_i32_f32_e32 v17, v17
	v_and_b32_e32 v2, 0xff, v2
	v_mul_f32_e32 v14, v3, v14
	v_perm_b32 v1, v2, v1, s2
	v_and_b32_e32 v2, 0xff, v17
	v_mul_f32_e32 v10, v3, v10
	v_lshl_or_b32 v1, v2, 16, v1
	v_mul_f32_e32 v2, v3, v15
	v_max_f32_e32 v14, v14, v23
	v_mul_f32_e32 v13, v3, v13
	v_mul_f32_e32 v11, v3, v11
	v_max_f32_e32 v10, v10, v23
	v_mul_f32_e32 v9, v3, v9
	v_min_f32_e32 v14, v14, v24
	v_max_f32_e32 v2, v2, v23
	v_max_f32_e32 v13, v13, v23
	v_min_f32_e32 v10, v10, v24
	v_max_f32_e32 v11, v11, v23
	v_max_f32_e32 v9, v9, v23
	v_mul_f32_e32 v20, v3, v20
	v_mul_f32_e32 v16, v3, v16
	v_cvt_i32_f32_e32 v14, v14
	v_min_f32_e32 v2, v2, v24
	v_min_f32_e32 v13, v13, v24
	v_mul_f32_e32 v12, v3, v12
	v_cvt_i32_f32_e32 v10, v10
	v_min_f32_e32 v11, v11, v24
	v_min_f32_e32 v9, v9, v24
	v_mul_f32_e32 v3, v3, v7
	v_max_f32_e32 v20, v20, v23
	v_max_f32_e32 v16, v16, v23
	v_cvt_i32_f32_e32 v2, v2
	v_cvt_i32_f32_e32 v13, v13
	v_max_f32_e32 v12, v12, v23
	v_cvt_i32_f32_e32 v11, v11
	v_cvt_i32_f32_e32 v9, v9
	v_max_f32_e32 v3, v3, v23
	v_min_f32_e32 v20, v20, v24
	v_min_f32_e32 v16, v16, v24
	;; [unrolled: 1-line block ×4, first 2 shown]
	v_cvt_i32_f32_e32 v20, v20
	v_cvt_i32_f32_e32 v16, v16
	;; [unrolled: 1-line block ×4, first 2 shown]
	v_and_b32_e32 v14, 0xff, v14
	v_and_b32_e32 v10, 0xff, v10
	v_perm_b32 v2, v14, v2, s2
	v_and_b32_e32 v13, 0xff, v13
	v_perm_b32 v7, v10, v11, s2
	v_and_b32_e32 v9, 0xff, v9
	v_lshl_or_b32 v2, v13, 16, v2
	v_lshl_or_b32 v7, v9, 16, v7
	;; [unrolled: 1-line block ×6, first 2 shown]
	s_or_b64 s[6:7], s[6:7], exec
.LBB38_12:
	s_or_b64 exec, exec, s[0:1]
	s_and_b64 exec, exec, s[6:7]
	s_cbranch_execz .LBB38_14
; %bb.13:
	s_load_dwordx2 s[0:1], s[4:5], 0x8
	s_ashr_i32 s2, s8, 31
	v_lshlrev_b32_e32 v7, 7, v4
	v_alignbit_b32 v4, v8, v4, 25
	v_mul_lo_u32 v10, v7, s2
	s_waitcnt lgkmcnt(0)
	v_pk_mov_b32 v[8:9], s[0:1], s[0:1] op_sel:[0,1]
	v_mul_lo_u32 v4, v4, s8
	v_mad_u64_u32 v[8:9], s[0:1], v7, s8, v[8:9]
	v_add3_u32 v4, v4, v9, v10
	v_ashrrev_i32_e32 v7, 31, v6
	v_add_co_u32_e32 v6, vcc, v8, v6
	v_addc_co_u32_e32 v7, vcc, v4, v7, vcc
	v_lshlrev_b32_e32 v4, 4, v5
	v_add_co_u32_e32 v4, vcc, v6, v4
	v_addc_co_u32_e32 v5, vcc, 0, v7, vcc
	global_store_dwordx4 v[4:5], v[0:3], off
.LBB38_14:
	s_endpgm
	.section	.rodata,"a",@progbits
	.p2align	6, 0x0
	.amdhsa_kernel _Z49per_token_group_quant_8bit_packed_register_kernelIN3c104HalfEaLi128ELi4ELi4EEvPKT_PvPjiiiiilfff
		.amdhsa_group_segment_fixed_size 0
		.amdhsa_private_segment_fixed_size 0
		.amdhsa_kernarg_size 68
		.amdhsa_user_sgpr_count 6
		.amdhsa_user_sgpr_private_segment_buffer 1
		.amdhsa_user_sgpr_dispatch_ptr 0
		.amdhsa_user_sgpr_queue_ptr 0
		.amdhsa_user_sgpr_kernarg_segment_ptr 1
		.amdhsa_user_sgpr_dispatch_id 0
		.amdhsa_user_sgpr_flat_scratch_init 0
		.amdhsa_user_sgpr_kernarg_preload_length 0
		.amdhsa_user_sgpr_kernarg_preload_offset 0
		.amdhsa_user_sgpr_private_segment_size 0
		.amdhsa_uses_dynamic_stack 0
		.amdhsa_system_sgpr_private_segment_wavefront_offset 0
		.amdhsa_system_sgpr_workgroup_id_x 1
		.amdhsa_system_sgpr_workgroup_id_y 1
		.amdhsa_system_sgpr_workgroup_id_z 0
		.amdhsa_system_sgpr_workgroup_info 0
		.amdhsa_system_vgpr_workitem_id 0
		.amdhsa_next_free_vgpr 40
		.amdhsa_next_free_sgpr 24
		.amdhsa_accum_offset 40
		.amdhsa_reserve_vcc 1
		.amdhsa_reserve_flat_scratch 0
		.amdhsa_float_round_mode_32 0
		.amdhsa_float_round_mode_16_64 0
		.amdhsa_float_denorm_mode_32 3
		.amdhsa_float_denorm_mode_16_64 3
		.amdhsa_dx10_clamp 1
		.amdhsa_ieee_mode 1
		.amdhsa_fp16_overflow 0
		.amdhsa_tg_split 0
		.amdhsa_exception_fp_ieee_invalid_op 0
		.amdhsa_exception_fp_denorm_src 0
		.amdhsa_exception_fp_ieee_div_zero 0
		.amdhsa_exception_fp_ieee_overflow 0
		.amdhsa_exception_fp_ieee_underflow 0
		.amdhsa_exception_fp_ieee_inexact 0
		.amdhsa_exception_int_div_zero 0
	.end_amdhsa_kernel
	.section	.text._Z49per_token_group_quant_8bit_packed_register_kernelIN3c104HalfEaLi128ELi4ELi4EEvPKT_PvPjiiiiilfff,"axG",@progbits,_Z49per_token_group_quant_8bit_packed_register_kernelIN3c104HalfEaLi128ELi4ELi4EEvPKT_PvPjiiiiilfff,comdat
.Lfunc_end38:
	.size	_Z49per_token_group_quant_8bit_packed_register_kernelIN3c104HalfEaLi128ELi4ELi4EEvPKT_PvPjiiiiilfff, .Lfunc_end38-_Z49per_token_group_quant_8bit_packed_register_kernelIN3c104HalfEaLi128ELi4ELi4EEvPKT_PvPjiiiiilfff
                                        ; -- End function
	.section	.AMDGPU.csdata,"",@progbits
; Kernel info:
; codeLenInByte = 1628
; NumSgprs: 28
; NumVgprs: 40
; NumAgprs: 0
; TotalNumVgprs: 40
; ScratchSize: 0
; MemoryBound: 0
; FloatMode: 240
; IeeeMode: 1
; LDSByteSize: 0 bytes/workgroup (compile time only)
; SGPRBlocks: 3
; VGPRBlocks: 4
; NumSGPRsForWavesPerEU: 28
; NumVGPRsForWavesPerEU: 40
; AccumOffset: 40
; Occupancy: 8
; WaveLimiterHint : 0
; COMPUTE_PGM_RSRC2:SCRATCH_EN: 0
; COMPUTE_PGM_RSRC2:USER_SGPR: 6
; COMPUTE_PGM_RSRC2:TRAP_HANDLER: 0
; COMPUTE_PGM_RSRC2:TGID_X_EN: 1
; COMPUTE_PGM_RSRC2:TGID_Y_EN: 1
; COMPUTE_PGM_RSRC2:TGID_Z_EN: 0
; COMPUTE_PGM_RSRC2:TIDIG_COMP_CNT: 0
; COMPUTE_PGM_RSRC3_GFX90A:ACCUM_OFFSET: 9
; COMPUTE_PGM_RSRC3_GFX90A:TG_SPLIT: 0
	.section	.text._Z49per_token_group_quant_8bit_packed_register_kernelIN3c104HalfENS0_13Float8_e4m3fnELi128ELi16ELi1EEvPKT_PvPjiiiiilfff,"axG",@progbits,_Z49per_token_group_quant_8bit_packed_register_kernelIN3c104HalfENS0_13Float8_e4m3fnELi128ELi16ELi1EEvPKT_PvPjiiiiilfff,comdat
	.protected	_Z49per_token_group_quant_8bit_packed_register_kernelIN3c104HalfENS0_13Float8_e4m3fnELi128ELi16ELi1EEvPKT_PvPjiiiiilfff ; -- Begin function _Z49per_token_group_quant_8bit_packed_register_kernelIN3c104HalfENS0_13Float8_e4m3fnELi128ELi16ELi1EEvPKT_PvPjiiiiilfff
	.globl	_Z49per_token_group_quant_8bit_packed_register_kernelIN3c104HalfENS0_13Float8_e4m3fnELi128ELi16ELi1EEvPKT_PvPjiiiiilfff
	.p2align	8
	.type	_Z49per_token_group_quant_8bit_packed_register_kernelIN3c104HalfENS0_13Float8_e4m3fnELi128ELi16ELi1EEvPKT_PvPjiiiiilfff,@function
_Z49per_token_group_quant_8bit_packed_register_kernelIN3c104HalfENS0_13Float8_e4m3fnELi128ELi16ELi1EEvPKT_PvPjiiiiilfff: ; @_Z49per_token_group_quant_8bit_packed_register_kernelIN3c104HalfENS0_13Float8_e4m3fnELi128ELi16ELi1EEvPKT_PvPjiiiiilfff
; %bb.0:
	s_load_dwordx4 s[8:11], s[4:5], 0x1c
	v_lshrrev_b32_e32 v1, 7, v0
	v_add_u32_e32 v12, s7, v1
	s_waitcnt lgkmcnt(0)
	v_cmp_gt_i32_e32 vcc, s11, v12
	s_and_saveexec_b64 s[0:1], vcc
	s_cbranch_execz .LBB39_110
; %bb.1:
	s_load_dwordx4 s[12:15], s[4:5], 0x38
	v_lshrrev_b32_e32 v1, 3, v0
	s_lshl_b32 s0, s6, 4
	v_and_or_b32 v10, v1, 15, s0
	v_cmp_gt_i32_e64 s[2:3], s9, v12
	v_cmp_gt_i32_e64 s[0:1], s8, v10
	v_and_b32_e32 v13, 7, v0
	s_and_b64 s[6:7], s[2:3], s[0:1]
	s_waitcnt lgkmcnt(0)
	v_mov_b32_e32 v8, s12
	v_ashrrev_i32_e32 v16, 31, v12
	v_lshlrev_b32_e32 v14, 7, v10
                                        ; implicit-def: $vgpr15
                                        ; implicit-def: $vgpr3
                                        ; implicit-def: $vgpr17
                                        ; implicit-def: $vgpr18
                                        ; implicit-def: $vgpr20
                                        ; implicit-def: $vgpr25
                                        ; implicit-def: $vgpr7
                                        ; implicit-def: $vgpr28
                                        ; implicit-def: $vgpr24
                                        ; implicit-def: $vgpr19
	s_and_saveexec_b64 s[16:17], s[6:7]
	s_cbranch_execz .LBB39_3
; %bb.2:
	s_load_dwordx2 s[18:19], s[4:5], 0x0
	v_alignbit_b32 v0, v16, v12, 24
	s_ashr_i32 s9, s8, 31
	v_lshlrev_b32_e32 v2, 8, v12
	v_mul_lo_u32 v4, v0, s8
	s_waitcnt lgkmcnt(0)
	v_pk_mov_b32 v[0:1], s[18:19], s[18:19] op_sel:[0,1]
	v_mul_lo_u32 v3, v2, s9
	v_mad_u64_u32 v[0:1], s[18:19], v2, s8, v[0:1]
	v_ashrrev_i32_e32 v15, 31, v14
	v_add3_u32 v1, v4, v1, v3
	v_lshlrev_b64 v[2:3], 1, v[14:15]
	v_add_co_u32_e32 v0, vcc, v0, v2
	v_addc_co_u32_e32 v1, vcc, v1, v3, vcc
	v_lshlrev_b32_e32 v2, 5, v13
	v_add_co_u32_e32 v8, vcc, v0, v2
	v_addc_co_u32_e32 v9, vcc, 0, v1, vcc
	global_load_dwordx4 v[4:7], v[8:9], off
	global_load_dwordx4 v[0:3], v[8:9], off offset:16
	s_waitcnt vmcnt(1)
	v_lshrrev_b32_e32 v19, 16, v4
	v_lshrrev_b32_e32 v24, 16, v5
	v_cvt_f32_f16_e64 v8, |v4|
	v_cvt_f32_f16_e64 v29, |v19|
	v_lshrrev_b32_e32 v28, 16, v6
	v_cvt_f32_f16_e64 v9, |v5|
	v_cvt_f32_f16_e64 v30, |v24|
	;; [unrolled: 3-line block ×3, first 2 shown]
	s_waitcnt vmcnt(0)
	v_lshrrev_b32_e32 v20, 16, v0
	v_cvt_f32_f16_e64 v21, |v7|
	v_cvt_f32_f16_e64 v32, |v25|
	v_lshrrev_b32_e32 v18, 16, v1
	v_cvt_f32_f16_e64 v22, |v0|
	v_cvt_f32_f16_e64 v33, |v20|
	v_max3_f32 v8, s12, v8, v29
	v_lshrrev_b32_e32 v17, 16, v2
	v_cvt_f32_f16_e64 v23, |v1|
	v_cvt_f32_f16_e64 v34, |v18|
	v_max3_f32 v8, v8, v9, v30
	;; [unrolled: 4-line block ×3, first 2 shown]
	v_cvt_f32_f16_e64 v27, |v3|
	v_max3_f32 v8, v8, v21, v32
	v_cvt_f32_f16_e64 v9, |v15|
	v_max3_f32 v8, v8, v22, v33
	v_max3_f32 v8, v8, v23, v34
	;; [unrolled: 1-line block ×4, first 2 shown]
.LBB39_3:
	s_or_b64 exec, exec, s[16:17]
	v_mbcnt_lo_u32_b32 v9, -1, 0
	v_mbcnt_hi_u32_b32 v9, -1, v9
	v_and_b32_e32 v21, 0x78, v9
	v_xor_b32_e32 v11, 4, v9
	v_add_u32_e32 v21, 8, v21
	v_cmp_lt_i32_e32 vcc, v11, v21
	v_cndmask_b32_e32 v11, v9, v11, vcc
	v_lshlrev_b32_e32 v11, 2, v11
	ds_bpermute_b32 v11, v11, v8
	v_xor_b32_e32 v22, 2, v9
	v_max_f32_e32 v8, v8, v8
	v_cmp_lt_i32_e32 vcc, v22, v21
	s_waitcnt lgkmcnt(0)
	v_max_f32_e32 v11, v11, v11
	v_max_f32_e32 v8, v8, v11
	v_cndmask_b32_e32 v11, v9, v22, vcc
	v_lshlrev_b32_e32 v11, 2, v11
	ds_bpermute_b32 v11, v11, v8
	v_xor_b32_e32 v22, 1, v9
	v_cmp_lt_i32_e32 vcc, v22, v21
	v_cndmask_b32_e32 v9, v9, v22, vcc
	v_lshlrev_b32_e32 v9, 2, v9
	s_waitcnt lgkmcnt(0)
	v_max_f32_e32 v11, v11, v11
	v_max_f32_e32 v8, v8, v11
	ds_bpermute_b32 v9, v9, v8
	s_waitcnt lgkmcnt(0)
	v_max_f32_e32 v9, v9, v9
	v_max_f32_e32 v8, v8, v9
	v_div_scale_f32 v9, s[16:17], s14, s14, v8
	v_rcp_f32_e32 v11, v9
	v_div_scale_f32 v21, vcc, v8, s14, v8
	s_xor_b64 s[16:17], s[6:7], -1
	v_fma_f32 v22, -v9, v11, 1.0
	v_fmac_f32_e32 v11, v22, v11
	v_mul_f32_e32 v22, v21, v11
	v_fma_f32 v23, -v9, v22, v21
	v_fmac_f32_e32 v22, v23, v11
	v_fma_f32 v9, -v9, v22, v21
	v_div_fmas_f32 v9, v9, v11, v22
	v_div_fixup_f32 v8, v9, s14, v8
	v_max_f32_e32 v8, 0x2edbe6ff, v8
	v_lshrrev_b32_e32 v9, 23, v8
	v_and_b32_e32 v8, 0x7fffff, v8
	v_cmp_ne_u32_e32 vcc, 0, v8
	v_addc_co_u32_e32 v21, vcc, 0, v9, vcc
	v_cmp_eq_u32_e32 vcc, 0, v13
	s_and_saveexec_b64 s[18:19], vcc
	s_cbranch_execz .LBB39_8
; %bb.4:
	v_ashrrev_i32_e32 v8, 31, v10
	v_lshrrev_b32_e32 v8, 30, v8
	v_add_u32_e32 v8, v10, v8
	v_ashrrev_i32_e32 v11, 2, v8
	v_mad_u64_u32 v[8:9], s[20:21], v11, s11, v[12:13]
	v_mov_b32_e32 v22, v21
	s_and_saveexec_b64 s[20:21], s[16:17]
	s_cbranch_execz .LBB39_6
; %bb.5:
	s_load_dwordx2 s[22:23], s[4:5], 0x30
	v_ashrrev_i32_e32 v9, 31, v8
	s_andn2_b64 s[6:7], s[6:7], exec
	v_mov_b32_e32 v22, 0
	s_waitcnt lgkmcnt(0)
	v_cmp_gt_i64_e32 vcc, s[22:23], v[8:9]
	s_and_b64 s[22:23], vcc, exec
	s_or_b64 s[6:7], s[6:7], s[22:23]
.LBB39_6:
	s_or_b64 exec, exec, s[20:21]
	s_and_b64 exec, exec, s[6:7]
	s_cbranch_execz .LBB39_8
; %bb.7:
	s_load_dwordx2 s[6:7], s[4:5], 0x10
	v_lshlrev_b32_e32 v9, 2, v11
	v_sub_u32_e32 v9, v10, v9
	v_lshl_add_u32 v8, v8, 2, v9
	v_ashrrev_i32_e32 v9, 31, v8
	s_waitcnt lgkmcnt(0)
	v_mov_b32_e32 v10, s7
	v_add_co_u32_e32 v8, vcc, s6, v8
	v_addc_co_u32_e32 v9, vcc, v10, v9, vcc
	global_store_byte v[8:9], v22, off
.LBB39_8:
	s_or_b64 exec, exec, s[18:19]
	s_mov_b64 s[6:7], 0
                                        ; implicit-def: $sgpr9
	s_and_saveexec_b64 s[18:19], s[16:17]
	s_xor_b64 s[16:17], exec, s[18:19]
; %bb.9:
	s_xor_b64 s[2:3], s[2:3], -1
	v_cmp_gt_i32_e32 vcc, s10, v12
	s_and_b64 s[2:3], vcc, s[2:3]
	s_and_b64 s[0:1], s[0:1], s[2:3]
	s_mov_b32 s9, 0
	s_and_b64 s[6:7], s[0:1], exec
                                        ; implicit-def: $vgpr15
                                        ; implicit-def: $vgpr3
                                        ; implicit-def: $vgpr17
                                        ; implicit-def: $vgpr18
                                        ; implicit-def: $vgpr20
                                        ; implicit-def: $vgpr25
                                        ; implicit-def: $vgpr7
                                        ; implicit-def: $vgpr28
                                        ; implicit-def: $vgpr24
                                        ; implicit-def: $vgpr19
                                        ; implicit-def: $vgpr21
; %bb.10:
	s_or_saveexec_b64 s[0:1], s[16:17]
	v_mov_b32_e32 v11, s9
	v_mov_b32_e32 v10, s9
	v_mov_b32_e32 v9, s9
	v_mov_b32_e32 v8, s9
	s_xor_b64 exec, exec, s[0:1]
	s_cbranch_execz .LBB39_108
; %bb.11:
	v_lshlrev_b32_e32 v8, 23, v21
	v_and_b32_e32 v8, 0x7f800000, v8
	v_div_scale_f32 v9, s[2:3], v8, v8, 1.0
	v_rcp_f32_e32 v10, v9
	v_div_scale_f32 v11, vcc, 1.0, v8, 1.0
	v_cvt_f32_f16_e32 v4, v4
	v_fma_f32 v21, -v9, v10, 1.0
	v_fmac_f32_e32 v10, v21, v10
	v_mul_f32_e32 v21, v11, v10
	v_fma_f32 v22, -v9, v21, v11
	v_fmac_f32_e32 v21, v22, v10
	v_fma_f32 v9, -v9, v21, v11
	v_div_fmas_f32 v9, v9, v10, v21
	v_div_fixup_f32 v9, v9, v8, 1.0
	v_mul_f32_e32 v4, v9, v4
	v_max_f32_e64 v10, s13, s13
	v_max_f32_e32 v4, v4, v10
	v_max_f32_e64 v21, s14, s14
	v_min_f32_e32 v4, v4, v21
	v_and_b32_e32 v22, 0x7fffffff, v4
	s_mov_b32 s9, 0x43f00000
	v_cmp_gt_u32_e32 vcc, s9, v22
	v_mov_b32_e32 v8, 0x7f
	v_mov_b32_e32 v11, 0x7f
	s_and_saveexec_b64 s[2:3], vcc
	s_cbranch_execz .LBB39_17
; %bb.12:
	s_mov_b32 s10, 0x3c7fffff
	v_cmp_lt_u32_e32 vcc, s10, v22
                                        ; implicit-def: $vgpr11
	s_and_saveexec_b64 s[10:11], vcc
	s_xor_b64 s[10:11], exec, s[10:11]
; %bb.13:
	v_bfe_u32 v11, v4, 20, 1
	s_mov_b32 s12, 0x407ffff
	v_add3_u32 v11, v4, v11, s12
	v_lshrrev_b32_e32 v11, 20, v11
; %bb.14:
	s_andn2_saveexec_b64 s[10:11], s[10:11]
; %bb.15:
	s_mov_b32 s12, 0x46800000
	v_add_f32_e64 v11, |v4|, s12
; %bb.16:
	s_or_b64 exec, exec, s[10:11]
.LBB39_17:
	s_or_b64 exec, exec, s[2:3]
	v_cvt_f32_f16_e32 v19, v19
	v_mul_f32_e32 v19, v9, v19
	v_max_f32_e32 v19, v19, v10
	v_min_f32_e32 v19, v19, v21
	v_and_b32_e32 v22, 0x7fffffff, v19
	v_cmp_gt_u32_e32 vcc, s9, v22
	s_and_saveexec_b64 s[2:3], vcc
	s_cbranch_execz .LBB39_23
; %bb.18:
	s_mov_b32 s9, 0x3c7fffff
	v_cmp_lt_u32_e32 vcc, s9, v22
                                        ; implicit-def: $vgpr8
	s_and_saveexec_b64 s[10:11], vcc
	s_xor_b64 s[10:11], exec, s[10:11]
; %bb.19:
	v_bfe_u32 v8, v19, 20, 1
	s_mov_b32 s9, 0x407ffff
	v_add3_u32 v8, v19, v8, s9
	v_lshrrev_b32_e32 v8, 20, v8
; %bb.20:
	s_andn2_saveexec_b64 s[10:11], s[10:11]
; %bb.21:
	s_mov_b32 s9, 0x46800000
	v_add_f32_e64 v8, |v19|, s9
; %bb.22:
	s_or_b64 exec, exec, s[10:11]
.LBB39_23:
	s_or_b64 exec, exec, s[2:3]
	v_cvt_f32_f16_e32 v5, v5
	s_mov_b32 s9, 0x43f00000
	v_mov_b32_e32 v22, 0x7f
	v_mov_b32_e32 v23, 0x7f
	v_mul_f32_e32 v5, v9, v5
	v_max_f32_e32 v5, v5, v10
	v_min_f32_e32 v5, v5, v21
	v_and_b32_e32 v26, 0x7fffffff, v5
	v_cmp_gt_u32_e32 vcc, s9, v26
	s_and_saveexec_b64 s[2:3], vcc
	s_cbranch_execz .LBB39_29
; %bb.24:
	s_mov_b32 s10, 0x3c7fffff
	v_cmp_lt_u32_e32 vcc, s10, v26
                                        ; implicit-def: $vgpr23
	s_and_saveexec_b64 s[10:11], vcc
	s_xor_b64 s[10:11], exec, s[10:11]
; %bb.25:
	v_bfe_u32 v23, v5, 20, 1
	s_mov_b32 s12, 0x407ffff
	v_add3_u32 v23, v5, v23, s12
	v_lshrrev_b32_e32 v23, 20, v23
; %bb.26:
	s_andn2_saveexec_b64 s[10:11], s[10:11]
; %bb.27:
	s_mov_b32 s12, 0x46800000
	v_add_f32_e64 v23, |v5|, s12
; %bb.28:
	s_or_b64 exec, exec, s[10:11]
.LBB39_29:
	s_or_b64 exec, exec, s[2:3]
	v_cvt_f32_f16_e32 v24, v24
	v_mul_f32_e32 v24, v9, v24
	v_max_f32_e32 v24, v24, v10
	v_min_f32_e32 v24, v24, v21
	v_and_b32_e32 v26, 0x7fffffff, v24
	v_cmp_gt_u32_e32 vcc, s9, v26
	s_and_saveexec_b64 s[2:3], vcc
	s_cbranch_execz .LBB39_35
; %bb.30:
	s_mov_b32 s9, 0x3c7fffff
	v_cmp_lt_u32_e32 vcc, s9, v26
                                        ; implicit-def: $vgpr22
	s_and_saveexec_b64 s[10:11], vcc
	s_xor_b64 s[10:11], exec, s[10:11]
; %bb.31:
	v_bfe_u32 v22, v24, 20, 1
	s_mov_b32 s9, 0x407ffff
	v_add3_u32 v22, v24, v22, s9
	v_lshrrev_b32_e32 v22, 20, v22
; %bb.32:
	s_andn2_saveexec_b64 s[10:11], s[10:11]
; %bb.33:
	s_mov_b32 s9, 0x46800000
	v_add_f32_e64 v22, |v24|, s9
; %bb.34:
	s_or_b64 exec, exec, s[10:11]
.LBB39_35:
	s_or_b64 exec, exec, s[2:3]
	v_cvt_f32_f16_e32 v6, v6
	s_mov_b32 s9, 0x43f00000
	v_mov_b32_e32 v26, 0x7f
	v_mov_b32_e32 v27, 0x7f
	v_mul_f32_e32 v6, v9, v6
	v_max_f32_e32 v6, v6, v10
	v_min_f32_e32 v6, v6, v21
	v_and_b32_e32 v29, 0x7fffffff, v6
	v_cmp_gt_u32_e32 vcc, s9, v29
	s_and_saveexec_b64 s[2:3], vcc
	s_cbranch_execz .LBB39_41
; %bb.36:
	s_mov_b32 s10, 0x3c7fffff
	v_cmp_lt_u32_e32 vcc, s10, v29
                                        ; implicit-def: $vgpr27
	s_and_saveexec_b64 s[10:11], vcc
	s_xor_b64 s[10:11], exec, s[10:11]
; %bb.37:
	v_bfe_u32 v27, v6, 20, 1
	s_mov_b32 s12, 0x407ffff
	v_add3_u32 v27, v6, v27, s12
	v_lshrrev_b32_e32 v27, 20, v27
; %bb.38:
	s_andn2_saveexec_b64 s[10:11], s[10:11]
; %bb.39:
	s_mov_b32 s12, 0x46800000
	v_add_f32_e64 v27, |v6|, s12
; %bb.40:
	s_or_b64 exec, exec, s[10:11]
.LBB39_41:
	s_or_b64 exec, exec, s[2:3]
	v_cvt_f32_f16_e32 v28, v28
	v_mul_f32_e32 v28, v9, v28
	v_max_f32_e32 v28, v28, v10
	v_min_f32_e32 v28, v28, v21
	v_and_b32_e32 v29, 0x7fffffff, v28
	v_cmp_gt_u32_e32 vcc, s9, v29
	s_and_saveexec_b64 s[2:3], vcc
	s_cbranch_execz .LBB39_47
; %bb.42:
	s_mov_b32 s9, 0x3c7fffff
	v_cmp_lt_u32_e32 vcc, s9, v29
                                        ; implicit-def: $vgpr26
	s_and_saveexec_b64 s[10:11], vcc
	s_xor_b64 s[10:11], exec, s[10:11]
; %bb.43:
	v_bfe_u32 v26, v28, 20, 1
	s_mov_b32 s9, 0x407ffff
	v_add3_u32 v26, v28, v26, s9
	v_lshrrev_b32_e32 v26, 20, v26
; %bb.44:
	s_andn2_saveexec_b64 s[10:11], s[10:11]
; %bb.45:
	s_mov_b32 s9, 0x46800000
	v_add_f32_e64 v26, |v28|, s9
; %bb.46:
	s_or_b64 exec, exec, s[10:11]
.LBB39_47:
	s_or_b64 exec, exec, s[2:3]
	v_cvt_f32_f16_e32 v7, v7
	s_mov_b32 s9, 0x43f00000
	v_mov_b32_e32 v29, 0x7f
	v_mov_b32_e32 v30, 0x7f
	v_mul_f32_e32 v7, v9, v7
	v_max_f32_e32 v7, v7, v10
	v_min_f32_e32 v7, v7, v21
	v_and_b32_e32 v31, 0x7fffffff, v7
	v_cmp_gt_u32_e32 vcc, s9, v31
	s_and_saveexec_b64 s[2:3], vcc
	s_cbranch_execz .LBB39_53
; %bb.48:
	s_mov_b32 s10, 0x3c7fffff
	v_cmp_lt_u32_e32 vcc, s10, v31
                                        ; implicit-def: $vgpr30
	s_and_saveexec_b64 s[10:11], vcc
	s_xor_b64 s[10:11], exec, s[10:11]
; %bb.49:
	v_bfe_u32 v30, v7, 20, 1
	s_mov_b32 s12, 0x407ffff
	v_add3_u32 v30, v7, v30, s12
	v_lshrrev_b32_e32 v30, 20, v30
; %bb.50:
	s_andn2_saveexec_b64 s[10:11], s[10:11]
; %bb.51:
	s_mov_b32 s12, 0x46800000
	v_add_f32_e64 v30, |v7|, s12
; %bb.52:
	s_or_b64 exec, exec, s[10:11]
.LBB39_53:
	s_or_b64 exec, exec, s[2:3]
	v_cvt_f32_f16_e32 v25, v25
	v_mul_f32_e32 v25, v9, v25
	v_max_f32_e32 v25, v25, v10
	v_min_f32_e32 v25, v25, v21
	v_and_b32_e32 v31, 0x7fffffff, v25
	v_cmp_gt_u32_e32 vcc, s9, v31
	s_and_saveexec_b64 s[2:3], vcc
	s_cbranch_execz .LBB39_59
; %bb.54:
	s_mov_b32 s9, 0x3c7fffff
	v_cmp_lt_u32_e32 vcc, s9, v31
                                        ; implicit-def: $vgpr29
	s_and_saveexec_b64 s[10:11], vcc
	s_xor_b64 s[10:11], exec, s[10:11]
; %bb.55:
	v_bfe_u32 v29, v25, 20, 1
	s_mov_b32 s9, 0x407ffff
	v_add3_u32 v29, v25, v29, s9
	v_lshrrev_b32_e32 v29, 20, v29
; %bb.56:
	s_andn2_saveexec_b64 s[10:11], s[10:11]
; %bb.57:
	s_mov_b32 s9, 0x46800000
	v_add_f32_e64 v29, |v25|, s9
; %bb.58:
	s_or_b64 exec, exec, s[10:11]
.LBB39_59:
	s_or_b64 exec, exec, s[2:3]
	v_cvt_f32_f16_e32 v0, v0
	s_mov_b32 s9, 0x43f00000
	v_mov_b32_e32 v31, 0x7f
	v_mov_b32_e32 v32, 0x7f
	v_mul_f32_e32 v0, v9, v0
	v_max_f32_e32 v0, v0, v10
	v_min_f32_e32 v0, v0, v21
	v_and_b32_e32 v33, 0x7fffffff, v0
	v_cmp_gt_u32_e32 vcc, s9, v33
	s_and_saveexec_b64 s[2:3], vcc
	s_cbranch_execz .LBB39_65
; %bb.60:
	s_mov_b32 s10, 0x3c7fffff
	v_cmp_lt_u32_e32 vcc, s10, v33
                                        ; implicit-def: $vgpr32
	s_and_saveexec_b64 s[10:11], vcc
	s_xor_b64 s[10:11], exec, s[10:11]
; %bb.61:
	v_bfe_u32 v32, v0, 20, 1
	s_mov_b32 s12, 0x407ffff
	v_add3_u32 v32, v0, v32, s12
	v_lshrrev_b32_e32 v32, 20, v32
; %bb.62:
	s_andn2_saveexec_b64 s[10:11], s[10:11]
; %bb.63:
	s_mov_b32 s12, 0x46800000
	v_add_f32_e64 v32, |v0|, s12
; %bb.64:
	s_or_b64 exec, exec, s[10:11]
.LBB39_65:
	s_or_b64 exec, exec, s[2:3]
	v_cvt_f32_f16_e32 v20, v20
	v_mul_f32_e32 v20, v9, v20
	v_max_f32_e32 v20, v20, v10
	v_min_f32_e32 v20, v20, v21
	v_and_b32_e32 v33, 0x7fffffff, v20
	v_cmp_gt_u32_e32 vcc, s9, v33
	s_and_saveexec_b64 s[2:3], vcc
	s_cbranch_execz .LBB39_71
; %bb.66:
	s_mov_b32 s9, 0x3c7fffff
	v_cmp_lt_u32_e32 vcc, s9, v33
                                        ; implicit-def: $vgpr31
	s_and_saveexec_b64 s[10:11], vcc
	s_xor_b64 s[10:11], exec, s[10:11]
; %bb.67:
	v_bfe_u32 v31, v20, 20, 1
	s_mov_b32 s9, 0x407ffff
	v_add3_u32 v31, v20, v31, s9
	v_lshrrev_b32_e32 v31, 20, v31
; %bb.68:
	s_andn2_saveexec_b64 s[10:11], s[10:11]
; %bb.69:
	s_mov_b32 s9, 0x46800000
	v_add_f32_e64 v31, |v20|, s9
; %bb.70:
	s_or_b64 exec, exec, s[10:11]
.LBB39_71:
	s_or_b64 exec, exec, s[2:3]
	v_cvt_f32_f16_e32 v1, v1
	s_mov_b32 s9, 0x43f00000
	v_mov_b32_e32 v33, 0x7f
	v_mov_b32_e32 v34, 0x7f
	v_mul_f32_e32 v1, v9, v1
	v_max_f32_e32 v1, v1, v10
	v_min_f32_e32 v1, v1, v21
	v_and_b32_e32 v35, 0x7fffffff, v1
	v_cmp_gt_u32_e32 vcc, s9, v35
	s_and_saveexec_b64 s[2:3], vcc
	s_cbranch_execz .LBB39_77
; %bb.72:
	s_mov_b32 s10, 0x3c7fffff
	v_cmp_lt_u32_e32 vcc, s10, v35
                                        ; implicit-def: $vgpr34
	s_and_saveexec_b64 s[10:11], vcc
	s_xor_b64 s[10:11], exec, s[10:11]
; %bb.73:
	v_bfe_u32 v34, v1, 20, 1
	s_mov_b32 s12, 0x407ffff
	v_add3_u32 v34, v1, v34, s12
	v_lshrrev_b32_e32 v34, 20, v34
; %bb.74:
	s_andn2_saveexec_b64 s[10:11], s[10:11]
; %bb.75:
	s_mov_b32 s12, 0x46800000
	v_add_f32_e64 v34, |v1|, s12
; %bb.76:
	s_or_b64 exec, exec, s[10:11]
.LBB39_77:
	s_or_b64 exec, exec, s[2:3]
	v_cvt_f32_f16_e32 v18, v18
	v_mul_f32_e32 v18, v9, v18
	v_max_f32_e32 v18, v18, v10
	v_min_f32_e32 v18, v18, v21
	v_and_b32_e32 v35, 0x7fffffff, v18
	v_cmp_gt_u32_e32 vcc, s9, v35
	s_and_saveexec_b64 s[2:3], vcc
	s_cbranch_execz .LBB39_83
; %bb.78:
	s_mov_b32 s9, 0x3c7fffff
	v_cmp_lt_u32_e32 vcc, s9, v35
                                        ; implicit-def: $vgpr33
	s_and_saveexec_b64 s[10:11], vcc
	s_xor_b64 s[10:11], exec, s[10:11]
; %bb.79:
	v_bfe_u32 v33, v18, 20, 1
	s_mov_b32 s9, 0x407ffff
	v_add3_u32 v33, v18, v33, s9
	v_lshrrev_b32_e32 v33, 20, v33
; %bb.80:
	s_andn2_saveexec_b64 s[10:11], s[10:11]
; %bb.81:
	s_mov_b32 s9, 0x46800000
	v_add_f32_e64 v33, |v18|, s9
; %bb.82:
	s_or_b64 exec, exec, s[10:11]
.LBB39_83:
	s_or_b64 exec, exec, s[2:3]
	v_cvt_f32_f16_e32 v2, v2
	s_mov_b32 s9, 0x43f00000
	v_mov_b32_e32 v35, 0x7f
	v_mov_b32_e32 v36, 0x7f
	v_mul_f32_e32 v2, v9, v2
	v_max_f32_e32 v2, v2, v10
	v_min_f32_e32 v2, v2, v21
	v_and_b32_e32 v37, 0x7fffffff, v2
	v_cmp_gt_u32_e32 vcc, s9, v37
	s_and_saveexec_b64 s[2:3], vcc
	s_cbranch_execz .LBB39_89
; %bb.84:
	s_mov_b32 s10, 0x3c7fffff
	v_cmp_lt_u32_e32 vcc, s10, v37
                                        ; implicit-def: $vgpr36
	s_and_saveexec_b64 s[10:11], vcc
	s_xor_b64 s[10:11], exec, s[10:11]
; %bb.85:
	v_bfe_u32 v36, v2, 20, 1
	s_mov_b32 s12, 0x407ffff
	v_add3_u32 v36, v2, v36, s12
	v_lshrrev_b32_e32 v36, 20, v36
; %bb.86:
	s_andn2_saveexec_b64 s[10:11], s[10:11]
; %bb.87:
	s_mov_b32 s12, 0x46800000
	v_add_f32_e64 v36, |v2|, s12
; %bb.88:
	s_or_b64 exec, exec, s[10:11]
.LBB39_89:
	s_or_b64 exec, exec, s[2:3]
	v_cvt_f32_f16_e32 v17, v17
	v_mul_f32_e32 v17, v9, v17
	v_max_f32_e32 v17, v17, v10
	v_min_f32_e32 v17, v17, v21
	v_and_b32_e32 v37, 0x7fffffff, v17
	v_cmp_gt_u32_e32 vcc, s9, v37
	s_and_saveexec_b64 s[2:3], vcc
	s_cbranch_execz .LBB39_95
; %bb.90:
	s_mov_b32 s9, 0x3c7fffff
	v_cmp_lt_u32_e32 vcc, s9, v37
                                        ; implicit-def: $vgpr35
	s_and_saveexec_b64 s[10:11], vcc
	s_xor_b64 s[10:11], exec, s[10:11]
; %bb.91:
	v_bfe_u32 v35, v17, 20, 1
	s_mov_b32 s9, 0x407ffff
	v_add3_u32 v35, v17, v35, s9
	v_lshrrev_b32_e32 v35, 20, v35
; %bb.92:
	s_andn2_saveexec_b64 s[10:11], s[10:11]
; %bb.93:
	s_mov_b32 s9, 0x46800000
	v_add_f32_e64 v35, |v17|, s9
; %bb.94:
	s_or_b64 exec, exec, s[10:11]
.LBB39_95:
	s_or_b64 exec, exec, s[2:3]
	v_cvt_f32_f16_e32 v37, v3
	s_mov_b32 s9, 0x43f00000
	v_mov_b32_e32 v3, 0x7f
	v_mov_b32_e32 v38, 0x7f
	v_mul_f32_e32 v37, v9, v37
	v_max_f32_e32 v37, v37, v10
	v_min_f32_e32 v37, v37, v21
	v_and_b32_e32 v39, 0x7fffffff, v37
	v_cmp_gt_u32_e32 vcc, s9, v39
	s_and_saveexec_b64 s[2:3], vcc
	s_cbranch_execz .LBB39_101
; %bb.96:
	s_mov_b32 s10, 0x3c7fffff
	v_cmp_lt_u32_e32 vcc, s10, v39
                                        ; implicit-def: $vgpr38
	s_and_saveexec_b64 s[10:11], vcc
	s_xor_b64 s[10:11], exec, s[10:11]
; %bb.97:
	v_bfe_u32 v38, v37, 20, 1
	s_mov_b32 s12, 0x407ffff
	v_add3_u32 v38, v37, v38, s12
	v_lshrrev_b32_e32 v38, 20, v38
; %bb.98:
	s_andn2_saveexec_b64 s[10:11], s[10:11]
; %bb.99:
	s_mov_b32 s12, 0x46800000
	v_add_f32_e64 v38, |v37|, s12
; %bb.100:
	s_or_b64 exec, exec, s[10:11]
.LBB39_101:
	s_or_b64 exec, exec, s[2:3]
	v_cvt_f32_f16_e32 v15, v15
	v_mul_f32_e32 v9, v9, v15
	v_max_f32_e32 v9, v9, v10
	v_min_f32_e32 v15, v9, v21
	v_and_b32_e32 v9, 0x7fffffff, v15
	v_cmp_gt_u32_e32 vcc, s9, v9
	s_and_saveexec_b64 s[2:3], vcc
	s_cbranch_execz .LBB39_107
; %bb.102:
	s_mov_b32 s9, 0x3c7fffff
	v_cmp_lt_u32_e32 vcc, s9, v9
                                        ; implicit-def: $vgpr3
	s_and_saveexec_b64 s[10:11], vcc
	s_xor_b64 s[10:11], exec, s[10:11]
; %bb.103:
	v_bfe_u32 v3, v15, 20, 1
	s_mov_b32 s9, 0x407ffff
	v_add3_u32 v3, v15, v3, s9
	v_lshrrev_b32_e32 v3, 20, v3
; %bb.104:
	s_andn2_saveexec_b64 s[10:11], s[10:11]
; %bb.105:
	s_mov_b32 s9, 0x46800000
	v_add_f32_e64 v3, |v15|, s9
; %bb.106:
	s_or_b64 exec, exec, s[10:11]
.LBB39_107:
	s_or_b64 exec, exec, s[2:3]
	s_movk_i32 s2, 0x80
	v_and_b32_sdwa v2, v2, s2 dst_sel:DWORD dst_unused:UNUSED_PAD src0_sel:BYTE_3 src1_sel:DWORD
	s_movk_i32 s3, 0xff
	v_and_b32_sdwa v9, v17, s2 dst_sel:DWORD dst_unused:UNUSED_PAD src0_sel:BYTE_3 src1_sel:DWORD
	v_and_or_b32 v2, v36, s3, v2
	v_and_or_b32 v9, v35, s3, v9
	v_lshl_or_b32 v2, v9, 8, v2
	v_and_b32_sdwa v9, v37, s2 dst_sel:DWORD dst_unused:UNUSED_PAD src0_sel:BYTE_3 src1_sel:DWORD
	v_and_or_b32 v9, v38, s3, v9
	v_lshl_or_b32 v2, v9, 16, v2
	v_and_b32_sdwa v0, v0, s2 dst_sel:DWORD dst_unused:UNUSED_PAD src0_sel:BYTE_3 src1_sel:DWORD
	v_and_b32_sdwa v9, v20, s2 dst_sel:DWORD dst_unused:UNUSED_PAD src0_sel:BYTE_3 src1_sel:DWORD
	v_and_or_b32 v0, v32, s3, v0
	v_and_or_b32 v9, v31, s3, v9
	v_and_b32_sdwa v1, v1, s2 dst_sel:DWORD dst_unused:UNUSED_PAD src0_sel:BYTE_3 src1_sel:DWORD
	v_lshl_or_b32 v0, v9, 8, v0
	v_and_or_b32 v1, v34, s3, v1
	v_lshl_or_b32 v0, v1, 16, v0
	v_lshlrev_b32_e32 v1, 24, v33
	v_and_b32_e32 v9, 0x80000000, v18
	v_or3_b32 v10, v9, v1, v0
	v_and_b32_sdwa v0, v6, s2 dst_sel:DWORD dst_unused:UNUSED_PAD src0_sel:BYTE_3 src1_sel:DWORD
	v_and_b32_sdwa v1, v28, s2 dst_sel:DWORD dst_unused:UNUSED_PAD src0_sel:BYTE_3 src1_sel:DWORD
	v_and_or_b32 v0, v27, s3, v0
	v_and_or_b32 v1, v26, s3, v1
	v_lshl_or_b32 v0, v1, 8, v0
	v_and_b32_sdwa v1, v7, s2 dst_sel:DWORD dst_unused:UNUSED_PAD src0_sel:BYTE_3 src1_sel:DWORD
	v_and_or_b32 v1, v30, s3, v1
	v_lshl_or_b32 v0, v1, 16, v0
	v_lshlrev_b32_e32 v1, 24, v29
	v_and_b32_e32 v6, 0x80000000, v25
	v_or3_b32 v9, v6, v1, v0
	v_and_b32_sdwa v0, v4, s2 dst_sel:DWORD dst_unused:UNUSED_PAD src0_sel:BYTE_3 src1_sel:DWORD
	v_and_b32_sdwa v1, v19, s2 dst_sel:DWORD dst_unused:UNUSED_PAD src0_sel:BYTE_3 src1_sel:DWORD
	v_and_or_b32 v0, v11, s3, v0
	v_and_or_b32 v1, v8, s3, v1
	v_lshl_or_b32 v0, v1, 8, v0
	v_and_b32_sdwa v1, v5, s2 dst_sel:DWORD dst_unused:UNUSED_PAD src0_sel:BYTE_3 src1_sel:DWORD
	v_and_or_b32 v1, v23, s3, v1
	v_lshl_or_b32 v0, v1, 16, v0
	v_lshlrev_b32_e32 v1, 24, v22
	v_and_b32_e32 v4, 0x80000000, v24
	v_or3_b32 v8, v4, v1, v0
	v_and_b32_e32 v0, 0x80000000, v15
	v_lshlrev_b32_e32 v1, 24, v3
	v_or3_b32 v11, v0, v1, v2
	s_or_b64 s[6:7], s[6:7], exec
.LBB39_108:
	s_or_b64 exec, exec, s[0:1]
	s_and_b64 exec, exec, s[6:7]
	s_cbranch_execz .LBB39_110
; %bb.109:
	s_load_dwordx2 s[0:1], s[4:5], 0x8
	v_alignbit_b32 v0, v16, v12, 25
	s_ashr_i32 s2, s8, 31
	v_lshlrev_b32_e32 v2, 7, v12
	v_mul_lo_u32 v4, v0, s8
	s_waitcnt lgkmcnt(0)
	v_pk_mov_b32 v[0:1], s[0:1], s[0:1] op_sel:[0,1]
	v_mul_lo_u32 v3, v2, s2
	v_mad_u64_u32 v[0:1], s[0:1], v2, s8, v[0:1]
	v_add3_u32 v1, v4, v1, v3
	v_ashrrev_i32_e32 v2, 31, v14
	v_add_co_u32_e32 v0, vcc, v0, v14
	v_addc_co_u32_e32 v1, vcc, v1, v2, vcc
	v_lshlrev_b32_e32 v2, 4, v13
	v_add_co_u32_e32 v0, vcc, v0, v2
	v_addc_co_u32_e32 v1, vcc, 0, v1, vcc
	global_store_dwordx4 v[0:1], v[8:11], off
.LBB39_110:
	s_endpgm
	.section	.rodata,"a",@progbits
	.p2align	6, 0x0
	.amdhsa_kernel _Z49per_token_group_quant_8bit_packed_register_kernelIN3c104HalfENS0_13Float8_e4m3fnELi128ELi16ELi1EEvPKT_PvPjiiiiilfff
		.amdhsa_group_segment_fixed_size 0
		.amdhsa_private_segment_fixed_size 0
		.amdhsa_kernarg_size 68
		.amdhsa_user_sgpr_count 6
		.amdhsa_user_sgpr_private_segment_buffer 1
		.amdhsa_user_sgpr_dispatch_ptr 0
		.amdhsa_user_sgpr_queue_ptr 0
		.amdhsa_user_sgpr_kernarg_segment_ptr 1
		.amdhsa_user_sgpr_dispatch_id 0
		.amdhsa_user_sgpr_flat_scratch_init 0
		.amdhsa_user_sgpr_kernarg_preload_length 0
		.amdhsa_user_sgpr_kernarg_preload_offset 0
		.amdhsa_user_sgpr_private_segment_size 0
		.amdhsa_uses_dynamic_stack 0
		.amdhsa_system_sgpr_private_segment_wavefront_offset 0
		.amdhsa_system_sgpr_workgroup_id_x 1
		.amdhsa_system_sgpr_workgroup_id_y 1
		.amdhsa_system_sgpr_workgroup_id_z 0
		.amdhsa_system_sgpr_workgroup_info 0
		.amdhsa_system_vgpr_workitem_id 0
		.amdhsa_next_free_vgpr 40
		.amdhsa_next_free_sgpr 24
		.amdhsa_accum_offset 40
		.amdhsa_reserve_vcc 1
		.amdhsa_reserve_flat_scratch 0
		.amdhsa_float_round_mode_32 0
		.amdhsa_float_round_mode_16_64 0
		.amdhsa_float_denorm_mode_32 3
		.amdhsa_float_denorm_mode_16_64 3
		.amdhsa_dx10_clamp 1
		.amdhsa_ieee_mode 1
		.amdhsa_fp16_overflow 0
		.amdhsa_tg_split 0
		.amdhsa_exception_fp_ieee_invalid_op 0
		.amdhsa_exception_fp_denorm_src 0
		.amdhsa_exception_fp_ieee_div_zero 0
		.amdhsa_exception_fp_ieee_overflow 0
		.amdhsa_exception_fp_ieee_underflow 0
		.amdhsa_exception_fp_ieee_inexact 0
		.amdhsa_exception_int_div_zero 0
	.end_amdhsa_kernel
	.section	.text._Z49per_token_group_quant_8bit_packed_register_kernelIN3c104HalfENS0_13Float8_e4m3fnELi128ELi16ELi1EEvPKT_PvPjiiiiilfff,"axG",@progbits,_Z49per_token_group_quant_8bit_packed_register_kernelIN3c104HalfENS0_13Float8_e4m3fnELi128ELi16ELi1EEvPKT_PvPjiiiiilfff,comdat
.Lfunc_end39:
	.size	_Z49per_token_group_quant_8bit_packed_register_kernelIN3c104HalfENS0_13Float8_e4m3fnELi128ELi16ELi1EEvPKT_PvPjiiiiilfff, .Lfunc_end39-_Z49per_token_group_quant_8bit_packed_register_kernelIN3c104HalfENS0_13Float8_e4m3fnELi128ELi16ELi1EEvPKT_PvPjiiiiilfff
                                        ; -- End function
	.section	.AMDGPU.csdata,"",@progbits
; Kernel info:
; codeLenInByte = 3464
; NumSgprs: 28
; NumVgprs: 40
; NumAgprs: 0
; TotalNumVgprs: 40
; ScratchSize: 0
; MemoryBound: 0
; FloatMode: 240
; IeeeMode: 1
; LDSByteSize: 0 bytes/workgroup (compile time only)
; SGPRBlocks: 3
; VGPRBlocks: 4
; NumSGPRsForWavesPerEU: 28
; NumVGPRsForWavesPerEU: 40
; AccumOffset: 40
; Occupancy: 8
; WaveLimiterHint : 0
; COMPUTE_PGM_RSRC2:SCRATCH_EN: 0
; COMPUTE_PGM_RSRC2:USER_SGPR: 6
; COMPUTE_PGM_RSRC2:TRAP_HANDLER: 0
; COMPUTE_PGM_RSRC2:TGID_X_EN: 1
; COMPUTE_PGM_RSRC2:TGID_Y_EN: 1
; COMPUTE_PGM_RSRC2:TGID_Z_EN: 0
; COMPUTE_PGM_RSRC2:TIDIG_COMP_CNT: 0
; COMPUTE_PGM_RSRC3_GFX90A:ACCUM_OFFSET: 9
; COMPUTE_PGM_RSRC3_GFX90A:TG_SPLIT: 0
	.section	.text._Z49per_token_group_quant_8bit_packed_register_kernelIN3c104HalfENS0_13Float8_e4m3fnELi128ELi8ELi2EEvPKT_PvPjiiiiilfff,"axG",@progbits,_Z49per_token_group_quant_8bit_packed_register_kernelIN3c104HalfENS0_13Float8_e4m3fnELi128ELi8ELi2EEvPKT_PvPjiiiiilfff,comdat
	.protected	_Z49per_token_group_quant_8bit_packed_register_kernelIN3c104HalfENS0_13Float8_e4m3fnELi128ELi8ELi2EEvPKT_PvPjiiiiilfff ; -- Begin function _Z49per_token_group_quant_8bit_packed_register_kernelIN3c104HalfENS0_13Float8_e4m3fnELi128ELi8ELi2EEvPKT_PvPjiiiiilfff
	.globl	_Z49per_token_group_quant_8bit_packed_register_kernelIN3c104HalfENS0_13Float8_e4m3fnELi128ELi8ELi2EEvPKT_PvPjiiiiilfff
	.p2align	8
	.type	_Z49per_token_group_quant_8bit_packed_register_kernelIN3c104HalfENS0_13Float8_e4m3fnELi128ELi8ELi2EEvPKT_PvPjiiiiilfff,@function
_Z49per_token_group_quant_8bit_packed_register_kernelIN3c104HalfENS0_13Float8_e4m3fnELi128ELi8ELi2EEvPKT_PvPjiiiiilfff: ; @_Z49per_token_group_quant_8bit_packed_register_kernelIN3c104HalfENS0_13Float8_e4m3fnELi128ELi8ELi2EEvPKT_PvPjiiiiilfff
; %bb.0:
	s_load_dwordx4 s[8:11], s[4:5], 0x1c
	v_lshrrev_b32_e32 v1, 6, v0
	v_lshl_add_u32 v12, s7, 1, v1
	s_waitcnt lgkmcnt(0)
	v_cmp_gt_i32_e32 vcc, s11, v12
	s_and_saveexec_b64 s[0:1], vcc
	s_cbranch_execz .LBB40_110
; %bb.1:
	s_load_dwordx4 s[12:15], s[4:5], 0x38
	v_lshrrev_b32_e32 v1, 3, v0
	s_lshl_b32 s0, s6, 3
	v_and_or_b32 v10, v1, 7, s0
	v_cmp_gt_i32_e64 s[2:3], s9, v12
	v_cmp_gt_i32_e64 s[0:1], s8, v10
	v_and_b32_e32 v13, 7, v0
	s_and_b64 s[6:7], s[2:3], s[0:1]
	s_waitcnt lgkmcnt(0)
	v_mov_b32_e32 v8, s12
	v_ashrrev_i32_e32 v16, 31, v12
	v_lshlrev_b32_e32 v14, 7, v10
                                        ; implicit-def: $vgpr15
                                        ; implicit-def: $vgpr3
                                        ; implicit-def: $vgpr17
                                        ; implicit-def: $vgpr18
                                        ; implicit-def: $vgpr20
                                        ; implicit-def: $vgpr25
                                        ; implicit-def: $vgpr7
                                        ; implicit-def: $vgpr28
                                        ; implicit-def: $vgpr24
                                        ; implicit-def: $vgpr19
	s_and_saveexec_b64 s[16:17], s[6:7]
	s_cbranch_execz .LBB40_3
; %bb.2:
	s_load_dwordx2 s[18:19], s[4:5], 0x0
	v_alignbit_b32 v0, v16, v12, 24
	s_ashr_i32 s9, s8, 31
	v_lshlrev_b32_e32 v2, 8, v12
	v_mul_lo_u32 v4, v0, s8
	s_waitcnt lgkmcnt(0)
	v_pk_mov_b32 v[0:1], s[18:19], s[18:19] op_sel:[0,1]
	v_mul_lo_u32 v3, v2, s9
	v_mad_u64_u32 v[0:1], s[18:19], v2, s8, v[0:1]
	v_ashrrev_i32_e32 v15, 31, v14
	v_add3_u32 v1, v4, v1, v3
	v_lshlrev_b64 v[2:3], 1, v[14:15]
	v_add_co_u32_e32 v0, vcc, v0, v2
	v_addc_co_u32_e32 v1, vcc, v1, v3, vcc
	v_lshlrev_b32_e32 v2, 5, v13
	v_add_co_u32_e32 v8, vcc, v0, v2
	v_addc_co_u32_e32 v9, vcc, 0, v1, vcc
	global_load_dwordx4 v[4:7], v[8:9], off
	global_load_dwordx4 v[0:3], v[8:9], off offset:16
	s_waitcnt vmcnt(1)
	v_lshrrev_b32_e32 v19, 16, v4
	v_lshrrev_b32_e32 v24, 16, v5
	v_cvt_f32_f16_e64 v8, |v4|
	v_cvt_f32_f16_e64 v29, |v19|
	v_lshrrev_b32_e32 v28, 16, v6
	v_cvt_f32_f16_e64 v9, |v5|
	v_cvt_f32_f16_e64 v30, |v24|
	;; [unrolled: 3-line block ×3, first 2 shown]
	s_waitcnt vmcnt(0)
	v_lshrrev_b32_e32 v20, 16, v0
	v_cvt_f32_f16_e64 v21, |v7|
	v_cvt_f32_f16_e64 v32, |v25|
	v_lshrrev_b32_e32 v18, 16, v1
	v_cvt_f32_f16_e64 v22, |v0|
	v_cvt_f32_f16_e64 v33, |v20|
	v_max3_f32 v8, s12, v8, v29
	v_lshrrev_b32_e32 v17, 16, v2
	v_cvt_f32_f16_e64 v23, |v1|
	v_cvt_f32_f16_e64 v34, |v18|
	v_max3_f32 v8, v8, v9, v30
	;; [unrolled: 4-line block ×3, first 2 shown]
	v_cvt_f32_f16_e64 v27, |v3|
	v_max3_f32 v8, v8, v21, v32
	v_cvt_f32_f16_e64 v9, |v15|
	v_max3_f32 v8, v8, v22, v33
	v_max3_f32 v8, v8, v23, v34
	;; [unrolled: 1-line block ×4, first 2 shown]
.LBB40_3:
	s_or_b64 exec, exec, s[16:17]
	v_mbcnt_lo_u32_b32 v9, -1, 0
	v_mbcnt_hi_u32_b32 v9, -1, v9
	v_and_b32_e32 v21, 0x78, v9
	v_xor_b32_e32 v11, 4, v9
	v_add_u32_e32 v21, 8, v21
	v_cmp_lt_i32_e32 vcc, v11, v21
	v_cndmask_b32_e32 v11, v9, v11, vcc
	v_lshlrev_b32_e32 v11, 2, v11
	ds_bpermute_b32 v11, v11, v8
	v_xor_b32_e32 v22, 2, v9
	v_max_f32_e32 v8, v8, v8
	v_cmp_lt_i32_e32 vcc, v22, v21
	s_waitcnt lgkmcnt(0)
	v_max_f32_e32 v11, v11, v11
	v_max_f32_e32 v8, v8, v11
	v_cndmask_b32_e32 v11, v9, v22, vcc
	v_lshlrev_b32_e32 v11, 2, v11
	ds_bpermute_b32 v11, v11, v8
	v_xor_b32_e32 v22, 1, v9
	v_cmp_lt_i32_e32 vcc, v22, v21
	v_cndmask_b32_e32 v9, v9, v22, vcc
	v_lshlrev_b32_e32 v9, 2, v9
	s_waitcnt lgkmcnt(0)
	v_max_f32_e32 v11, v11, v11
	v_max_f32_e32 v8, v8, v11
	ds_bpermute_b32 v9, v9, v8
	s_waitcnt lgkmcnt(0)
	v_max_f32_e32 v9, v9, v9
	v_max_f32_e32 v8, v8, v9
	v_div_scale_f32 v9, s[16:17], s14, s14, v8
	v_rcp_f32_e32 v11, v9
	v_div_scale_f32 v21, vcc, v8, s14, v8
	s_xor_b64 s[16:17], s[6:7], -1
	v_fma_f32 v22, -v9, v11, 1.0
	v_fmac_f32_e32 v11, v22, v11
	v_mul_f32_e32 v22, v21, v11
	v_fma_f32 v23, -v9, v22, v21
	v_fmac_f32_e32 v22, v23, v11
	v_fma_f32 v9, -v9, v22, v21
	v_div_fmas_f32 v9, v9, v11, v22
	v_div_fixup_f32 v8, v9, s14, v8
	v_max_f32_e32 v8, 0x2edbe6ff, v8
	v_lshrrev_b32_e32 v9, 23, v8
	v_and_b32_e32 v8, 0x7fffff, v8
	v_cmp_ne_u32_e32 vcc, 0, v8
	v_addc_co_u32_e32 v21, vcc, 0, v9, vcc
	v_cmp_eq_u32_e32 vcc, 0, v13
	s_and_saveexec_b64 s[18:19], vcc
	s_cbranch_execz .LBB40_8
; %bb.4:
	v_ashrrev_i32_e32 v8, 31, v10
	v_lshrrev_b32_e32 v8, 30, v8
	v_add_u32_e32 v8, v10, v8
	v_ashrrev_i32_e32 v11, 2, v8
	v_mad_u64_u32 v[8:9], s[20:21], v11, s11, v[12:13]
	v_mov_b32_e32 v22, v21
	s_and_saveexec_b64 s[20:21], s[16:17]
	s_cbranch_execz .LBB40_6
; %bb.5:
	s_load_dwordx2 s[22:23], s[4:5], 0x30
	v_ashrrev_i32_e32 v9, 31, v8
	s_andn2_b64 s[6:7], s[6:7], exec
	v_mov_b32_e32 v22, 0
	s_waitcnt lgkmcnt(0)
	v_cmp_gt_i64_e32 vcc, s[22:23], v[8:9]
	s_and_b64 s[22:23], vcc, exec
	s_or_b64 s[6:7], s[6:7], s[22:23]
.LBB40_6:
	s_or_b64 exec, exec, s[20:21]
	s_and_b64 exec, exec, s[6:7]
	s_cbranch_execz .LBB40_8
; %bb.7:
	s_load_dwordx2 s[6:7], s[4:5], 0x10
	v_lshlrev_b32_e32 v9, 2, v11
	v_sub_u32_e32 v9, v10, v9
	v_lshl_add_u32 v8, v8, 2, v9
	v_ashrrev_i32_e32 v9, 31, v8
	s_waitcnt lgkmcnt(0)
	v_mov_b32_e32 v10, s7
	v_add_co_u32_e32 v8, vcc, s6, v8
	v_addc_co_u32_e32 v9, vcc, v10, v9, vcc
	global_store_byte v[8:9], v22, off
.LBB40_8:
	s_or_b64 exec, exec, s[18:19]
	s_mov_b64 s[6:7], 0
                                        ; implicit-def: $sgpr9
	s_and_saveexec_b64 s[18:19], s[16:17]
	s_xor_b64 s[16:17], exec, s[18:19]
; %bb.9:
	s_xor_b64 s[2:3], s[2:3], -1
	v_cmp_gt_i32_e32 vcc, s10, v12
	s_and_b64 s[2:3], vcc, s[2:3]
	s_and_b64 s[0:1], s[0:1], s[2:3]
	s_mov_b32 s9, 0
	s_and_b64 s[6:7], s[0:1], exec
                                        ; implicit-def: $vgpr15
                                        ; implicit-def: $vgpr3
                                        ; implicit-def: $vgpr17
                                        ; implicit-def: $vgpr18
                                        ; implicit-def: $vgpr20
                                        ; implicit-def: $vgpr25
                                        ; implicit-def: $vgpr7
                                        ; implicit-def: $vgpr28
                                        ; implicit-def: $vgpr24
                                        ; implicit-def: $vgpr19
                                        ; implicit-def: $vgpr21
; %bb.10:
	s_or_saveexec_b64 s[0:1], s[16:17]
	v_mov_b32_e32 v11, s9
	v_mov_b32_e32 v10, s9
	;; [unrolled: 1-line block ×4, first 2 shown]
	s_xor_b64 exec, exec, s[0:1]
	s_cbranch_execz .LBB40_108
; %bb.11:
	v_lshlrev_b32_e32 v8, 23, v21
	v_and_b32_e32 v8, 0x7f800000, v8
	v_div_scale_f32 v9, s[2:3], v8, v8, 1.0
	v_rcp_f32_e32 v10, v9
	v_div_scale_f32 v11, vcc, 1.0, v8, 1.0
	v_cvt_f32_f16_e32 v4, v4
	v_fma_f32 v21, -v9, v10, 1.0
	v_fmac_f32_e32 v10, v21, v10
	v_mul_f32_e32 v21, v11, v10
	v_fma_f32 v22, -v9, v21, v11
	v_fmac_f32_e32 v21, v22, v10
	v_fma_f32 v9, -v9, v21, v11
	v_div_fmas_f32 v9, v9, v10, v21
	v_div_fixup_f32 v9, v9, v8, 1.0
	v_mul_f32_e32 v4, v9, v4
	v_max_f32_e64 v10, s13, s13
	v_max_f32_e32 v4, v4, v10
	v_max_f32_e64 v21, s14, s14
	v_min_f32_e32 v4, v4, v21
	v_and_b32_e32 v22, 0x7fffffff, v4
	s_mov_b32 s9, 0x43f00000
	v_cmp_gt_u32_e32 vcc, s9, v22
	v_mov_b32_e32 v8, 0x7f
	v_mov_b32_e32 v11, 0x7f
	s_and_saveexec_b64 s[2:3], vcc
	s_cbranch_execz .LBB40_17
; %bb.12:
	s_mov_b32 s10, 0x3c7fffff
	v_cmp_lt_u32_e32 vcc, s10, v22
                                        ; implicit-def: $vgpr11
	s_and_saveexec_b64 s[10:11], vcc
	s_xor_b64 s[10:11], exec, s[10:11]
; %bb.13:
	v_bfe_u32 v11, v4, 20, 1
	s_mov_b32 s12, 0x407ffff
	v_add3_u32 v11, v4, v11, s12
	v_lshrrev_b32_e32 v11, 20, v11
; %bb.14:
	s_andn2_saveexec_b64 s[10:11], s[10:11]
; %bb.15:
	s_mov_b32 s12, 0x46800000
	v_add_f32_e64 v11, |v4|, s12
; %bb.16:
	s_or_b64 exec, exec, s[10:11]
.LBB40_17:
	s_or_b64 exec, exec, s[2:3]
	v_cvt_f32_f16_e32 v19, v19
	v_mul_f32_e32 v19, v9, v19
	v_max_f32_e32 v19, v19, v10
	v_min_f32_e32 v19, v19, v21
	v_and_b32_e32 v22, 0x7fffffff, v19
	v_cmp_gt_u32_e32 vcc, s9, v22
	s_and_saveexec_b64 s[2:3], vcc
	s_cbranch_execz .LBB40_23
; %bb.18:
	s_mov_b32 s9, 0x3c7fffff
	v_cmp_lt_u32_e32 vcc, s9, v22
                                        ; implicit-def: $vgpr8
	s_and_saveexec_b64 s[10:11], vcc
	s_xor_b64 s[10:11], exec, s[10:11]
; %bb.19:
	v_bfe_u32 v8, v19, 20, 1
	s_mov_b32 s9, 0x407ffff
	v_add3_u32 v8, v19, v8, s9
	v_lshrrev_b32_e32 v8, 20, v8
; %bb.20:
	s_andn2_saveexec_b64 s[10:11], s[10:11]
; %bb.21:
	s_mov_b32 s9, 0x46800000
	v_add_f32_e64 v8, |v19|, s9
; %bb.22:
	s_or_b64 exec, exec, s[10:11]
.LBB40_23:
	s_or_b64 exec, exec, s[2:3]
	v_cvt_f32_f16_e32 v5, v5
	s_mov_b32 s9, 0x43f00000
	v_mov_b32_e32 v22, 0x7f
	v_mov_b32_e32 v23, 0x7f
	v_mul_f32_e32 v5, v9, v5
	v_max_f32_e32 v5, v5, v10
	v_min_f32_e32 v5, v5, v21
	v_and_b32_e32 v26, 0x7fffffff, v5
	v_cmp_gt_u32_e32 vcc, s9, v26
	s_and_saveexec_b64 s[2:3], vcc
	s_cbranch_execz .LBB40_29
; %bb.24:
	s_mov_b32 s10, 0x3c7fffff
	v_cmp_lt_u32_e32 vcc, s10, v26
                                        ; implicit-def: $vgpr23
	s_and_saveexec_b64 s[10:11], vcc
	s_xor_b64 s[10:11], exec, s[10:11]
; %bb.25:
	v_bfe_u32 v23, v5, 20, 1
	s_mov_b32 s12, 0x407ffff
	v_add3_u32 v23, v5, v23, s12
	v_lshrrev_b32_e32 v23, 20, v23
; %bb.26:
	s_andn2_saveexec_b64 s[10:11], s[10:11]
; %bb.27:
	s_mov_b32 s12, 0x46800000
	v_add_f32_e64 v23, |v5|, s12
; %bb.28:
	s_or_b64 exec, exec, s[10:11]
.LBB40_29:
	s_or_b64 exec, exec, s[2:3]
	v_cvt_f32_f16_e32 v24, v24
	v_mul_f32_e32 v24, v9, v24
	v_max_f32_e32 v24, v24, v10
	v_min_f32_e32 v24, v24, v21
	v_and_b32_e32 v26, 0x7fffffff, v24
	v_cmp_gt_u32_e32 vcc, s9, v26
	s_and_saveexec_b64 s[2:3], vcc
	s_cbranch_execz .LBB40_35
; %bb.30:
	s_mov_b32 s9, 0x3c7fffff
	v_cmp_lt_u32_e32 vcc, s9, v26
                                        ; implicit-def: $vgpr22
	s_and_saveexec_b64 s[10:11], vcc
	s_xor_b64 s[10:11], exec, s[10:11]
; %bb.31:
	v_bfe_u32 v22, v24, 20, 1
	s_mov_b32 s9, 0x407ffff
	v_add3_u32 v22, v24, v22, s9
	v_lshrrev_b32_e32 v22, 20, v22
; %bb.32:
	s_andn2_saveexec_b64 s[10:11], s[10:11]
; %bb.33:
	s_mov_b32 s9, 0x46800000
	v_add_f32_e64 v22, |v24|, s9
; %bb.34:
	s_or_b64 exec, exec, s[10:11]
.LBB40_35:
	s_or_b64 exec, exec, s[2:3]
	v_cvt_f32_f16_e32 v6, v6
	s_mov_b32 s9, 0x43f00000
	v_mov_b32_e32 v26, 0x7f
	v_mov_b32_e32 v27, 0x7f
	v_mul_f32_e32 v6, v9, v6
	v_max_f32_e32 v6, v6, v10
	v_min_f32_e32 v6, v6, v21
	v_and_b32_e32 v29, 0x7fffffff, v6
	v_cmp_gt_u32_e32 vcc, s9, v29
	s_and_saveexec_b64 s[2:3], vcc
	s_cbranch_execz .LBB40_41
; %bb.36:
	s_mov_b32 s10, 0x3c7fffff
	v_cmp_lt_u32_e32 vcc, s10, v29
                                        ; implicit-def: $vgpr27
	s_and_saveexec_b64 s[10:11], vcc
	s_xor_b64 s[10:11], exec, s[10:11]
; %bb.37:
	v_bfe_u32 v27, v6, 20, 1
	s_mov_b32 s12, 0x407ffff
	v_add3_u32 v27, v6, v27, s12
	v_lshrrev_b32_e32 v27, 20, v27
; %bb.38:
	s_andn2_saveexec_b64 s[10:11], s[10:11]
; %bb.39:
	s_mov_b32 s12, 0x46800000
	v_add_f32_e64 v27, |v6|, s12
; %bb.40:
	s_or_b64 exec, exec, s[10:11]
.LBB40_41:
	s_or_b64 exec, exec, s[2:3]
	v_cvt_f32_f16_e32 v28, v28
	v_mul_f32_e32 v28, v9, v28
	v_max_f32_e32 v28, v28, v10
	v_min_f32_e32 v28, v28, v21
	v_and_b32_e32 v29, 0x7fffffff, v28
	v_cmp_gt_u32_e32 vcc, s9, v29
	s_and_saveexec_b64 s[2:3], vcc
	s_cbranch_execz .LBB40_47
; %bb.42:
	s_mov_b32 s9, 0x3c7fffff
	v_cmp_lt_u32_e32 vcc, s9, v29
                                        ; implicit-def: $vgpr26
	s_and_saveexec_b64 s[10:11], vcc
	s_xor_b64 s[10:11], exec, s[10:11]
; %bb.43:
	v_bfe_u32 v26, v28, 20, 1
	s_mov_b32 s9, 0x407ffff
	v_add3_u32 v26, v28, v26, s9
	v_lshrrev_b32_e32 v26, 20, v26
; %bb.44:
	s_andn2_saveexec_b64 s[10:11], s[10:11]
; %bb.45:
	s_mov_b32 s9, 0x46800000
	v_add_f32_e64 v26, |v28|, s9
; %bb.46:
	s_or_b64 exec, exec, s[10:11]
.LBB40_47:
	s_or_b64 exec, exec, s[2:3]
	v_cvt_f32_f16_e32 v7, v7
	s_mov_b32 s9, 0x43f00000
	v_mov_b32_e32 v29, 0x7f
	v_mov_b32_e32 v30, 0x7f
	v_mul_f32_e32 v7, v9, v7
	v_max_f32_e32 v7, v7, v10
	v_min_f32_e32 v7, v7, v21
	v_and_b32_e32 v31, 0x7fffffff, v7
	v_cmp_gt_u32_e32 vcc, s9, v31
	s_and_saveexec_b64 s[2:3], vcc
	s_cbranch_execz .LBB40_53
; %bb.48:
	s_mov_b32 s10, 0x3c7fffff
	v_cmp_lt_u32_e32 vcc, s10, v31
                                        ; implicit-def: $vgpr30
	s_and_saveexec_b64 s[10:11], vcc
	s_xor_b64 s[10:11], exec, s[10:11]
; %bb.49:
	v_bfe_u32 v30, v7, 20, 1
	s_mov_b32 s12, 0x407ffff
	v_add3_u32 v30, v7, v30, s12
	v_lshrrev_b32_e32 v30, 20, v30
; %bb.50:
	s_andn2_saveexec_b64 s[10:11], s[10:11]
; %bb.51:
	s_mov_b32 s12, 0x46800000
	v_add_f32_e64 v30, |v7|, s12
; %bb.52:
	s_or_b64 exec, exec, s[10:11]
.LBB40_53:
	s_or_b64 exec, exec, s[2:3]
	v_cvt_f32_f16_e32 v25, v25
	v_mul_f32_e32 v25, v9, v25
	v_max_f32_e32 v25, v25, v10
	v_min_f32_e32 v25, v25, v21
	v_and_b32_e32 v31, 0x7fffffff, v25
	v_cmp_gt_u32_e32 vcc, s9, v31
	s_and_saveexec_b64 s[2:3], vcc
	s_cbranch_execz .LBB40_59
; %bb.54:
	s_mov_b32 s9, 0x3c7fffff
	v_cmp_lt_u32_e32 vcc, s9, v31
                                        ; implicit-def: $vgpr29
	s_and_saveexec_b64 s[10:11], vcc
	s_xor_b64 s[10:11], exec, s[10:11]
; %bb.55:
	v_bfe_u32 v29, v25, 20, 1
	s_mov_b32 s9, 0x407ffff
	v_add3_u32 v29, v25, v29, s9
	v_lshrrev_b32_e32 v29, 20, v29
; %bb.56:
	s_andn2_saveexec_b64 s[10:11], s[10:11]
; %bb.57:
	s_mov_b32 s9, 0x46800000
	v_add_f32_e64 v29, |v25|, s9
; %bb.58:
	s_or_b64 exec, exec, s[10:11]
.LBB40_59:
	s_or_b64 exec, exec, s[2:3]
	v_cvt_f32_f16_e32 v0, v0
	s_mov_b32 s9, 0x43f00000
	v_mov_b32_e32 v31, 0x7f
	v_mov_b32_e32 v32, 0x7f
	v_mul_f32_e32 v0, v9, v0
	v_max_f32_e32 v0, v0, v10
	v_min_f32_e32 v0, v0, v21
	v_and_b32_e32 v33, 0x7fffffff, v0
	v_cmp_gt_u32_e32 vcc, s9, v33
	s_and_saveexec_b64 s[2:3], vcc
	s_cbranch_execz .LBB40_65
; %bb.60:
	s_mov_b32 s10, 0x3c7fffff
	v_cmp_lt_u32_e32 vcc, s10, v33
                                        ; implicit-def: $vgpr32
	s_and_saveexec_b64 s[10:11], vcc
	s_xor_b64 s[10:11], exec, s[10:11]
; %bb.61:
	v_bfe_u32 v32, v0, 20, 1
	s_mov_b32 s12, 0x407ffff
	v_add3_u32 v32, v0, v32, s12
	v_lshrrev_b32_e32 v32, 20, v32
; %bb.62:
	s_andn2_saveexec_b64 s[10:11], s[10:11]
; %bb.63:
	s_mov_b32 s12, 0x46800000
	v_add_f32_e64 v32, |v0|, s12
; %bb.64:
	s_or_b64 exec, exec, s[10:11]
.LBB40_65:
	s_or_b64 exec, exec, s[2:3]
	v_cvt_f32_f16_e32 v20, v20
	v_mul_f32_e32 v20, v9, v20
	v_max_f32_e32 v20, v20, v10
	v_min_f32_e32 v20, v20, v21
	v_and_b32_e32 v33, 0x7fffffff, v20
	v_cmp_gt_u32_e32 vcc, s9, v33
	s_and_saveexec_b64 s[2:3], vcc
	s_cbranch_execz .LBB40_71
; %bb.66:
	s_mov_b32 s9, 0x3c7fffff
	v_cmp_lt_u32_e32 vcc, s9, v33
                                        ; implicit-def: $vgpr31
	s_and_saveexec_b64 s[10:11], vcc
	s_xor_b64 s[10:11], exec, s[10:11]
; %bb.67:
	v_bfe_u32 v31, v20, 20, 1
	s_mov_b32 s9, 0x407ffff
	v_add3_u32 v31, v20, v31, s9
	v_lshrrev_b32_e32 v31, 20, v31
; %bb.68:
	s_andn2_saveexec_b64 s[10:11], s[10:11]
; %bb.69:
	s_mov_b32 s9, 0x46800000
	v_add_f32_e64 v31, |v20|, s9
; %bb.70:
	s_or_b64 exec, exec, s[10:11]
.LBB40_71:
	s_or_b64 exec, exec, s[2:3]
	v_cvt_f32_f16_e32 v1, v1
	s_mov_b32 s9, 0x43f00000
	v_mov_b32_e32 v33, 0x7f
	v_mov_b32_e32 v34, 0x7f
	v_mul_f32_e32 v1, v9, v1
	v_max_f32_e32 v1, v1, v10
	v_min_f32_e32 v1, v1, v21
	v_and_b32_e32 v35, 0x7fffffff, v1
	v_cmp_gt_u32_e32 vcc, s9, v35
	s_and_saveexec_b64 s[2:3], vcc
	s_cbranch_execz .LBB40_77
; %bb.72:
	s_mov_b32 s10, 0x3c7fffff
	v_cmp_lt_u32_e32 vcc, s10, v35
                                        ; implicit-def: $vgpr34
	s_and_saveexec_b64 s[10:11], vcc
	s_xor_b64 s[10:11], exec, s[10:11]
; %bb.73:
	v_bfe_u32 v34, v1, 20, 1
	s_mov_b32 s12, 0x407ffff
	v_add3_u32 v34, v1, v34, s12
	v_lshrrev_b32_e32 v34, 20, v34
; %bb.74:
	s_andn2_saveexec_b64 s[10:11], s[10:11]
; %bb.75:
	s_mov_b32 s12, 0x46800000
	v_add_f32_e64 v34, |v1|, s12
; %bb.76:
	s_or_b64 exec, exec, s[10:11]
.LBB40_77:
	s_or_b64 exec, exec, s[2:3]
	v_cvt_f32_f16_e32 v18, v18
	v_mul_f32_e32 v18, v9, v18
	v_max_f32_e32 v18, v18, v10
	v_min_f32_e32 v18, v18, v21
	v_and_b32_e32 v35, 0x7fffffff, v18
	v_cmp_gt_u32_e32 vcc, s9, v35
	s_and_saveexec_b64 s[2:3], vcc
	s_cbranch_execz .LBB40_83
; %bb.78:
	s_mov_b32 s9, 0x3c7fffff
	v_cmp_lt_u32_e32 vcc, s9, v35
                                        ; implicit-def: $vgpr33
	s_and_saveexec_b64 s[10:11], vcc
	s_xor_b64 s[10:11], exec, s[10:11]
; %bb.79:
	v_bfe_u32 v33, v18, 20, 1
	s_mov_b32 s9, 0x407ffff
	v_add3_u32 v33, v18, v33, s9
	v_lshrrev_b32_e32 v33, 20, v33
; %bb.80:
	s_andn2_saveexec_b64 s[10:11], s[10:11]
; %bb.81:
	s_mov_b32 s9, 0x46800000
	v_add_f32_e64 v33, |v18|, s9
; %bb.82:
	s_or_b64 exec, exec, s[10:11]
.LBB40_83:
	s_or_b64 exec, exec, s[2:3]
	v_cvt_f32_f16_e32 v2, v2
	s_mov_b32 s9, 0x43f00000
	v_mov_b32_e32 v35, 0x7f
	v_mov_b32_e32 v36, 0x7f
	v_mul_f32_e32 v2, v9, v2
	v_max_f32_e32 v2, v2, v10
	v_min_f32_e32 v2, v2, v21
	v_and_b32_e32 v37, 0x7fffffff, v2
	v_cmp_gt_u32_e32 vcc, s9, v37
	s_and_saveexec_b64 s[2:3], vcc
	s_cbranch_execz .LBB40_89
; %bb.84:
	s_mov_b32 s10, 0x3c7fffff
	v_cmp_lt_u32_e32 vcc, s10, v37
                                        ; implicit-def: $vgpr36
	s_and_saveexec_b64 s[10:11], vcc
	s_xor_b64 s[10:11], exec, s[10:11]
; %bb.85:
	v_bfe_u32 v36, v2, 20, 1
	s_mov_b32 s12, 0x407ffff
	v_add3_u32 v36, v2, v36, s12
	v_lshrrev_b32_e32 v36, 20, v36
; %bb.86:
	s_andn2_saveexec_b64 s[10:11], s[10:11]
; %bb.87:
	s_mov_b32 s12, 0x46800000
	v_add_f32_e64 v36, |v2|, s12
; %bb.88:
	s_or_b64 exec, exec, s[10:11]
.LBB40_89:
	s_or_b64 exec, exec, s[2:3]
	v_cvt_f32_f16_e32 v17, v17
	v_mul_f32_e32 v17, v9, v17
	v_max_f32_e32 v17, v17, v10
	v_min_f32_e32 v17, v17, v21
	v_and_b32_e32 v37, 0x7fffffff, v17
	v_cmp_gt_u32_e32 vcc, s9, v37
	s_and_saveexec_b64 s[2:3], vcc
	s_cbranch_execz .LBB40_95
; %bb.90:
	s_mov_b32 s9, 0x3c7fffff
	v_cmp_lt_u32_e32 vcc, s9, v37
                                        ; implicit-def: $vgpr35
	s_and_saveexec_b64 s[10:11], vcc
	s_xor_b64 s[10:11], exec, s[10:11]
; %bb.91:
	v_bfe_u32 v35, v17, 20, 1
	s_mov_b32 s9, 0x407ffff
	v_add3_u32 v35, v17, v35, s9
	v_lshrrev_b32_e32 v35, 20, v35
; %bb.92:
	s_andn2_saveexec_b64 s[10:11], s[10:11]
; %bb.93:
	s_mov_b32 s9, 0x46800000
	v_add_f32_e64 v35, |v17|, s9
; %bb.94:
	s_or_b64 exec, exec, s[10:11]
.LBB40_95:
	s_or_b64 exec, exec, s[2:3]
	v_cvt_f32_f16_e32 v37, v3
	s_mov_b32 s9, 0x43f00000
	v_mov_b32_e32 v3, 0x7f
	v_mov_b32_e32 v38, 0x7f
	v_mul_f32_e32 v37, v9, v37
	v_max_f32_e32 v37, v37, v10
	v_min_f32_e32 v37, v37, v21
	v_and_b32_e32 v39, 0x7fffffff, v37
	v_cmp_gt_u32_e32 vcc, s9, v39
	s_and_saveexec_b64 s[2:3], vcc
	s_cbranch_execz .LBB40_101
; %bb.96:
	s_mov_b32 s10, 0x3c7fffff
	v_cmp_lt_u32_e32 vcc, s10, v39
                                        ; implicit-def: $vgpr38
	s_and_saveexec_b64 s[10:11], vcc
	s_xor_b64 s[10:11], exec, s[10:11]
; %bb.97:
	v_bfe_u32 v38, v37, 20, 1
	s_mov_b32 s12, 0x407ffff
	v_add3_u32 v38, v37, v38, s12
	v_lshrrev_b32_e32 v38, 20, v38
; %bb.98:
	s_andn2_saveexec_b64 s[10:11], s[10:11]
; %bb.99:
	s_mov_b32 s12, 0x46800000
	v_add_f32_e64 v38, |v37|, s12
; %bb.100:
	s_or_b64 exec, exec, s[10:11]
.LBB40_101:
	s_or_b64 exec, exec, s[2:3]
	v_cvt_f32_f16_e32 v15, v15
	v_mul_f32_e32 v9, v9, v15
	v_max_f32_e32 v9, v9, v10
	v_min_f32_e32 v15, v9, v21
	v_and_b32_e32 v9, 0x7fffffff, v15
	v_cmp_gt_u32_e32 vcc, s9, v9
	s_and_saveexec_b64 s[2:3], vcc
	s_cbranch_execz .LBB40_107
; %bb.102:
	s_mov_b32 s9, 0x3c7fffff
	v_cmp_lt_u32_e32 vcc, s9, v9
                                        ; implicit-def: $vgpr3
	s_and_saveexec_b64 s[10:11], vcc
	s_xor_b64 s[10:11], exec, s[10:11]
; %bb.103:
	v_bfe_u32 v3, v15, 20, 1
	s_mov_b32 s9, 0x407ffff
	v_add3_u32 v3, v15, v3, s9
	v_lshrrev_b32_e32 v3, 20, v3
; %bb.104:
	s_andn2_saveexec_b64 s[10:11], s[10:11]
; %bb.105:
	s_mov_b32 s9, 0x46800000
	v_add_f32_e64 v3, |v15|, s9
; %bb.106:
	s_or_b64 exec, exec, s[10:11]
.LBB40_107:
	s_or_b64 exec, exec, s[2:3]
	s_movk_i32 s2, 0x80
	v_and_b32_sdwa v2, v2, s2 dst_sel:DWORD dst_unused:UNUSED_PAD src0_sel:BYTE_3 src1_sel:DWORD
	s_movk_i32 s3, 0xff
	v_and_b32_sdwa v9, v17, s2 dst_sel:DWORD dst_unused:UNUSED_PAD src0_sel:BYTE_3 src1_sel:DWORD
	v_and_or_b32 v2, v36, s3, v2
	v_and_or_b32 v9, v35, s3, v9
	v_lshl_or_b32 v2, v9, 8, v2
	v_and_b32_sdwa v9, v37, s2 dst_sel:DWORD dst_unused:UNUSED_PAD src0_sel:BYTE_3 src1_sel:DWORD
	v_and_or_b32 v9, v38, s3, v9
	v_lshl_or_b32 v2, v9, 16, v2
	v_and_b32_sdwa v0, v0, s2 dst_sel:DWORD dst_unused:UNUSED_PAD src0_sel:BYTE_3 src1_sel:DWORD
	v_and_b32_sdwa v9, v20, s2 dst_sel:DWORD dst_unused:UNUSED_PAD src0_sel:BYTE_3 src1_sel:DWORD
	v_and_or_b32 v0, v32, s3, v0
	v_and_or_b32 v9, v31, s3, v9
	v_and_b32_sdwa v1, v1, s2 dst_sel:DWORD dst_unused:UNUSED_PAD src0_sel:BYTE_3 src1_sel:DWORD
	v_lshl_or_b32 v0, v9, 8, v0
	v_and_or_b32 v1, v34, s3, v1
	v_lshl_or_b32 v0, v1, 16, v0
	v_lshlrev_b32_e32 v1, 24, v33
	v_and_b32_e32 v9, 0x80000000, v18
	v_or3_b32 v10, v9, v1, v0
	v_and_b32_sdwa v0, v6, s2 dst_sel:DWORD dst_unused:UNUSED_PAD src0_sel:BYTE_3 src1_sel:DWORD
	v_and_b32_sdwa v1, v28, s2 dst_sel:DWORD dst_unused:UNUSED_PAD src0_sel:BYTE_3 src1_sel:DWORD
	v_and_or_b32 v0, v27, s3, v0
	v_and_or_b32 v1, v26, s3, v1
	v_lshl_or_b32 v0, v1, 8, v0
	v_and_b32_sdwa v1, v7, s2 dst_sel:DWORD dst_unused:UNUSED_PAD src0_sel:BYTE_3 src1_sel:DWORD
	v_and_or_b32 v1, v30, s3, v1
	v_lshl_or_b32 v0, v1, 16, v0
	v_lshlrev_b32_e32 v1, 24, v29
	v_and_b32_e32 v6, 0x80000000, v25
	v_or3_b32 v9, v6, v1, v0
	v_and_b32_sdwa v0, v4, s2 dst_sel:DWORD dst_unused:UNUSED_PAD src0_sel:BYTE_3 src1_sel:DWORD
	v_and_b32_sdwa v1, v19, s2 dst_sel:DWORD dst_unused:UNUSED_PAD src0_sel:BYTE_3 src1_sel:DWORD
	v_and_or_b32 v0, v11, s3, v0
	v_and_or_b32 v1, v8, s3, v1
	v_lshl_or_b32 v0, v1, 8, v0
	v_and_b32_sdwa v1, v5, s2 dst_sel:DWORD dst_unused:UNUSED_PAD src0_sel:BYTE_3 src1_sel:DWORD
	v_and_or_b32 v1, v23, s3, v1
	v_lshl_or_b32 v0, v1, 16, v0
	v_lshlrev_b32_e32 v1, 24, v22
	v_and_b32_e32 v4, 0x80000000, v24
	v_or3_b32 v8, v4, v1, v0
	v_and_b32_e32 v0, 0x80000000, v15
	v_lshlrev_b32_e32 v1, 24, v3
	v_or3_b32 v11, v0, v1, v2
	s_or_b64 s[6:7], s[6:7], exec
.LBB40_108:
	s_or_b64 exec, exec, s[0:1]
	s_and_b64 exec, exec, s[6:7]
	s_cbranch_execz .LBB40_110
; %bb.109:
	s_load_dwordx2 s[0:1], s[4:5], 0x8
	v_alignbit_b32 v0, v16, v12, 25
	s_ashr_i32 s2, s8, 31
	v_lshlrev_b32_e32 v2, 7, v12
	v_mul_lo_u32 v4, v0, s8
	s_waitcnt lgkmcnt(0)
	v_pk_mov_b32 v[0:1], s[0:1], s[0:1] op_sel:[0,1]
	v_mul_lo_u32 v3, v2, s2
	v_mad_u64_u32 v[0:1], s[0:1], v2, s8, v[0:1]
	v_add3_u32 v1, v4, v1, v3
	v_ashrrev_i32_e32 v2, 31, v14
	v_add_co_u32_e32 v0, vcc, v0, v14
	v_addc_co_u32_e32 v1, vcc, v1, v2, vcc
	v_lshlrev_b32_e32 v2, 4, v13
	v_add_co_u32_e32 v0, vcc, v0, v2
	v_addc_co_u32_e32 v1, vcc, 0, v1, vcc
	global_store_dwordx4 v[0:1], v[8:11], off
.LBB40_110:
	s_endpgm
	.section	.rodata,"a",@progbits
	.p2align	6, 0x0
	.amdhsa_kernel _Z49per_token_group_quant_8bit_packed_register_kernelIN3c104HalfENS0_13Float8_e4m3fnELi128ELi8ELi2EEvPKT_PvPjiiiiilfff
		.amdhsa_group_segment_fixed_size 0
		.amdhsa_private_segment_fixed_size 0
		.amdhsa_kernarg_size 68
		.amdhsa_user_sgpr_count 6
		.amdhsa_user_sgpr_private_segment_buffer 1
		.amdhsa_user_sgpr_dispatch_ptr 0
		.amdhsa_user_sgpr_queue_ptr 0
		.amdhsa_user_sgpr_kernarg_segment_ptr 1
		.amdhsa_user_sgpr_dispatch_id 0
		.amdhsa_user_sgpr_flat_scratch_init 0
		.amdhsa_user_sgpr_kernarg_preload_length 0
		.amdhsa_user_sgpr_kernarg_preload_offset 0
		.amdhsa_user_sgpr_private_segment_size 0
		.amdhsa_uses_dynamic_stack 0
		.amdhsa_system_sgpr_private_segment_wavefront_offset 0
		.amdhsa_system_sgpr_workgroup_id_x 1
		.amdhsa_system_sgpr_workgroup_id_y 1
		.amdhsa_system_sgpr_workgroup_id_z 0
		.amdhsa_system_sgpr_workgroup_info 0
		.amdhsa_system_vgpr_workitem_id 0
		.amdhsa_next_free_vgpr 40
		.amdhsa_next_free_sgpr 24
		.amdhsa_accum_offset 40
		.amdhsa_reserve_vcc 1
		.amdhsa_reserve_flat_scratch 0
		.amdhsa_float_round_mode_32 0
		.amdhsa_float_round_mode_16_64 0
		.amdhsa_float_denorm_mode_32 3
		.amdhsa_float_denorm_mode_16_64 3
		.amdhsa_dx10_clamp 1
		.amdhsa_ieee_mode 1
		.amdhsa_fp16_overflow 0
		.amdhsa_tg_split 0
		.amdhsa_exception_fp_ieee_invalid_op 0
		.amdhsa_exception_fp_denorm_src 0
		.amdhsa_exception_fp_ieee_div_zero 0
		.amdhsa_exception_fp_ieee_overflow 0
		.amdhsa_exception_fp_ieee_underflow 0
		.amdhsa_exception_fp_ieee_inexact 0
		.amdhsa_exception_int_div_zero 0
	.end_amdhsa_kernel
	.section	.text._Z49per_token_group_quant_8bit_packed_register_kernelIN3c104HalfENS0_13Float8_e4m3fnELi128ELi8ELi2EEvPKT_PvPjiiiiilfff,"axG",@progbits,_Z49per_token_group_quant_8bit_packed_register_kernelIN3c104HalfENS0_13Float8_e4m3fnELi128ELi8ELi2EEvPKT_PvPjiiiiilfff,comdat
.Lfunc_end40:
	.size	_Z49per_token_group_quant_8bit_packed_register_kernelIN3c104HalfENS0_13Float8_e4m3fnELi128ELi8ELi2EEvPKT_PvPjiiiiilfff, .Lfunc_end40-_Z49per_token_group_quant_8bit_packed_register_kernelIN3c104HalfENS0_13Float8_e4m3fnELi128ELi8ELi2EEvPKT_PvPjiiiiilfff
                                        ; -- End function
	.section	.AMDGPU.csdata,"",@progbits
; Kernel info:
; codeLenInByte = 3468
; NumSgprs: 28
; NumVgprs: 40
; NumAgprs: 0
; TotalNumVgprs: 40
; ScratchSize: 0
; MemoryBound: 0
; FloatMode: 240
; IeeeMode: 1
; LDSByteSize: 0 bytes/workgroup (compile time only)
; SGPRBlocks: 3
; VGPRBlocks: 4
; NumSGPRsForWavesPerEU: 28
; NumVGPRsForWavesPerEU: 40
; AccumOffset: 40
; Occupancy: 8
; WaveLimiterHint : 0
; COMPUTE_PGM_RSRC2:SCRATCH_EN: 0
; COMPUTE_PGM_RSRC2:USER_SGPR: 6
; COMPUTE_PGM_RSRC2:TRAP_HANDLER: 0
; COMPUTE_PGM_RSRC2:TGID_X_EN: 1
; COMPUTE_PGM_RSRC2:TGID_Y_EN: 1
; COMPUTE_PGM_RSRC2:TGID_Z_EN: 0
; COMPUTE_PGM_RSRC2:TIDIG_COMP_CNT: 0
; COMPUTE_PGM_RSRC3_GFX90A:ACCUM_OFFSET: 9
; COMPUTE_PGM_RSRC3_GFX90A:TG_SPLIT: 0
	.section	.text._Z49per_token_group_quant_8bit_packed_register_kernelIN3c104HalfENS0_13Float8_e4m3fnELi128ELi4ELi4EEvPKT_PvPjiiiiilfff,"axG",@progbits,_Z49per_token_group_quant_8bit_packed_register_kernelIN3c104HalfENS0_13Float8_e4m3fnELi128ELi4ELi4EEvPKT_PvPjiiiiilfff,comdat
	.protected	_Z49per_token_group_quant_8bit_packed_register_kernelIN3c104HalfENS0_13Float8_e4m3fnELi128ELi4ELi4EEvPKT_PvPjiiiiilfff ; -- Begin function _Z49per_token_group_quant_8bit_packed_register_kernelIN3c104HalfENS0_13Float8_e4m3fnELi128ELi4ELi4EEvPKT_PvPjiiiiilfff
	.globl	_Z49per_token_group_quant_8bit_packed_register_kernelIN3c104HalfENS0_13Float8_e4m3fnELi128ELi4ELi4EEvPKT_PvPjiiiiilfff
	.p2align	8
	.type	_Z49per_token_group_quant_8bit_packed_register_kernelIN3c104HalfENS0_13Float8_e4m3fnELi128ELi4ELi4EEvPKT_PvPjiiiiilfff,@function
_Z49per_token_group_quant_8bit_packed_register_kernelIN3c104HalfENS0_13Float8_e4m3fnELi128ELi4ELi4EEvPKT_PvPjiiiiilfff: ; @_Z49per_token_group_quant_8bit_packed_register_kernelIN3c104HalfENS0_13Float8_e4m3fnELi128ELi4ELi4EEvPKT_PvPjiiiiilfff
; %bb.0:
	s_load_dwordx4 s[8:11], s[4:5], 0x1c
	v_lshrrev_b32_e32 v1, 5, v0
	v_lshl_add_u32 v12, s7, 2, v1
	s_waitcnt lgkmcnt(0)
	v_cmp_gt_i32_e32 vcc, s11, v12
	s_and_saveexec_b64 s[0:1], vcc
	s_cbranch_execz .LBB41_110
; %bb.1:
	s_load_dwordx4 s[12:15], s[4:5], 0x38
	v_lshrrev_b32_e32 v1, 3, v0
	s_lshl_b32 s0, s6, 2
	v_and_or_b32 v10, v1, 3, s0
	v_cmp_gt_i32_e64 s[2:3], s9, v12
	v_cmp_gt_i32_e64 s[0:1], s8, v10
	v_and_b32_e32 v13, 7, v0
	s_and_b64 s[6:7], s[2:3], s[0:1]
	s_waitcnt lgkmcnt(0)
	v_mov_b32_e32 v8, s12
	v_ashrrev_i32_e32 v16, 31, v12
	v_lshlrev_b32_e32 v14, 7, v10
                                        ; implicit-def: $vgpr15
                                        ; implicit-def: $vgpr3
                                        ; implicit-def: $vgpr17
                                        ; implicit-def: $vgpr18
                                        ; implicit-def: $vgpr20
                                        ; implicit-def: $vgpr25
                                        ; implicit-def: $vgpr7
                                        ; implicit-def: $vgpr28
                                        ; implicit-def: $vgpr24
                                        ; implicit-def: $vgpr19
	s_and_saveexec_b64 s[16:17], s[6:7]
	s_cbranch_execz .LBB41_3
; %bb.2:
	s_load_dwordx2 s[18:19], s[4:5], 0x0
	v_alignbit_b32 v0, v16, v12, 24
	s_ashr_i32 s9, s8, 31
	v_lshlrev_b32_e32 v2, 8, v12
	v_mul_lo_u32 v4, v0, s8
	s_waitcnt lgkmcnt(0)
	v_pk_mov_b32 v[0:1], s[18:19], s[18:19] op_sel:[0,1]
	v_mul_lo_u32 v3, v2, s9
	v_mad_u64_u32 v[0:1], s[18:19], v2, s8, v[0:1]
	v_ashrrev_i32_e32 v15, 31, v14
	v_add3_u32 v1, v4, v1, v3
	v_lshlrev_b64 v[2:3], 1, v[14:15]
	v_add_co_u32_e32 v0, vcc, v0, v2
	v_addc_co_u32_e32 v1, vcc, v1, v3, vcc
	v_lshlrev_b32_e32 v2, 5, v13
	v_add_co_u32_e32 v8, vcc, v0, v2
	v_addc_co_u32_e32 v9, vcc, 0, v1, vcc
	global_load_dwordx4 v[4:7], v[8:9], off
	global_load_dwordx4 v[0:3], v[8:9], off offset:16
	s_waitcnt vmcnt(1)
	v_lshrrev_b32_e32 v19, 16, v4
	v_lshrrev_b32_e32 v24, 16, v5
	v_cvt_f32_f16_e64 v8, |v4|
	v_cvt_f32_f16_e64 v29, |v19|
	v_lshrrev_b32_e32 v28, 16, v6
	v_cvt_f32_f16_e64 v9, |v5|
	v_cvt_f32_f16_e64 v30, |v24|
	;; [unrolled: 3-line block ×3, first 2 shown]
	s_waitcnt vmcnt(0)
	v_lshrrev_b32_e32 v20, 16, v0
	v_cvt_f32_f16_e64 v21, |v7|
	v_cvt_f32_f16_e64 v32, |v25|
	v_lshrrev_b32_e32 v18, 16, v1
	v_cvt_f32_f16_e64 v22, |v0|
	v_cvt_f32_f16_e64 v33, |v20|
	v_max3_f32 v8, s12, v8, v29
	v_lshrrev_b32_e32 v17, 16, v2
	v_cvt_f32_f16_e64 v23, |v1|
	v_cvt_f32_f16_e64 v34, |v18|
	v_max3_f32 v8, v8, v9, v30
	;; [unrolled: 4-line block ×3, first 2 shown]
	v_cvt_f32_f16_e64 v27, |v3|
	v_max3_f32 v8, v8, v21, v32
	v_cvt_f32_f16_e64 v9, |v15|
	v_max3_f32 v8, v8, v22, v33
	v_max3_f32 v8, v8, v23, v34
	;; [unrolled: 1-line block ×4, first 2 shown]
.LBB41_3:
	s_or_b64 exec, exec, s[16:17]
	v_mbcnt_lo_u32_b32 v9, -1, 0
	v_mbcnt_hi_u32_b32 v9, -1, v9
	v_and_b32_e32 v21, 0x78, v9
	v_xor_b32_e32 v11, 4, v9
	v_add_u32_e32 v21, 8, v21
	v_cmp_lt_i32_e32 vcc, v11, v21
	v_cndmask_b32_e32 v11, v9, v11, vcc
	v_lshlrev_b32_e32 v11, 2, v11
	ds_bpermute_b32 v11, v11, v8
	v_xor_b32_e32 v22, 2, v9
	v_max_f32_e32 v8, v8, v8
	v_cmp_lt_i32_e32 vcc, v22, v21
	s_waitcnt lgkmcnt(0)
	v_max_f32_e32 v11, v11, v11
	v_max_f32_e32 v8, v8, v11
	v_cndmask_b32_e32 v11, v9, v22, vcc
	v_lshlrev_b32_e32 v11, 2, v11
	ds_bpermute_b32 v11, v11, v8
	v_xor_b32_e32 v22, 1, v9
	v_cmp_lt_i32_e32 vcc, v22, v21
	v_cndmask_b32_e32 v9, v9, v22, vcc
	v_lshlrev_b32_e32 v9, 2, v9
	s_waitcnt lgkmcnt(0)
	v_max_f32_e32 v11, v11, v11
	v_max_f32_e32 v8, v8, v11
	ds_bpermute_b32 v9, v9, v8
	s_waitcnt lgkmcnt(0)
	v_max_f32_e32 v9, v9, v9
	v_max_f32_e32 v8, v8, v9
	v_div_scale_f32 v9, s[16:17], s14, s14, v8
	v_rcp_f32_e32 v11, v9
	v_div_scale_f32 v21, vcc, v8, s14, v8
	s_xor_b64 s[16:17], s[6:7], -1
	v_fma_f32 v22, -v9, v11, 1.0
	v_fmac_f32_e32 v11, v22, v11
	v_mul_f32_e32 v22, v21, v11
	v_fma_f32 v23, -v9, v22, v21
	v_fmac_f32_e32 v22, v23, v11
	v_fma_f32 v9, -v9, v22, v21
	v_div_fmas_f32 v9, v9, v11, v22
	v_div_fixup_f32 v8, v9, s14, v8
	v_max_f32_e32 v8, 0x2edbe6ff, v8
	v_lshrrev_b32_e32 v9, 23, v8
	v_and_b32_e32 v8, 0x7fffff, v8
	v_cmp_ne_u32_e32 vcc, 0, v8
	v_addc_co_u32_e32 v21, vcc, 0, v9, vcc
	v_cmp_eq_u32_e32 vcc, 0, v13
	s_and_saveexec_b64 s[18:19], vcc
	s_cbranch_execz .LBB41_8
; %bb.4:
	v_ashrrev_i32_e32 v8, 31, v10
	v_lshrrev_b32_e32 v8, 30, v8
	v_add_u32_e32 v8, v10, v8
	v_ashrrev_i32_e32 v11, 2, v8
	v_mad_u64_u32 v[8:9], s[20:21], v11, s11, v[12:13]
	v_mov_b32_e32 v22, v21
	s_and_saveexec_b64 s[20:21], s[16:17]
	s_cbranch_execz .LBB41_6
; %bb.5:
	s_load_dwordx2 s[22:23], s[4:5], 0x30
	v_ashrrev_i32_e32 v9, 31, v8
	s_andn2_b64 s[6:7], s[6:7], exec
	v_mov_b32_e32 v22, 0
	s_waitcnt lgkmcnt(0)
	v_cmp_gt_i64_e32 vcc, s[22:23], v[8:9]
	s_and_b64 s[22:23], vcc, exec
	s_or_b64 s[6:7], s[6:7], s[22:23]
.LBB41_6:
	s_or_b64 exec, exec, s[20:21]
	s_and_b64 exec, exec, s[6:7]
	s_cbranch_execz .LBB41_8
; %bb.7:
	s_load_dwordx2 s[6:7], s[4:5], 0x10
	v_lshlrev_b32_e32 v9, 2, v11
	v_sub_u32_e32 v9, v10, v9
	v_lshl_add_u32 v8, v8, 2, v9
	v_ashrrev_i32_e32 v9, 31, v8
	s_waitcnt lgkmcnt(0)
	v_mov_b32_e32 v10, s7
	v_add_co_u32_e32 v8, vcc, s6, v8
	v_addc_co_u32_e32 v9, vcc, v10, v9, vcc
	global_store_byte v[8:9], v22, off
.LBB41_8:
	s_or_b64 exec, exec, s[18:19]
	s_mov_b64 s[6:7], 0
                                        ; implicit-def: $sgpr9
	s_and_saveexec_b64 s[18:19], s[16:17]
	s_xor_b64 s[16:17], exec, s[18:19]
; %bb.9:
	s_xor_b64 s[2:3], s[2:3], -1
	v_cmp_gt_i32_e32 vcc, s10, v12
	s_and_b64 s[2:3], vcc, s[2:3]
	s_and_b64 s[0:1], s[0:1], s[2:3]
	s_mov_b32 s9, 0
	s_and_b64 s[6:7], s[0:1], exec
                                        ; implicit-def: $vgpr15
                                        ; implicit-def: $vgpr3
                                        ; implicit-def: $vgpr17
                                        ; implicit-def: $vgpr18
                                        ; implicit-def: $vgpr20
                                        ; implicit-def: $vgpr25
                                        ; implicit-def: $vgpr7
                                        ; implicit-def: $vgpr28
                                        ; implicit-def: $vgpr24
                                        ; implicit-def: $vgpr19
                                        ; implicit-def: $vgpr21
; %bb.10:
	s_or_saveexec_b64 s[0:1], s[16:17]
	v_mov_b32_e32 v11, s9
	v_mov_b32_e32 v10, s9
	;; [unrolled: 1-line block ×4, first 2 shown]
	s_xor_b64 exec, exec, s[0:1]
	s_cbranch_execz .LBB41_108
; %bb.11:
	v_lshlrev_b32_e32 v8, 23, v21
	v_and_b32_e32 v8, 0x7f800000, v8
	v_div_scale_f32 v9, s[2:3], v8, v8, 1.0
	v_rcp_f32_e32 v10, v9
	v_div_scale_f32 v11, vcc, 1.0, v8, 1.0
	v_cvt_f32_f16_e32 v4, v4
	v_fma_f32 v21, -v9, v10, 1.0
	v_fmac_f32_e32 v10, v21, v10
	v_mul_f32_e32 v21, v11, v10
	v_fma_f32 v22, -v9, v21, v11
	v_fmac_f32_e32 v21, v22, v10
	v_fma_f32 v9, -v9, v21, v11
	v_div_fmas_f32 v9, v9, v10, v21
	v_div_fixup_f32 v9, v9, v8, 1.0
	v_mul_f32_e32 v4, v9, v4
	v_max_f32_e64 v10, s13, s13
	v_max_f32_e32 v4, v4, v10
	v_max_f32_e64 v21, s14, s14
	v_min_f32_e32 v4, v4, v21
	v_and_b32_e32 v22, 0x7fffffff, v4
	s_mov_b32 s9, 0x43f00000
	v_cmp_gt_u32_e32 vcc, s9, v22
	v_mov_b32_e32 v8, 0x7f
	v_mov_b32_e32 v11, 0x7f
	s_and_saveexec_b64 s[2:3], vcc
	s_cbranch_execz .LBB41_17
; %bb.12:
	s_mov_b32 s10, 0x3c7fffff
	v_cmp_lt_u32_e32 vcc, s10, v22
                                        ; implicit-def: $vgpr11
	s_and_saveexec_b64 s[10:11], vcc
	s_xor_b64 s[10:11], exec, s[10:11]
; %bb.13:
	v_bfe_u32 v11, v4, 20, 1
	s_mov_b32 s12, 0x407ffff
	v_add3_u32 v11, v4, v11, s12
	v_lshrrev_b32_e32 v11, 20, v11
; %bb.14:
	s_andn2_saveexec_b64 s[10:11], s[10:11]
; %bb.15:
	s_mov_b32 s12, 0x46800000
	v_add_f32_e64 v11, |v4|, s12
; %bb.16:
	s_or_b64 exec, exec, s[10:11]
.LBB41_17:
	s_or_b64 exec, exec, s[2:3]
	v_cvt_f32_f16_e32 v19, v19
	v_mul_f32_e32 v19, v9, v19
	v_max_f32_e32 v19, v19, v10
	v_min_f32_e32 v19, v19, v21
	v_and_b32_e32 v22, 0x7fffffff, v19
	v_cmp_gt_u32_e32 vcc, s9, v22
	s_and_saveexec_b64 s[2:3], vcc
	s_cbranch_execz .LBB41_23
; %bb.18:
	s_mov_b32 s9, 0x3c7fffff
	v_cmp_lt_u32_e32 vcc, s9, v22
                                        ; implicit-def: $vgpr8
	s_and_saveexec_b64 s[10:11], vcc
	s_xor_b64 s[10:11], exec, s[10:11]
; %bb.19:
	v_bfe_u32 v8, v19, 20, 1
	s_mov_b32 s9, 0x407ffff
	v_add3_u32 v8, v19, v8, s9
	v_lshrrev_b32_e32 v8, 20, v8
; %bb.20:
	s_andn2_saveexec_b64 s[10:11], s[10:11]
; %bb.21:
	s_mov_b32 s9, 0x46800000
	v_add_f32_e64 v8, |v19|, s9
; %bb.22:
	s_or_b64 exec, exec, s[10:11]
.LBB41_23:
	s_or_b64 exec, exec, s[2:3]
	v_cvt_f32_f16_e32 v5, v5
	s_mov_b32 s9, 0x43f00000
	v_mov_b32_e32 v22, 0x7f
	v_mov_b32_e32 v23, 0x7f
	v_mul_f32_e32 v5, v9, v5
	v_max_f32_e32 v5, v5, v10
	v_min_f32_e32 v5, v5, v21
	v_and_b32_e32 v26, 0x7fffffff, v5
	v_cmp_gt_u32_e32 vcc, s9, v26
	s_and_saveexec_b64 s[2:3], vcc
	s_cbranch_execz .LBB41_29
; %bb.24:
	s_mov_b32 s10, 0x3c7fffff
	v_cmp_lt_u32_e32 vcc, s10, v26
                                        ; implicit-def: $vgpr23
	s_and_saveexec_b64 s[10:11], vcc
	s_xor_b64 s[10:11], exec, s[10:11]
; %bb.25:
	v_bfe_u32 v23, v5, 20, 1
	s_mov_b32 s12, 0x407ffff
	v_add3_u32 v23, v5, v23, s12
	v_lshrrev_b32_e32 v23, 20, v23
; %bb.26:
	s_andn2_saveexec_b64 s[10:11], s[10:11]
; %bb.27:
	s_mov_b32 s12, 0x46800000
	v_add_f32_e64 v23, |v5|, s12
; %bb.28:
	s_or_b64 exec, exec, s[10:11]
.LBB41_29:
	s_or_b64 exec, exec, s[2:3]
	v_cvt_f32_f16_e32 v24, v24
	v_mul_f32_e32 v24, v9, v24
	v_max_f32_e32 v24, v24, v10
	v_min_f32_e32 v24, v24, v21
	v_and_b32_e32 v26, 0x7fffffff, v24
	v_cmp_gt_u32_e32 vcc, s9, v26
	s_and_saveexec_b64 s[2:3], vcc
	s_cbranch_execz .LBB41_35
; %bb.30:
	s_mov_b32 s9, 0x3c7fffff
	v_cmp_lt_u32_e32 vcc, s9, v26
                                        ; implicit-def: $vgpr22
	s_and_saveexec_b64 s[10:11], vcc
	s_xor_b64 s[10:11], exec, s[10:11]
; %bb.31:
	v_bfe_u32 v22, v24, 20, 1
	s_mov_b32 s9, 0x407ffff
	v_add3_u32 v22, v24, v22, s9
	v_lshrrev_b32_e32 v22, 20, v22
; %bb.32:
	s_andn2_saveexec_b64 s[10:11], s[10:11]
; %bb.33:
	s_mov_b32 s9, 0x46800000
	v_add_f32_e64 v22, |v24|, s9
; %bb.34:
	s_or_b64 exec, exec, s[10:11]
.LBB41_35:
	s_or_b64 exec, exec, s[2:3]
	v_cvt_f32_f16_e32 v6, v6
	s_mov_b32 s9, 0x43f00000
	v_mov_b32_e32 v26, 0x7f
	v_mov_b32_e32 v27, 0x7f
	v_mul_f32_e32 v6, v9, v6
	v_max_f32_e32 v6, v6, v10
	v_min_f32_e32 v6, v6, v21
	v_and_b32_e32 v29, 0x7fffffff, v6
	v_cmp_gt_u32_e32 vcc, s9, v29
	s_and_saveexec_b64 s[2:3], vcc
	s_cbranch_execz .LBB41_41
; %bb.36:
	s_mov_b32 s10, 0x3c7fffff
	v_cmp_lt_u32_e32 vcc, s10, v29
                                        ; implicit-def: $vgpr27
	s_and_saveexec_b64 s[10:11], vcc
	s_xor_b64 s[10:11], exec, s[10:11]
; %bb.37:
	v_bfe_u32 v27, v6, 20, 1
	s_mov_b32 s12, 0x407ffff
	v_add3_u32 v27, v6, v27, s12
	v_lshrrev_b32_e32 v27, 20, v27
; %bb.38:
	s_andn2_saveexec_b64 s[10:11], s[10:11]
; %bb.39:
	s_mov_b32 s12, 0x46800000
	v_add_f32_e64 v27, |v6|, s12
; %bb.40:
	s_or_b64 exec, exec, s[10:11]
.LBB41_41:
	s_or_b64 exec, exec, s[2:3]
	v_cvt_f32_f16_e32 v28, v28
	v_mul_f32_e32 v28, v9, v28
	v_max_f32_e32 v28, v28, v10
	v_min_f32_e32 v28, v28, v21
	v_and_b32_e32 v29, 0x7fffffff, v28
	v_cmp_gt_u32_e32 vcc, s9, v29
	s_and_saveexec_b64 s[2:3], vcc
	s_cbranch_execz .LBB41_47
; %bb.42:
	s_mov_b32 s9, 0x3c7fffff
	v_cmp_lt_u32_e32 vcc, s9, v29
                                        ; implicit-def: $vgpr26
	s_and_saveexec_b64 s[10:11], vcc
	s_xor_b64 s[10:11], exec, s[10:11]
; %bb.43:
	v_bfe_u32 v26, v28, 20, 1
	s_mov_b32 s9, 0x407ffff
	v_add3_u32 v26, v28, v26, s9
	v_lshrrev_b32_e32 v26, 20, v26
; %bb.44:
	s_andn2_saveexec_b64 s[10:11], s[10:11]
; %bb.45:
	s_mov_b32 s9, 0x46800000
	v_add_f32_e64 v26, |v28|, s9
; %bb.46:
	s_or_b64 exec, exec, s[10:11]
.LBB41_47:
	s_or_b64 exec, exec, s[2:3]
	v_cvt_f32_f16_e32 v7, v7
	s_mov_b32 s9, 0x43f00000
	v_mov_b32_e32 v29, 0x7f
	v_mov_b32_e32 v30, 0x7f
	v_mul_f32_e32 v7, v9, v7
	v_max_f32_e32 v7, v7, v10
	v_min_f32_e32 v7, v7, v21
	v_and_b32_e32 v31, 0x7fffffff, v7
	v_cmp_gt_u32_e32 vcc, s9, v31
	s_and_saveexec_b64 s[2:3], vcc
	s_cbranch_execz .LBB41_53
; %bb.48:
	s_mov_b32 s10, 0x3c7fffff
	v_cmp_lt_u32_e32 vcc, s10, v31
                                        ; implicit-def: $vgpr30
	s_and_saveexec_b64 s[10:11], vcc
	s_xor_b64 s[10:11], exec, s[10:11]
; %bb.49:
	v_bfe_u32 v30, v7, 20, 1
	s_mov_b32 s12, 0x407ffff
	v_add3_u32 v30, v7, v30, s12
	v_lshrrev_b32_e32 v30, 20, v30
; %bb.50:
	s_andn2_saveexec_b64 s[10:11], s[10:11]
; %bb.51:
	s_mov_b32 s12, 0x46800000
	v_add_f32_e64 v30, |v7|, s12
; %bb.52:
	s_or_b64 exec, exec, s[10:11]
.LBB41_53:
	s_or_b64 exec, exec, s[2:3]
	v_cvt_f32_f16_e32 v25, v25
	v_mul_f32_e32 v25, v9, v25
	v_max_f32_e32 v25, v25, v10
	v_min_f32_e32 v25, v25, v21
	v_and_b32_e32 v31, 0x7fffffff, v25
	v_cmp_gt_u32_e32 vcc, s9, v31
	s_and_saveexec_b64 s[2:3], vcc
	s_cbranch_execz .LBB41_59
; %bb.54:
	s_mov_b32 s9, 0x3c7fffff
	v_cmp_lt_u32_e32 vcc, s9, v31
                                        ; implicit-def: $vgpr29
	s_and_saveexec_b64 s[10:11], vcc
	s_xor_b64 s[10:11], exec, s[10:11]
; %bb.55:
	v_bfe_u32 v29, v25, 20, 1
	s_mov_b32 s9, 0x407ffff
	v_add3_u32 v29, v25, v29, s9
	v_lshrrev_b32_e32 v29, 20, v29
; %bb.56:
	s_andn2_saveexec_b64 s[10:11], s[10:11]
; %bb.57:
	s_mov_b32 s9, 0x46800000
	v_add_f32_e64 v29, |v25|, s9
; %bb.58:
	s_or_b64 exec, exec, s[10:11]
.LBB41_59:
	s_or_b64 exec, exec, s[2:3]
	v_cvt_f32_f16_e32 v0, v0
	s_mov_b32 s9, 0x43f00000
	v_mov_b32_e32 v31, 0x7f
	v_mov_b32_e32 v32, 0x7f
	v_mul_f32_e32 v0, v9, v0
	v_max_f32_e32 v0, v0, v10
	v_min_f32_e32 v0, v0, v21
	v_and_b32_e32 v33, 0x7fffffff, v0
	v_cmp_gt_u32_e32 vcc, s9, v33
	s_and_saveexec_b64 s[2:3], vcc
	s_cbranch_execz .LBB41_65
; %bb.60:
	s_mov_b32 s10, 0x3c7fffff
	v_cmp_lt_u32_e32 vcc, s10, v33
                                        ; implicit-def: $vgpr32
	s_and_saveexec_b64 s[10:11], vcc
	s_xor_b64 s[10:11], exec, s[10:11]
; %bb.61:
	v_bfe_u32 v32, v0, 20, 1
	s_mov_b32 s12, 0x407ffff
	v_add3_u32 v32, v0, v32, s12
	v_lshrrev_b32_e32 v32, 20, v32
; %bb.62:
	s_andn2_saveexec_b64 s[10:11], s[10:11]
; %bb.63:
	s_mov_b32 s12, 0x46800000
	v_add_f32_e64 v32, |v0|, s12
; %bb.64:
	s_or_b64 exec, exec, s[10:11]
.LBB41_65:
	s_or_b64 exec, exec, s[2:3]
	v_cvt_f32_f16_e32 v20, v20
	v_mul_f32_e32 v20, v9, v20
	v_max_f32_e32 v20, v20, v10
	v_min_f32_e32 v20, v20, v21
	v_and_b32_e32 v33, 0x7fffffff, v20
	v_cmp_gt_u32_e32 vcc, s9, v33
	s_and_saveexec_b64 s[2:3], vcc
	s_cbranch_execz .LBB41_71
; %bb.66:
	s_mov_b32 s9, 0x3c7fffff
	v_cmp_lt_u32_e32 vcc, s9, v33
                                        ; implicit-def: $vgpr31
	s_and_saveexec_b64 s[10:11], vcc
	s_xor_b64 s[10:11], exec, s[10:11]
; %bb.67:
	v_bfe_u32 v31, v20, 20, 1
	s_mov_b32 s9, 0x407ffff
	v_add3_u32 v31, v20, v31, s9
	v_lshrrev_b32_e32 v31, 20, v31
; %bb.68:
	s_andn2_saveexec_b64 s[10:11], s[10:11]
; %bb.69:
	s_mov_b32 s9, 0x46800000
	v_add_f32_e64 v31, |v20|, s9
; %bb.70:
	s_or_b64 exec, exec, s[10:11]
.LBB41_71:
	s_or_b64 exec, exec, s[2:3]
	v_cvt_f32_f16_e32 v1, v1
	s_mov_b32 s9, 0x43f00000
	v_mov_b32_e32 v33, 0x7f
	v_mov_b32_e32 v34, 0x7f
	v_mul_f32_e32 v1, v9, v1
	v_max_f32_e32 v1, v1, v10
	v_min_f32_e32 v1, v1, v21
	v_and_b32_e32 v35, 0x7fffffff, v1
	v_cmp_gt_u32_e32 vcc, s9, v35
	s_and_saveexec_b64 s[2:3], vcc
	s_cbranch_execz .LBB41_77
; %bb.72:
	s_mov_b32 s10, 0x3c7fffff
	v_cmp_lt_u32_e32 vcc, s10, v35
                                        ; implicit-def: $vgpr34
	s_and_saveexec_b64 s[10:11], vcc
	s_xor_b64 s[10:11], exec, s[10:11]
; %bb.73:
	v_bfe_u32 v34, v1, 20, 1
	s_mov_b32 s12, 0x407ffff
	v_add3_u32 v34, v1, v34, s12
	v_lshrrev_b32_e32 v34, 20, v34
; %bb.74:
	s_andn2_saveexec_b64 s[10:11], s[10:11]
; %bb.75:
	s_mov_b32 s12, 0x46800000
	v_add_f32_e64 v34, |v1|, s12
; %bb.76:
	s_or_b64 exec, exec, s[10:11]
.LBB41_77:
	s_or_b64 exec, exec, s[2:3]
	v_cvt_f32_f16_e32 v18, v18
	v_mul_f32_e32 v18, v9, v18
	v_max_f32_e32 v18, v18, v10
	v_min_f32_e32 v18, v18, v21
	v_and_b32_e32 v35, 0x7fffffff, v18
	v_cmp_gt_u32_e32 vcc, s9, v35
	s_and_saveexec_b64 s[2:3], vcc
	s_cbranch_execz .LBB41_83
; %bb.78:
	s_mov_b32 s9, 0x3c7fffff
	v_cmp_lt_u32_e32 vcc, s9, v35
                                        ; implicit-def: $vgpr33
	s_and_saveexec_b64 s[10:11], vcc
	s_xor_b64 s[10:11], exec, s[10:11]
; %bb.79:
	v_bfe_u32 v33, v18, 20, 1
	s_mov_b32 s9, 0x407ffff
	v_add3_u32 v33, v18, v33, s9
	v_lshrrev_b32_e32 v33, 20, v33
; %bb.80:
	s_andn2_saveexec_b64 s[10:11], s[10:11]
; %bb.81:
	s_mov_b32 s9, 0x46800000
	v_add_f32_e64 v33, |v18|, s9
; %bb.82:
	s_or_b64 exec, exec, s[10:11]
.LBB41_83:
	s_or_b64 exec, exec, s[2:3]
	v_cvt_f32_f16_e32 v2, v2
	s_mov_b32 s9, 0x43f00000
	v_mov_b32_e32 v35, 0x7f
	v_mov_b32_e32 v36, 0x7f
	v_mul_f32_e32 v2, v9, v2
	v_max_f32_e32 v2, v2, v10
	v_min_f32_e32 v2, v2, v21
	v_and_b32_e32 v37, 0x7fffffff, v2
	v_cmp_gt_u32_e32 vcc, s9, v37
	s_and_saveexec_b64 s[2:3], vcc
	s_cbranch_execz .LBB41_89
; %bb.84:
	s_mov_b32 s10, 0x3c7fffff
	v_cmp_lt_u32_e32 vcc, s10, v37
                                        ; implicit-def: $vgpr36
	s_and_saveexec_b64 s[10:11], vcc
	s_xor_b64 s[10:11], exec, s[10:11]
; %bb.85:
	v_bfe_u32 v36, v2, 20, 1
	s_mov_b32 s12, 0x407ffff
	v_add3_u32 v36, v2, v36, s12
	v_lshrrev_b32_e32 v36, 20, v36
; %bb.86:
	s_andn2_saveexec_b64 s[10:11], s[10:11]
; %bb.87:
	s_mov_b32 s12, 0x46800000
	v_add_f32_e64 v36, |v2|, s12
; %bb.88:
	s_or_b64 exec, exec, s[10:11]
.LBB41_89:
	s_or_b64 exec, exec, s[2:3]
	v_cvt_f32_f16_e32 v17, v17
	v_mul_f32_e32 v17, v9, v17
	v_max_f32_e32 v17, v17, v10
	v_min_f32_e32 v17, v17, v21
	v_and_b32_e32 v37, 0x7fffffff, v17
	v_cmp_gt_u32_e32 vcc, s9, v37
	s_and_saveexec_b64 s[2:3], vcc
	s_cbranch_execz .LBB41_95
; %bb.90:
	s_mov_b32 s9, 0x3c7fffff
	v_cmp_lt_u32_e32 vcc, s9, v37
                                        ; implicit-def: $vgpr35
	s_and_saveexec_b64 s[10:11], vcc
	s_xor_b64 s[10:11], exec, s[10:11]
; %bb.91:
	v_bfe_u32 v35, v17, 20, 1
	s_mov_b32 s9, 0x407ffff
	v_add3_u32 v35, v17, v35, s9
	v_lshrrev_b32_e32 v35, 20, v35
; %bb.92:
	s_andn2_saveexec_b64 s[10:11], s[10:11]
; %bb.93:
	s_mov_b32 s9, 0x46800000
	v_add_f32_e64 v35, |v17|, s9
; %bb.94:
	s_or_b64 exec, exec, s[10:11]
.LBB41_95:
	s_or_b64 exec, exec, s[2:3]
	v_cvt_f32_f16_e32 v37, v3
	s_mov_b32 s9, 0x43f00000
	v_mov_b32_e32 v3, 0x7f
	v_mov_b32_e32 v38, 0x7f
	v_mul_f32_e32 v37, v9, v37
	v_max_f32_e32 v37, v37, v10
	v_min_f32_e32 v37, v37, v21
	v_and_b32_e32 v39, 0x7fffffff, v37
	v_cmp_gt_u32_e32 vcc, s9, v39
	s_and_saveexec_b64 s[2:3], vcc
	s_cbranch_execz .LBB41_101
; %bb.96:
	s_mov_b32 s10, 0x3c7fffff
	v_cmp_lt_u32_e32 vcc, s10, v39
                                        ; implicit-def: $vgpr38
	s_and_saveexec_b64 s[10:11], vcc
	s_xor_b64 s[10:11], exec, s[10:11]
; %bb.97:
	v_bfe_u32 v38, v37, 20, 1
	s_mov_b32 s12, 0x407ffff
	v_add3_u32 v38, v37, v38, s12
	v_lshrrev_b32_e32 v38, 20, v38
; %bb.98:
	s_andn2_saveexec_b64 s[10:11], s[10:11]
; %bb.99:
	s_mov_b32 s12, 0x46800000
	v_add_f32_e64 v38, |v37|, s12
; %bb.100:
	s_or_b64 exec, exec, s[10:11]
.LBB41_101:
	s_or_b64 exec, exec, s[2:3]
	v_cvt_f32_f16_e32 v15, v15
	v_mul_f32_e32 v9, v9, v15
	v_max_f32_e32 v9, v9, v10
	v_min_f32_e32 v15, v9, v21
	v_and_b32_e32 v9, 0x7fffffff, v15
	v_cmp_gt_u32_e32 vcc, s9, v9
	s_and_saveexec_b64 s[2:3], vcc
	s_cbranch_execz .LBB41_107
; %bb.102:
	s_mov_b32 s9, 0x3c7fffff
	v_cmp_lt_u32_e32 vcc, s9, v9
                                        ; implicit-def: $vgpr3
	s_and_saveexec_b64 s[10:11], vcc
	s_xor_b64 s[10:11], exec, s[10:11]
; %bb.103:
	v_bfe_u32 v3, v15, 20, 1
	s_mov_b32 s9, 0x407ffff
	v_add3_u32 v3, v15, v3, s9
	v_lshrrev_b32_e32 v3, 20, v3
; %bb.104:
	s_andn2_saveexec_b64 s[10:11], s[10:11]
; %bb.105:
	s_mov_b32 s9, 0x46800000
	v_add_f32_e64 v3, |v15|, s9
; %bb.106:
	s_or_b64 exec, exec, s[10:11]
.LBB41_107:
	s_or_b64 exec, exec, s[2:3]
	s_movk_i32 s2, 0x80
	v_and_b32_sdwa v2, v2, s2 dst_sel:DWORD dst_unused:UNUSED_PAD src0_sel:BYTE_3 src1_sel:DWORD
	s_movk_i32 s3, 0xff
	v_and_b32_sdwa v9, v17, s2 dst_sel:DWORD dst_unused:UNUSED_PAD src0_sel:BYTE_3 src1_sel:DWORD
	v_and_or_b32 v2, v36, s3, v2
	v_and_or_b32 v9, v35, s3, v9
	v_lshl_or_b32 v2, v9, 8, v2
	v_and_b32_sdwa v9, v37, s2 dst_sel:DWORD dst_unused:UNUSED_PAD src0_sel:BYTE_3 src1_sel:DWORD
	v_and_or_b32 v9, v38, s3, v9
	v_lshl_or_b32 v2, v9, 16, v2
	v_and_b32_sdwa v0, v0, s2 dst_sel:DWORD dst_unused:UNUSED_PAD src0_sel:BYTE_3 src1_sel:DWORD
	v_and_b32_sdwa v9, v20, s2 dst_sel:DWORD dst_unused:UNUSED_PAD src0_sel:BYTE_3 src1_sel:DWORD
	v_and_or_b32 v0, v32, s3, v0
	v_and_or_b32 v9, v31, s3, v9
	v_and_b32_sdwa v1, v1, s2 dst_sel:DWORD dst_unused:UNUSED_PAD src0_sel:BYTE_3 src1_sel:DWORD
	v_lshl_or_b32 v0, v9, 8, v0
	v_and_or_b32 v1, v34, s3, v1
	v_lshl_or_b32 v0, v1, 16, v0
	v_lshlrev_b32_e32 v1, 24, v33
	v_and_b32_e32 v9, 0x80000000, v18
	v_or3_b32 v10, v9, v1, v0
	v_and_b32_sdwa v0, v6, s2 dst_sel:DWORD dst_unused:UNUSED_PAD src0_sel:BYTE_3 src1_sel:DWORD
	v_and_b32_sdwa v1, v28, s2 dst_sel:DWORD dst_unused:UNUSED_PAD src0_sel:BYTE_3 src1_sel:DWORD
	v_and_or_b32 v0, v27, s3, v0
	v_and_or_b32 v1, v26, s3, v1
	v_lshl_or_b32 v0, v1, 8, v0
	v_and_b32_sdwa v1, v7, s2 dst_sel:DWORD dst_unused:UNUSED_PAD src0_sel:BYTE_3 src1_sel:DWORD
	v_and_or_b32 v1, v30, s3, v1
	v_lshl_or_b32 v0, v1, 16, v0
	v_lshlrev_b32_e32 v1, 24, v29
	v_and_b32_e32 v6, 0x80000000, v25
	v_or3_b32 v9, v6, v1, v0
	v_and_b32_sdwa v0, v4, s2 dst_sel:DWORD dst_unused:UNUSED_PAD src0_sel:BYTE_3 src1_sel:DWORD
	v_and_b32_sdwa v1, v19, s2 dst_sel:DWORD dst_unused:UNUSED_PAD src0_sel:BYTE_3 src1_sel:DWORD
	v_and_or_b32 v0, v11, s3, v0
	v_and_or_b32 v1, v8, s3, v1
	v_lshl_or_b32 v0, v1, 8, v0
	v_and_b32_sdwa v1, v5, s2 dst_sel:DWORD dst_unused:UNUSED_PAD src0_sel:BYTE_3 src1_sel:DWORD
	v_and_or_b32 v1, v23, s3, v1
	v_lshl_or_b32 v0, v1, 16, v0
	v_lshlrev_b32_e32 v1, 24, v22
	v_and_b32_e32 v4, 0x80000000, v24
	v_or3_b32 v8, v4, v1, v0
	v_and_b32_e32 v0, 0x80000000, v15
	v_lshlrev_b32_e32 v1, 24, v3
	v_or3_b32 v11, v0, v1, v2
	s_or_b64 s[6:7], s[6:7], exec
.LBB41_108:
	s_or_b64 exec, exec, s[0:1]
	s_and_b64 exec, exec, s[6:7]
	s_cbranch_execz .LBB41_110
; %bb.109:
	s_load_dwordx2 s[0:1], s[4:5], 0x8
	v_alignbit_b32 v0, v16, v12, 25
	s_ashr_i32 s2, s8, 31
	v_lshlrev_b32_e32 v2, 7, v12
	v_mul_lo_u32 v4, v0, s8
	s_waitcnt lgkmcnt(0)
	v_pk_mov_b32 v[0:1], s[0:1], s[0:1] op_sel:[0,1]
	v_mul_lo_u32 v3, v2, s2
	v_mad_u64_u32 v[0:1], s[0:1], v2, s8, v[0:1]
	v_add3_u32 v1, v4, v1, v3
	v_ashrrev_i32_e32 v2, 31, v14
	v_add_co_u32_e32 v0, vcc, v0, v14
	v_addc_co_u32_e32 v1, vcc, v1, v2, vcc
	v_lshlrev_b32_e32 v2, 4, v13
	v_add_co_u32_e32 v0, vcc, v0, v2
	v_addc_co_u32_e32 v1, vcc, 0, v1, vcc
	global_store_dwordx4 v[0:1], v[8:11], off
.LBB41_110:
	s_endpgm
	.section	.rodata,"a",@progbits
	.p2align	6, 0x0
	.amdhsa_kernel _Z49per_token_group_quant_8bit_packed_register_kernelIN3c104HalfENS0_13Float8_e4m3fnELi128ELi4ELi4EEvPKT_PvPjiiiiilfff
		.amdhsa_group_segment_fixed_size 0
		.amdhsa_private_segment_fixed_size 0
		.amdhsa_kernarg_size 68
		.amdhsa_user_sgpr_count 6
		.amdhsa_user_sgpr_private_segment_buffer 1
		.amdhsa_user_sgpr_dispatch_ptr 0
		.amdhsa_user_sgpr_queue_ptr 0
		.amdhsa_user_sgpr_kernarg_segment_ptr 1
		.amdhsa_user_sgpr_dispatch_id 0
		.amdhsa_user_sgpr_flat_scratch_init 0
		.amdhsa_user_sgpr_kernarg_preload_length 0
		.amdhsa_user_sgpr_kernarg_preload_offset 0
		.amdhsa_user_sgpr_private_segment_size 0
		.amdhsa_uses_dynamic_stack 0
		.amdhsa_system_sgpr_private_segment_wavefront_offset 0
		.amdhsa_system_sgpr_workgroup_id_x 1
		.amdhsa_system_sgpr_workgroup_id_y 1
		.amdhsa_system_sgpr_workgroup_id_z 0
		.amdhsa_system_sgpr_workgroup_info 0
		.amdhsa_system_vgpr_workitem_id 0
		.amdhsa_next_free_vgpr 40
		.amdhsa_next_free_sgpr 24
		.amdhsa_accum_offset 40
		.amdhsa_reserve_vcc 1
		.amdhsa_reserve_flat_scratch 0
		.amdhsa_float_round_mode_32 0
		.amdhsa_float_round_mode_16_64 0
		.amdhsa_float_denorm_mode_32 3
		.amdhsa_float_denorm_mode_16_64 3
		.amdhsa_dx10_clamp 1
		.amdhsa_ieee_mode 1
		.amdhsa_fp16_overflow 0
		.amdhsa_tg_split 0
		.amdhsa_exception_fp_ieee_invalid_op 0
		.amdhsa_exception_fp_denorm_src 0
		.amdhsa_exception_fp_ieee_div_zero 0
		.amdhsa_exception_fp_ieee_overflow 0
		.amdhsa_exception_fp_ieee_underflow 0
		.amdhsa_exception_fp_ieee_inexact 0
		.amdhsa_exception_int_div_zero 0
	.end_amdhsa_kernel
	.section	.text._Z49per_token_group_quant_8bit_packed_register_kernelIN3c104HalfENS0_13Float8_e4m3fnELi128ELi4ELi4EEvPKT_PvPjiiiiilfff,"axG",@progbits,_Z49per_token_group_quant_8bit_packed_register_kernelIN3c104HalfENS0_13Float8_e4m3fnELi128ELi4ELi4EEvPKT_PvPjiiiiilfff,comdat
.Lfunc_end41:
	.size	_Z49per_token_group_quant_8bit_packed_register_kernelIN3c104HalfENS0_13Float8_e4m3fnELi128ELi4ELi4EEvPKT_PvPjiiiiilfff, .Lfunc_end41-_Z49per_token_group_quant_8bit_packed_register_kernelIN3c104HalfENS0_13Float8_e4m3fnELi128ELi4ELi4EEvPKT_PvPjiiiiilfff
                                        ; -- End function
	.section	.AMDGPU.csdata,"",@progbits
; Kernel info:
; codeLenInByte = 3468
; NumSgprs: 28
; NumVgprs: 40
; NumAgprs: 0
; TotalNumVgprs: 40
; ScratchSize: 0
; MemoryBound: 0
; FloatMode: 240
; IeeeMode: 1
; LDSByteSize: 0 bytes/workgroup (compile time only)
; SGPRBlocks: 3
; VGPRBlocks: 4
; NumSGPRsForWavesPerEU: 28
; NumVGPRsForWavesPerEU: 40
; AccumOffset: 40
; Occupancy: 8
; WaveLimiterHint : 0
; COMPUTE_PGM_RSRC2:SCRATCH_EN: 0
; COMPUTE_PGM_RSRC2:USER_SGPR: 6
; COMPUTE_PGM_RSRC2:TRAP_HANDLER: 0
; COMPUTE_PGM_RSRC2:TGID_X_EN: 1
; COMPUTE_PGM_RSRC2:TGID_Y_EN: 1
; COMPUTE_PGM_RSRC2:TGID_Z_EN: 0
; COMPUTE_PGM_RSRC2:TIDIG_COMP_CNT: 0
; COMPUTE_PGM_RSRC3_GFX90A:ACCUM_OFFSET: 9
; COMPUTE_PGM_RSRC3_GFX90A:TG_SPLIT: 0
	.section	.text._Z49per_token_group_quant_8bit_packed_register_kernelIN3c104HalfENS0_15Float8_e4m3fnuzELi128ELi16ELi1EEvPKT_PvPjiiiiilfff,"axG",@progbits,_Z49per_token_group_quant_8bit_packed_register_kernelIN3c104HalfENS0_15Float8_e4m3fnuzELi128ELi16ELi1EEvPKT_PvPjiiiiilfff,comdat
	.protected	_Z49per_token_group_quant_8bit_packed_register_kernelIN3c104HalfENS0_15Float8_e4m3fnuzELi128ELi16ELi1EEvPKT_PvPjiiiiilfff ; -- Begin function _Z49per_token_group_quant_8bit_packed_register_kernelIN3c104HalfENS0_15Float8_e4m3fnuzELi128ELi16ELi1EEvPKT_PvPjiiiiilfff
	.globl	_Z49per_token_group_quant_8bit_packed_register_kernelIN3c104HalfENS0_15Float8_e4m3fnuzELi128ELi16ELi1EEvPKT_PvPjiiiiilfff
	.p2align	8
	.type	_Z49per_token_group_quant_8bit_packed_register_kernelIN3c104HalfENS0_15Float8_e4m3fnuzELi128ELi16ELi1EEvPKT_PvPjiiiiilfff,@function
_Z49per_token_group_quant_8bit_packed_register_kernelIN3c104HalfENS0_15Float8_e4m3fnuzELi128ELi16ELi1EEvPKT_PvPjiiiiilfff: ; @_Z49per_token_group_quant_8bit_packed_register_kernelIN3c104HalfENS0_15Float8_e4m3fnuzELi128ELi16ELi1EEvPKT_PvPjiiiiilfff
; %bb.0:
	s_load_dwordx4 s[8:11], s[4:5], 0x1c
	v_lshrrev_b32_e32 v1, 7, v0
	v_add_u32_e32 v12, s7, v1
	s_waitcnt lgkmcnt(0)
	v_cmp_gt_i32_e32 vcc, s11, v12
	s_and_saveexec_b64 s[0:1], vcc
	s_cbranch_execz .LBB42_110
; %bb.1:
	s_load_dwordx4 s[12:15], s[4:5], 0x38
	v_lshrrev_b32_e32 v1, 3, v0
	s_lshl_b32 s0, s6, 4
	v_and_or_b32 v10, v1, 15, s0
	v_cmp_gt_i32_e64 s[2:3], s9, v12
	v_cmp_gt_i32_e64 s[0:1], s8, v10
	v_and_b32_e32 v13, 7, v0
	s_and_b64 s[6:7], s[2:3], s[0:1]
	s_waitcnt lgkmcnt(0)
	v_mov_b32_e32 v8, s12
	v_ashrrev_i32_e32 v16, 31, v12
	v_lshlrev_b32_e32 v14, 7, v10
                                        ; implicit-def: $vgpr15
                                        ; implicit-def: $vgpr3
                                        ; implicit-def: $vgpr17
                                        ; implicit-def: $vgpr18
                                        ; implicit-def: $vgpr20
                                        ; implicit-def: $vgpr22
                                        ; implicit-def: $vgpr7
                                        ; implicit-def: $vgpr23
                                        ; implicit-def: $vgpr21
                                        ; implicit-def: $vgpr19
	s_and_saveexec_b64 s[16:17], s[6:7]
	s_cbranch_execz .LBB42_3
; %bb.2:
	s_load_dwordx2 s[18:19], s[4:5], 0x0
	v_alignbit_b32 v0, v16, v12, 24
	s_ashr_i32 s9, s8, 31
	v_lshlrev_b32_e32 v2, 8, v12
	v_mul_lo_u32 v4, v0, s8
	s_waitcnt lgkmcnt(0)
	v_pk_mov_b32 v[0:1], s[18:19], s[18:19] op_sel:[0,1]
	v_mul_lo_u32 v3, v2, s9
	v_mad_u64_u32 v[0:1], s[18:19], v2, s8, v[0:1]
	v_ashrrev_i32_e32 v15, 31, v14
	v_add3_u32 v1, v4, v1, v3
	v_lshlrev_b64 v[2:3], 1, v[14:15]
	v_add_co_u32_e32 v0, vcc, v0, v2
	v_addc_co_u32_e32 v1, vcc, v1, v3, vcc
	v_lshlrev_b32_e32 v2, 5, v13
	v_add_co_u32_e32 v8, vcc, v0, v2
	v_addc_co_u32_e32 v9, vcc, 0, v1, vcc
	global_load_dwordx4 v[4:7], v[8:9], off
	global_load_dwordx4 v[0:3], v[8:9], off offset:16
	s_waitcnt vmcnt(1)
	v_lshrrev_b32_e32 v19, 16, v4
	v_lshrrev_b32_e32 v21, 16, v5
	v_cvt_f32_f16_e64 v8, |v4|
	v_cvt_f32_f16_e64 v29, |v19|
	v_lshrrev_b32_e32 v23, 16, v6
	v_cvt_f32_f16_e64 v9, |v5|
	v_cvt_f32_f16_e64 v30, |v21|
	;; [unrolled: 3-line block ×3, first 2 shown]
	s_waitcnt vmcnt(0)
	v_lshrrev_b32_e32 v20, 16, v0
	v_cvt_f32_f16_e64 v24, |v7|
	v_cvt_f32_f16_e64 v32, |v22|
	v_lshrrev_b32_e32 v18, 16, v1
	v_cvt_f32_f16_e64 v25, |v0|
	v_cvt_f32_f16_e64 v33, |v20|
	v_max3_f32 v8, s12, v8, v29
	v_lshrrev_b32_e32 v17, 16, v2
	v_cvt_f32_f16_e64 v26, |v1|
	v_cvt_f32_f16_e64 v34, |v18|
	v_max3_f32 v8, v8, v9, v30
	;; [unrolled: 4-line block ×3, first 2 shown]
	v_cvt_f32_f16_e64 v28, |v3|
	v_max3_f32 v8, v8, v24, v32
	v_cvt_f32_f16_e64 v9, |v15|
	v_max3_f32 v8, v8, v25, v33
	v_max3_f32 v8, v8, v26, v34
	;; [unrolled: 1-line block ×4, first 2 shown]
.LBB42_3:
	s_or_b64 exec, exec, s[16:17]
	v_mbcnt_lo_u32_b32 v9, -1, 0
	v_mbcnt_hi_u32_b32 v9, -1, v9
	v_and_b32_e32 v24, 0x78, v9
	v_xor_b32_e32 v11, 4, v9
	v_add_u32_e32 v24, 8, v24
	v_cmp_lt_i32_e32 vcc, v11, v24
	v_cndmask_b32_e32 v11, v9, v11, vcc
	v_lshlrev_b32_e32 v11, 2, v11
	ds_bpermute_b32 v11, v11, v8
	v_xor_b32_e32 v25, 2, v9
	v_max_f32_e32 v8, v8, v8
	v_cmp_lt_i32_e32 vcc, v25, v24
	s_waitcnt lgkmcnt(0)
	v_max_f32_e32 v11, v11, v11
	v_max_f32_e32 v8, v8, v11
	v_cndmask_b32_e32 v11, v9, v25, vcc
	v_lshlrev_b32_e32 v11, 2, v11
	ds_bpermute_b32 v11, v11, v8
	v_xor_b32_e32 v25, 1, v9
	v_cmp_lt_i32_e32 vcc, v25, v24
	v_cndmask_b32_e32 v9, v9, v25, vcc
	v_lshlrev_b32_e32 v9, 2, v9
	s_waitcnt lgkmcnt(0)
	v_max_f32_e32 v11, v11, v11
	v_max_f32_e32 v8, v8, v11
	ds_bpermute_b32 v9, v9, v8
	s_waitcnt lgkmcnt(0)
	v_max_f32_e32 v9, v9, v9
	v_max_f32_e32 v8, v8, v9
	v_div_scale_f32 v9, s[16:17], s14, s14, v8
	v_rcp_f32_e32 v11, v9
	v_div_scale_f32 v24, vcc, v8, s14, v8
	s_xor_b64 s[16:17], s[6:7], -1
	v_fma_f32 v25, -v9, v11, 1.0
	v_fmac_f32_e32 v11, v25, v11
	v_mul_f32_e32 v25, v24, v11
	v_fma_f32 v26, -v9, v25, v24
	v_fmac_f32_e32 v25, v26, v11
	v_fma_f32 v9, -v9, v25, v24
	v_div_fmas_f32 v9, v9, v11, v25
	v_div_fixup_f32 v8, v9, s14, v8
	v_max_f32_e32 v8, 0x2edbe6ff, v8
	v_lshrrev_b32_e32 v9, 23, v8
	v_and_b32_e32 v8, 0x7fffff, v8
	v_cmp_ne_u32_e32 vcc, 0, v8
	v_addc_co_u32_e32 v24, vcc, 0, v9, vcc
	v_cmp_eq_u32_e32 vcc, 0, v13
	s_and_saveexec_b64 s[18:19], vcc
	s_cbranch_execz .LBB42_8
; %bb.4:
	v_ashrrev_i32_e32 v8, 31, v10
	v_lshrrev_b32_e32 v8, 30, v8
	v_add_u32_e32 v8, v10, v8
	v_ashrrev_i32_e32 v11, 2, v8
	v_mad_u64_u32 v[8:9], s[20:21], v11, s11, v[12:13]
	v_mov_b32_e32 v25, v24
	s_and_saveexec_b64 s[20:21], s[16:17]
	s_cbranch_execz .LBB42_6
; %bb.5:
	s_load_dwordx2 s[22:23], s[4:5], 0x30
	v_ashrrev_i32_e32 v9, 31, v8
	s_andn2_b64 s[6:7], s[6:7], exec
	v_mov_b32_e32 v25, 0
	s_waitcnt lgkmcnt(0)
	v_cmp_gt_i64_e32 vcc, s[22:23], v[8:9]
	s_and_b64 s[22:23], vcc, exec
	s_or_b64 s[6:7], s[6:7], s[22:23]
.LBB42_6:
	s_or_b64 exec, exec, s[20:21]
	s_and_b64 exec, exec, s[6:7]
	s_cbranch_execz .LBB42_8
; %bb.7:
	s_load_dwordx2 s[6:7], s[4:5], 0x10
	v_lshlrev_b32_e32 v9, 2, v11
	v_sub_u32_e32 v9, v10, v9
	v_lshl_add_u32 v8, v8, 2, v9
	v_ashrrev_i32_e32 v9, 31, v8
	s_waitcnt lgkmcnt(0)
	v_mov_b32_e32 v10, s7
	v_add_co_u32_e32 v8, vcc, s6, v8
	v_addc_co_u32_e32 v9, vcc, v10, v9, vcc
	global_store_byte v[8:9], v25, off
.LBB42_8:
	s_or_b64 exec, exec, s[18:19]
	s_mov_b64 s[6:7], 0
                                        ; implicit-def: $sgpr9
	s_and_saveexec_b64 s[18:19], s[16:17]
	s_xor_b64 s[16:17], exec, s[18:19]
; %bb.9:
	s_xor_b64 s[2:3], s[2:3], -1
	v_cmp_gt_i32_e32 vcc, s10, v12
	s_and_b64 s[2:3], vcc, s[2:3]
	s_and_b64 s[0:1], s[0:1], s[2:3]
	s_mov_b32 s9, 0
	s_and_b64 s[6:7], s[0:1], exec
                                        ; implicit-def: $vgpr15
                                        ; implicit-def: $vgpr3
                                        ; implicit-def: $vgpr17
                                        ; implicit-def: $vgpr18
                                        ; implicit-def: $vgpr20
                                        ; implicit-def: $vgpr22
                                        ; implicit-def: $vgpr7
                                        ; implicit-def: $vgpr23
                                        ; implicit-def: $vgpr21
                                        ; implicit-def: $vgpr19
                                        ; implicit-def: $vgpr24
; %bb.10:
	s_or_saveexec_b64 s[0:1], s[16:17]
	v_mov_b32_e32 v11, s9
	v_mov_b32_e32 v10, s9
	;; [unrolled: 1-line block ×4, first 2 shown]
	s_xor_b64 exec, exec, s[0:1]
	s_cbranch_execz .LBB42_108
; %bb.11:
	v_lshlrev_b32_e32 v8, 23, v24
	v_and_b32_e32 v8, 0x7f800000, v8
	v_div_scale_f32 v9, s[2:3], v8, v8, 1.0
	v_rcp_f32_e32 v10, v9
	v_div_scale_f32 v11, vcc, 1.0, v8, 1.0
	v_cvt_f32_f16_e32 v4, v4
	v_fma_f32 v24, -v9, v10, 1.0
	v_fmac_f32_e32 v10, v24, v10
	v_mul_f32_e32 v24, v11, v10
	v_fma_f32 v25, -v9, v24, v11
	v_fmac_f32_e32 v24, v25, v10
	v_fma_f32 v9, -v9, v24, v11
	v_div_fmas_f32 v9, v9, v10, v24
	v_div_fixup_f32 v9, v9, v8, 1.0
	v_mul_f32_e32 v4, v9, v4
	v_max_f32_e64 v10, s13, s13
	v_max_f32_e32 v4, v4, v10
	v_max_f32_e64 v11, s14, s14
	v_min_f32_e32 v24, v4, v11
	v_and_b32_e32 v25, 0x7fffffff, v24
	s_mov_b32 s9, 0x43800000
	v_cmp_gt_u32_e32 vcc, s9, v25
	v_mov_b32_e32 v4, 0x80
	v_mov_b32_e32 v8, 0x80
	s_and_saveexec_b64 s[2:3], vcc
	s_cbranch_execz .LBB42_17
; %bb.12:
	s_mov_b32 s10, 0x3bffffff
	v_cmp_lt_u32_e32 vcc, s10, v25
	s_mov_b64 s[10:11], 0
                                        ; implicit-def: $vgpr25
	s_and_saveexec_b64 s[12:13], vcc
	s_xor_b64 s[12:13], exec, s[12:13]
	s_cbranch_execnz .LBB42_111
; %bb.13:
	s_or_saveexec_b64 s[12:13], s[12:13]
                                        ; implicit-def: $sgpr14
	s_xor_b64 exec, exec, s[12:13]
	s_cbranch_execnz .LBB42_112
.LBB42_14:
	s_or_b64 exec, exec, s[12:13]
	v_mov_b32_e32 v8, s14
	s_and_saveexec_b64 s[12:13], s[10:11]
.LBB42_15:
	v_lshrrev_b32_e32 v8, 24, v24
	s_movk_i32 s10, 0x80
	v_and_or_b32 v8, v8, s10, v25
.LBB42_16:
	s_or_b64 exec, exec, s[12:13]
.LBB42_17:
	s_or_b64 exec, exec, s[2:3]
	v_cvt_f32_f16_e32 v19, v19
	v_mul_f32_e32 v19, v9, v19
	v_max_f32_e32 v19, v19, v10
	v_min_f32_e32 v19, v19, v11
	v_and_b32_e32 v24, 0x7fffffff, v19
	v_cmp_gt_u32_e32 vcc, s9, v24
	s_and_saveexec_b64 s[2:3], vcc
	s_cbranch_execz .LBB42_23
; %bb.18:
	s_mov_b32 s9, 0x3bffffff
	v_cmp_lt_u32_e32 vcc, s9, v24
	s_mov_b64 s[10:11], 0
                                        ; implicit-def: $vgpr24
	s_and_saveexec_b64 s[12:13], vcc
	s_xor_b64 s[12:13], exec, s[12:13]
	s_cbranch_execnz .LBB42_113
; %bb.19:
	s_or_saveexec_b64 s[12:13], s[12:13]
                                        ; implicit-def: $sgpr9
	s_xor_b64 exec, exec, s[12:13]
	s_cbranch_execnz .LBB42_114
.LBB42_20:
	s_or_b64 exec, exec, s[12:13]
	v_mov_b32_e32 v4, s9
	s_and_saveexec_b64 s[12:13], s[10:11]
.LBB42_21:
	v_lshrrev_b32_e32 v4, 24, v19
	s_movk_i32 s9, 0x80
	v_and_or_b32 v4, v4, s9, v24
.LBB42_22:
	s_or_b64 exec, exec, s[12:13]
.LBB42_23:
	s_or_b64 exec, exec, s[2:3]
	v_cvt_f32_f16_e32 v19, v5
	s_mov_b32 s9, 0x43800000
	v_mov_b32_e32 v5, 0x80
	v_mul_f32_e32 v19, v9, v19
	v_max_f32_e32 v19, v19, v10
	v_min_f32_e32 v24, v19, v11
	v_and_b32_e32 v25, 0x7fffffff, v24
	v_cmp_gt_u32_e32 vcc, s9, v25
	v_mov_b32_e32 v19, 0x80
	s_and_saveexec_b64 s[2:3], vcc
	s_cbranch_execz .LBB42_29
; %bb.24:
	s_mov_b32 s10, 0x3bffffff
	v_cmp_lt_u32_e32 vcc, s10, v25
	s_mov_b64 s[10:11], 0
                                        ; implicit-def: $vgpr25
	s_and_saveexec_b64 s[12:13], vcc
	s_xor_b64 s[12:13], exec, s[12:13]
	s_cbranch_execnz .LBB42_115
; %bb.25:
	s_or_saveexec_b64 s[12:13], s[12:13]
                                        ; implicit-def: $sgpr14
	s_xor_b64 exec, exec, s[12:13]
	s_cbranch_execnz .LBB42_116
.LBB42_26:
	s_or_b64 exec, exec, s[12:13]
	v_mov_b32_e32 v19, s14
	s_and_saveexec_b64 s[12:13], s[10:11]
.LBB42_27:
	v_lshrrev_b32_e32 v19, 24, v24
	s_movk_i32 s10, 0x80
	v_and_or_b32 v19, v19, s10, v25
.LBB42_28:
	s_or_b64 exec, exec, s[12:13]
.LBB42_29:
	s_or_b64 exec, exec, s[2:3]
	v_cvt_f32_f16_e32 v21, v21
	v_mul_f32_e32 v21, v9, v21
	v_max_f32_e32 v21, v21, v10
	v_min_f32_e32 v21, v21, v11
	v_and_b32_e32 v24, 0x7fffffff, v21
	v_cmp_gt_u32_e32 vcc, s9, v24
	s_and_saveexec_b64 s[2:3], vcc
	s_cbranch_execz .LBB42_35
; %bb.30:
	s_mov_b32 s9, 0x3bffffff
	v_cmp_lt_u32_e32 vcc, s9, v24
	s_mov_b64 s[10:11], 0
                                        ; implicit-def: $vgpr24
	s_and_saveexec_b64 s[12:13], vcc
	s_xor_b64 s[12:13], exec, s[12:13]
	s_cbranch_execnz .LBB42_117
; %bb.31:
	s_or_saveexec_b64 s[12:13], s[12:13]
                                        ; implicit-def: $sgpr9
	s_xor_b64 exec, exec, s[12:13]
	s_cbranch_execnz .LBB42_118
.LBB42_32:
	s_or_b64 exec, exec, s[12:13]
	v_mov_b32_e32 v5, s9
	s_and_saveexec_b64 s[12:13], s[10:11]
.LBB42_33:
	v_lshrrev_b32_e32 v5, 24, v21
	s_movk_i32 s9, 0x80
	v_and_or_b32 v5, v5, s9, v24
.LBB42_34:
	s_or_b64 exec, exec, s[12:13]
.LBB42_35:
	s_or_b64 exec, exec, s[2:3]
	v_cvt_f32_f16_e32 v21, v6
	s_mov_b32 s9, 0x43800000
	v_mov_b32_e32 v6, 0x80
	v_mul_f32_e32 v21, v9, v21
	v_max_f32_e32 v21, v21, v10
	v_min_f32_e32 v24, v21, v11
	v_and_b32_e32 v25, 0x7fffffff, v24
	v_cmp_gt_u32_e32 vcc, s9, v25
	v_mov_b32_e32 v21, 0x80
	s_and_saveexec_b64 s[2:3], vcc
	s_cbranch_execz .LBB42_41
; %bb.36:
	s_mov_b32 s10, 0x3bffffff
	v_cmp_lt_u32_e32 vcc, s10, v25
	s_mov_b64 s[10:11], 0
                                        ; implicit-def: $vgpr25
	s_and_saveexec_b64 s[12:13], vcc
	s_xor_b64 s[12:13], exec, s[12:13]
	s_cbranch_execnz .LBB42_119
; %bb.37:
	s_or_saveexec_b64 s[12:13], s[12:13]
                                        ; implicit-def: $sgpr14
	s_xor_b64 exec, exec, s[12:13]
	s_cbranch_execnz .LBB42_120
.LBB42_38:
	s_or_b64 exec, exec, s[12:13]
	v_mov_b32_e32 v21, s14
	s_and_saveexec_b64 s[12:13], s[10:11]
.LBB42_39:
	v_lshrrev_b32_e32 v21, 24, v24
	s_movk_i32 s10, 0x80
	v_and_or_b32 v21, v21, s10, v25
.LBB42_40:
	s_or_b64 exec, exec, s[12:13]
.LBB42_41:
	s_or_b64 exec, exec, s[2:3]
	v_cvt_f32_f16_e32 v23, v23
	v_mul_f32_e32 v23, v9, v23
	v_max_f32_e32 v23, v23, v10
	v_min_f32_e32 v23, v23, v11
	v_and_b32_e32 v24, 0x7fffffff, v23
	v_cmp_gt_u32_e32 vcc, s9, v24
	s_and_saveexec_b64 s[2:3], vcc
	s_cbranch_execz .LBB42_47
; %bb.42:
	s_mov_b32 s9, 0x3bffffff
	v_cmp_lt_u32_e32 vcc, s9, v24
	s_mov_b64 s[10:11], 0
                                        ; implicit-def: $vgpr24
	s_and_saveexec_b64 s[12:13], vcc
	s_xor_b64 s[12:13], exec, s[12:13]
	s_cbranch_execnz .LBB42_121
; %bb.43:
	s_or_saveexec_b64 s[12:13], s[12:13]
                                        ; implicit-def: $sgpr9
	s_xor_b64 exec, exec, s[12:13]
	s_cbranch_execnz .LBB42_122
.LBB42_44:
	s_or_b64 exec, exec, s[12:13]
	v_mov_b32_e32 v6, s9
	s_and_saveexec_b64 s[12:13], s[10:11]
.LBB42_45:
	v_lshrrev_b32_e32 v6, 24, v23
	s_movk_i32 s9, 0x80
	v_and_or_b32 v6, v6, s9, v24
.LBB42_46:
	s_or_b64 exec, exec, s[12:13]
.LBB42_47:
	s_or_b64 exec, exec, s[2:3]
	v_cvt_f32_f16_e32 v23, v7
	s_mov_b32 s9, 0x43800000
	v_mov_b32_e32 v7, 0x80
	v_mul_f32_e32 v23, v9, v23
	v_max_f32_e32 v23, v23, v10
	v_min_f32_e32 v24, v23, v11
	v_and_b32_e32 v25, 0x7fffffff, v24
	v_cmp_gt_u32_e32 vcc, s9, v25
	v_mov_b32_e32 v23, 0x80
	s_and_saveexec_b64 s[2:3], vcc
	s_cbranch_execz .LBB42_53
; %bb.48:
	s_mov_b32 s10, 0x3bffffff
	v_cmp_lt_u32_e32 vcc, s10, v25
	s_mov_b64 s[10:11], 0
                                        ; implicit-def: $vgpr25
	s_and_saveexec_b64 s[12:13], vcc
	s_xor_b64 s[12:13], exec, s[12:13]
	s_cbranch_execnz .LBB42_123
; %bb.49:
	s_or_saveexec_b64 s[12:13], s[12:13]
                                        ; implicit-def: $sgpr14
	s_xor_b64 exec, exec, s[12:13]
	s_cbranch_execnz .LBB42_124
.LBB42_50:
	s_or_b64 exec, exec, s[12:13]
	v_mov_b32_e32 v23, s14
	s_and_saveexec_b64 s[12:13], s[10:11]
.LBB42_51:
	v_lshrrev_b32_e32 v23, 24, v24
	s_movk_i32 s10, 0x80
	v_and_or_b32 v23, v23, s10, v25
.LBB42_52:
	s_or_b64 exec, exec, s[12:13]
.LBB42_53:
	s_or_b64 exec, exec, s[2:3]
	v_cvt_f32_f16_e32 v22, v22
	v_mul_f32_e32 v22, v9, v22
	v_max_f32_e32 v22, v22, v10
	v_min_f32_e32 v22, v22, v11
	v_and_b32_e32 v24, 0x7fffffff, v22
	v_cmp_gt_u32_e32 vcc, s9, v24
	s_and_saveexec_b64 s[2:3], vcc
	s_cbranch_execz .LBB42_59
; %bb.54:
	s_mov_b32 s9, 0x3bffffff
	v_cmp_lt_u32_e32 vcc, s9, v24
	s_mov_b64 s[10:11], 0
                                        ; implicit-def: $vgpr24
	s_and_saveexec_b64 s[12:13], vcc
	s_xor_b64 s[12:13], exec, s[12:13]
	s_cbranch_execnz .LBB42_125
; %bb.55:
	s_or_saveexec_b64 s[12:13], s[12:13]
                                        ; implicit-def: $sgpr9
	s_xor_b64 exec, exec, s[12:13]
	s_cbranch_execnz .LBB42_126
.LBB42_56:
	s_or_b64 exec, exec, s[12:13]
	v_mov_b32_e32 v7, s9
	s_and_saveexec_b64 s[12:13], s[10:11]
.LBB42_57:
	v_lshrrev_b32_e32 v7, 24, v22
	s_movk_i32 s9, 0x80
	v_and_or_b32 v7, v7, s9, v24
.LBB42_58:
	s_or_b64 exec, exec, s[12:13]
.LBB42_59:
	s_or_b64 exec, exec, s[2:3]
	v_cvt_f32_f16_e32 v22, v0
	s_mov_b32 s9, 0x43800000
	v_mov_b32_e32 v0, 0x80
	v_mul_f32_e32 v22, v9, v22
	v_max_f32_e32 v22, v22, v10
	v_min_f32_e32 v24, v22, v11
	v_and_b32_e32 v25, 0x7fffffff, v24
	v_cmp_gt_u32_e32 vcc, s9, v25
	v_mov_b32_e32 v22, 0x80
	s_and_saveexec_b64 s[2:3], vcc
	s_cbranch_execz .LBB42_65
; %bb.60:
	s_mov_b32 s10, 0x3bffffff
	v_cmp_lt_u32_e32 vcc, s10, v25
	s_mov_b64 s[10:11], 0
                                        ; implicit-def: $vgpr25
	s_and_saveexec_b64 s[12:13], vcc
	s_xor_b64 s[12:13], exec, s[12:13]
	s_cbranch_execnz .LBB42_127
; %bb.61:
	s_or_saveexec_b64 s[12:13], s[12:13]
                                        ; implicit-def: $sgpr14
	s_xor_b64 exec, exec, s[12:13]
	s_cbranch_execnz .LBB42_128
.LBB42_62:
	s_or_b64 exec, exec, s[12:13]
	v_mov_b32_e32 v22, s14
	s_and_saveexec_b64 s[12:13], s[10:11]
.LBB42_63:
	v_lshrrev_b32_e32 v22, 24, v24
	s_movk_i32 s10, 0x80
	v_and_or_b32 v22, v22, s10, v25
.LBB42_64:
	s_or_b64 exec, exec, s[12:13]
.LBB42_65:
	s_or_b64 exec, exec, s[2:3]
	v_cvt_f32_f16_e32 v20, v20
	v_mul_f32_e32 v20, v9, v20
	v_max_f32_e32 v20, v20, v10
	v_min_f32_e32 v20, v20, v11
	v_and_b32_e32 v24, 0x7fffffff, v20
	v_cmp_gt_u32_e32 vcc, s9, v24
	s_and_saveexec_b64 s[2:3], vcc
	s_cbranch_execz .LBB42_71
; %bb.66:
	s_mov_b32 s9, 0x3bffffff
	v_cmp_lt_u32_e32 vcc, s9, v24
	s_mov_b64 s[10:11], 0
                                        ; implicit-def: $vgpr24
	s_and_saveexec_b64 s[12:13], vcc
	s_xor_b64 s[12:13], exec, s[12:13]
	s_cbranch_execnz .LBB42_129
; %bb.67:
	s_or_saveexec_b64 s[12:13], s[12:13]
                                        ; implicit-def: $sgpr9
	s_xor_b64 exec, exec, s[12:13]
	s_cbranch_execnz .LBB42_130
.LBB42_68:
	s_or_b64 exec, exec, s[12:13]
	v_mov_b32_e32 v0, s9
	s_and_saveexec_b64 s[12:13], s[10:11]
.LBB42_69:
	v_lshrrev_b32_e32 v0, 24, v20
	s_movk_i32 s9, 0x80
	v_and_or_b32 v0, v0, s9, v24
.LBB42_70:
	s_or_b64 exec, exec, s[12:13]
.LBB42_71:
	s_or_b64 exec, exec, s[2:3]
	v_cvt_f32_f16_e32 v1, v1
	s_mov_b32 s9, 0x43800000
	v_mul_f32_e32 v1, v9, v1
	v_max_f32_e32 v1, v1, v10
	v_min_f32_e32 v20, v1, v11
	v_and_b32_e32 v24, 0x7fffffff, v20
	v_cmp_gt_u32_e32 vcc, s9, v24
	v_mov_b32_e32 v1, 0x800000
	s_and_saveexec_b64 s[2:3], vcc
	s_cbranch_execz .LBB42_77
; %bb.72:
	s_mov_b32 s10, 0x3bffffff
	v_cmp_lt_u32_e32 vcc, s10, v24
	s_mov_b64 s[10:11], 0
                                        ; implicit-def: $vgpr24
	s_and_saveexec_b64 s[12:13], vcc
	s_xor_b64 s[12:13], exec, s[12:13]
	s_cbranch_execnz .LBB42_131
; %bb.73:
	s_or_saveexec_b64 s[12:13], s[12:13]
                                        ; implicit-def: $sgpr14
	s_xor_b64 exec, exec, s[12:13]
	s_cbranch_execnz .LBB42_132
.LBB42_74:
	s_or_b64 exec, exec, s[12:13]
	v_mov_b32_e32 v1, s14
	s_and_saveexec_b64 s[12:13], s[10:11]
.LBB42_75:
	v_lshrrev_b32_e32 v1, 24, v20
	s_movk_i32 s10, 0x80
	v_and_or_b32 v1, v1, s10, v24
	v_lshlrev_b32_e32 v1, 16, v1
	v_and_b32_e32 v1, 0xff0000, v1
.LBB42_76:
	s_or_b64 exec, exec, s[12:13]
.LBB42_77:
	s_or_b64 exec, exec, s[2:3]
	v_cvt_f32_f16_e32 v18, v18
	v_mul_f32_e32 v18, v9, v18
	v_max_f32_e32 v18, v18, v10
	v_min_f32_e32 v20, v18, v11
	v_and_b32_e32 v24, 0x7fffffff, v20
	v_cmp_gt_u32_e32 vcc, s9, v24
	v_bfrev_b32_e32 v18, 1
	s_and_saveexec_b64 s[2:3], vcc
	s_cbranch_execz .LBB42_83
; %bb.78:
	s_mov_b32 s9, 0x3bffffff
	v_cmp_lt_u32_e32 vcc, s9, v24
	s_mov_b64 s[10:11], 0
                                        ; implicit-def: $vgpr24
	s_and_saveexec_b64 s[12:13], vcc
	s_xor_b64 s[12:13], exec, s[12:13]
	s_cbranch_execnz .LBB42_133
; %bb.79:
	s_or_saveexec_b64 s[12:13], s[12:13]
                                        ; implicit-def: $sgpr9
	s_xor_b64 exec, exec, s[12:13]
	s_cbranch_execnz .LBB42_134
.LBB42_80:
	s_or_b64 exec, exec, s[12:13]
	v_mov_b32_e32 v18, s9
	s_and_saveexec_b64 s[12:13], s[10:11]
.LBB42_81:
	v_lshlrev_b32_e32 v18, 24, v24
	s_brev_b32 s9, 1
	v_and_or_b32 v18, v20, s9, v18
.LBB42_82:
	s_or_b64 exec, exec, s[12:13]
.LBB42_83:
	s_or_b64 exec, exec, s[2:3]
	v_cvt_f32_f16_e32 v2, v2
	s_mov_b32 s9, 0x43800000
	v_mul_f32_e32 v2, v9, v2
	v_max_f32_e32 v2, v2, v10
	v_min_f32_e32 v20, v2, v11
	v_and_b32_e32 v24, 0x7fffffff, v20
	v_cmp_gt_u32_e32 vcc, s9, v24
	v_mov_b32_e32 v2, 0x80
	s_and_saveexec_b64 s[2:3], vcc
	s_cbranch_execz .LBB42_89
; %bb.84:
	s_mov_b32 s10, 0x3bffffff
	v_cmp_lt_u32_e32 vcc, s10, v24
	s_mov_b64 s[10:11], 0
                                        ; implicit-def: $vgpr24
	s_and_saveexec_b64 s[12:13], vcc
	s_xor_b64 s[12:13], exec, s[12:13]
	s_cbranch_execnz .LBB42_135
; %bb.85:
	s_or_saveexec_b64 s[12:13], s[12:13]
                                        ; implicit-def: $sgpr14
	s_xor_b64 exec, exec, s[12:13]
	s_cbranch_execnz .LBB42_136
.LBB42_86:
	s_or_b64 exec, exec, s[12:13]
	v_mov_b32_e32 v2, s14
	s_and_saveexec_b64 s[12:13], s[10:11]
.LBB42_87:
	v_lshrrev_b32_e32 v2, 24, v20
	s_movk_i32 s10, 0x80
	v_and_or_b32 v2, v2, s10, v24
.LBB42_88:
	s_or_b64 exec, exec, s[12:13]
.LBB42_89:
	s_or_b64 exec, exec, s[2:3]
	v_cvt_f32_f16_e32 v17, v17
	v_mul_f32_e32 v17, v9, v17
	v_max_f32_e32 v17, v17, v10
	v_min_f32_e32 v20, v17, v11
	v_and_b32_e32 v24, 0x7fffffff, v20
	v_cmp_gt_u32_e32 vcc, s9, v24
	v_mov_b32_e32 v17, 0x8000
	s_and_saveexec_b64 s[2:3], vcc
	s_cbranch_execz .LBB42_95
; %bb.90:
	s_mov_b32 s9, 0x3bffffff
	v_cmp_lt_u32_e32 vcc, s9, v24
	s_mov_b64 s[10:11], 0
                                        ; implicit-def: $vgpr24
	s_and_saveexec_b64 s[12:13], vcc
	s_xor_b64 s[12:13], exec, s[12:13]
	s_cbranch_execnz .LBB42_137
; %bb.91:
	s_or_saveexec_b64 s[12:13], s[12:13]
                                        ; implicit-def: $sgpr9
	s_xor_b64 exec, exec, s[12:13]
	s_cbranch_execnz .LBB42_138
.LBB42_92:
	s_or_b64 exec, exec, s[12:13]
	v_mov_b32_e32 v17, s9
	s_and_saveexec_b64 s[12:13], s[10:11]
.LBB42_93:
	v_lshrrev_b32_e32 v17, 24, v20
	s_movk_i32 s9, 0x80
	v_and_or_b32 v17, v17, s9, v24
	v_lshlrev_b32_e32 v17, 8, v17
.LBB42_94:
	s_or_b64 exec, exec, s[12:13]
.LBB42_95:
	s_or_b64 exec, exec, s[2:3]
	v_cvt_f32_f16_e32 v3, v3
	s_mov_b32 s9, 0x43800000
	v_mul_f32_e32 v3, v9, v3
	v_max_f32_e32 v3, v3, v10
	v_min_f32_e32 v20, v3, v11
	v_and_b32_e32 v24, 0x7fffffff, v20
	v_cmp_gt_u32_e32 vcc, s9, v24
	v_mov_b32_e32 v3, 0x800000
	s_and_saveexec_b64 s[2:3], vcc
	s_cbranch_execz .LBB42_101
; %bb.96:
	s_mov_b32 s10, 0x3bffffff
	v_cmp_lt_u32_e32 vcc, s10, v24
	s_mov_b64 s[10:11], 0
                                        ; implicit-def: $vgpr24
	s_and_saveexec_b64 s[12:13], vcc
	s_xor_b64 s[12:13], exec, s[12:13]
	s_cbranch_execnz .LBB42_139
; %bb.97:
	s_or_saveexec_b64 s[12:13], s[12:13]
                                        ; implicit-def: $sgpr14
	s_xor_b64 exec, exec, s[12:13]
	s_cbranch_execnz .LBB42_140
.LBB42_98:
	s_or_b64 exec, exec, s[12:13]
	v_mov_b32_e32 v3, s14
	s_and_saveexec_b64 s[12:13], s[10:11]
.LBB42_99:
	v_lshrrev_b32_e32 v3, 24, v20
	s_movk_i32 s10, 0x80
	v_and_or_b32 v3, v3, s10, v24
	v_lshlrev_b32_e32 v3, 16, v3
.LBB42_100:
	s_or_b64 exec, exec, s[12:13]
.LBB42_101:
	s_or_b64 exec, exec, s[2:3]
	v_cvt_f32_f16_e32 v15, v15
	v_mul_f32_e32 v9, v9, v15
	v_max_f32_e32 v9, v9, v10
	v_min_f32_e32 v9, v9, v11
	v_and_b32_e32 v10, 0x7fffffff, v9
	v_cmp_gt_u32_e32 vcc, s9, v10
	v_bfrev_b32_e32 v11, 1
	s_and_saveexec_b64 s[2:3], vcc
	s_cbranch_execz .LBB42_107
; %bb.102:
	s_mov_b32 s9, 0x3bffffff
	v_cmp_lt_u32_e32 vcc, s9, v10
	s_mov_b64 s[10:11], 0
                                        ; implicit-def: $vgpr10
	s_and_saveexec_b64 s[12:13], vcc
	s_xor_b64 s[12:13], exec, s[12:13]
	s_cbranch_execnz .LBB42_141
; %bb.103:
	s_or_saveexec_b64 s[12:13], s[12:13]
                                        ; implicit-def: $sgpr9
	s_xor_b64 exec, exec, s[12:13]
	s_cbranch_execnz .LBB42_142
.LBB42_104:
	s_or_b64 exec, exec, s[12:13]
	v_mov_b32_e32 v11, s9
	s_and_saveexec_b64 s[12:13], s[10:11]
.LBB42_105:
	v_lshlrev_b32_e32 v10, 24, v10
	s_brev_b32 s9, 1
	v_and_or_b32 v11, v9, s9, v10
.LBB42_106:
	s_or_b64 exec, exec, s[12:13]
.LBB42_107:
	s_or_b64 exec, exec, s[2:3]
	v_lshlrev_b32_e32 v0, 8, v0
	s_mov_b32 s2, 0xc0c0500
	v_perm_b32 v0, v0, v22, s2
	v_or3_b32 v10, v1, v0, v18
	v_lshlrev_b32_e32 v0, 8, v6
	v_perm_b32 v0, v0, v21, s2
	v_lshlrev_b32_e32 v1, 16, v23
	s_mov_b32 s3, 0xff0000
	v_and_or_b32 v0, v1, s3, v0
	v_lshl_or_b32 v9, v7, 24, v0
	v_lshlrev_b32_e32 v0, 8, v4
	v_perm_b32 v0, v0, v8, s2
	v_lshlrev_b32_e32 v1, 16, v19
	v_or_b32_e32 v2, v17, v2
	v_and_or_b32 v0, v1, s3, v0
	v_lshl_or_b32 v8, v5, 24, v0
	v_or3_b32 v11, v3, v2, v11
	s_or_b64 s[6:7], s[6:7], exec
.LBB42_108:
	s_or_b64 exec, exec, s[0:1]
	s_and_b64 exec, exec, s[6:7]
	s_cbranch_execz .LBB42_110
; %bb.109:
	s_load_dwordx2 s[0:1], s[4:5], 0x8
	v_alignbit_b32 v0, v16, v12, 25
	s_ashr_i32 s2, s8, 31
	v_lshlrev_b32_e32 v2, 7, v12
	v_mul_lo_u32 v4, v0, s8
	s_waitcnt lgkmcnt(0)
	v_pk_mov_b32 v[0:1], s[0:1], s[0:1] op_sel:[0,1]
	v_mul_lo_u32 v3, v2, s2
	v_mad_u64_u32 v[0:1], s[0:1], v2, s8, v[0:1]
	v_add3_u32 v1, v4, v1, v3
	v_ashrrev_i32_e32 v2, 31, v14
	v_add_co_u32_e32 v0, vcc, v0, v14
	v_addc_co_u32_e32 v1, vcc, v1, v2, vcc
	v_lshlrev_b32_e32 v2, 4, v13
	v_add_co_u32_e32 v0, vcc, v0, v2
	v_addc_co_u32_e32 v1, vcc, 0, v1, vcc
	global_store_dwordx4 v[0:1], v[8:11], off
.LBB42_110:
	s_endpgm
.LBB42_111:
	v_bfe_u32 v8, v24, 20, 1
	s_mov_b32 s14, 0x487ffff
	v_add3_u32 v8, v24, v8, s14
	s_mov_b64 s[10:11], exec
	v_lshrrev_b32_e32 v25, 20, v8
	s_or_saveexec_b64 s[12:13], s[12:13]
                                        ; implicit-def: $sgpr14
	s_xor_b64 exec, exec, s[12:13]
	s_cbranch_execz .LBB42_14
.LBB42_112:
	s_mov_b32 s14, 0x46000000
	v_add_f32_e64 v8, |v24|, s14
	v_and_b32_e32 v25, 0xff, v8
	v_cmp_ne_u32_e32 vcc, 0, v25
	s_andn2_b64 s[10:11], s[10:11], exec
	s_and_b64 s[16:17], vcc, exec
	s_mov_b32 s14, 0
	s_or_b64 s[10:11], s[10:11], s[16:17]
	s_or_b64 exec, exec, s[12:13]
	v_mov_b32_e32 v8, s14
	s_and_saveexec_b64 s[12:13], s[10:11]
	s_cbranch_execnz .LBB42_15
	s_branch .LBB42_16
.LBB42_113:
	v_bfe_u32 v4, v19, 20, 1
	s_mov_b32 s9, 0x487ffff
	v_add3_u32 v4, v19, v4, s9
	s_mov_b64 s[10:11], exec
	v_lshrrev_b32_e32 v24, 20, v4
	s_or_saveexec_b64 s[12:13], s[12:13]
                                        ; implicit-def: $sgpr9
	s_xor_b64 exec, exec, s[12:13]
	s_cbranch_execz .LBB42_20
.LBB42_114:
	s_mov_b32 s9, 0x46000000
	v_add_f32_e64 v4, |v19|, s9
	v_and_b32_e32 v24, 0xff, v4
	v_cmp_ne_u32_e32 vcc, 0, v24
	s_andn2_b64 s[10:11], s[10:11], exec
	s_and_b64 s[14:15], vcc, exec
	s_mov_b32 s9, 0
	s_or_b64 s[10:11], s[10:11], s[14:15]
	s_or_b64 exec, exec, s[12:13]
	v_mov_b32_e32 v4, s9
	s_and_saveexec_b64 s[12:13], s[10:11]
	s_cbranch_execnz .LBB42_21
	s_branch .LBB42_22
.LBB42_115:
	v_bfe_u32 v19, v24, 20, 1
	s_mov_b32 s14, 0x487ffff
	v_add3_u32 v19, v24, v19, s14
	s_mov_b64 s[10:11], exec
	v_lshrrev_b32_e32 v25, 20, v19
	s_or_saveexec_b64 s[12:13], s[12:13]
                                        ; implicit-def: $sgpr14
	s_xor_b64 exec, exec, s[12:13]
	s_cbranch_execz .LBB42_26
.LBB42_116:
	s_mov_b32 s14, 0x46000000
	v_add_f32_e64 v19, |v24|, s14
	v_and_b32_e32 v25, 0xff, v19
	v_cmp_ne_u32_e32 vcc, 0, v25
	s_andn2_b64 s[10:11], s[10:11], exec
	s_and_b64 s[16:17], vcc, exec
	s_mov_b32 s14, 0
	s_or_b64 s[10:11], s[10:11], s[16:17]
	s_or_b64 exec, exec, s[12:13]
	v_mov_b32_e32 v19, s14
	s_and_saveexec_b64 s[12:13], s[10:11]
	s_cbranch_execnz .LBB42_27
	s_branch .LBB42_28
.LBB42_117:
	v_bfe_u32 v5, v21, 20, 1
	s_mov_b32 s9, 0x487ffff
	v_add3_u32 v5, v21, v5, s9
	s_mov_b64 s[10:11], exec
	v_lshrrev_b32_e32 v24, 20, v5
	s_or_saveexec_b64 s[12:13], s[12:13]
                                        ; implicit-def: $sgpr9
	s_xor_b64 exec, exec, s[12:13]
	s_cbranch_execz .LBB42_32
.LBB42_118:
	s_mov_b32 s9, 0x46000000
	v_add_f32_e64 v5, |v21|, s9
	v_and_b32_e32 v24, 0xff, v5
	v_cmp_ne_u32_e32 vcc, 0, v24
	s_andn2_b64 s[10:11], s[10:11], exec
	s_and_b64 s[14:15], vcc, exec
	s_mov_b32 s9, 0
	s_or_b64 s[10:11], s[10:11], s[14:15]
	s_or_b64 exec, exec, s[12:13]
	v_mov_b32_e32 v5, s9
	s_and_saveexec_b64 s[12:13], s[10:11]
	s_cbranch_execnz .LBB42_33
	s_branch .LBB42_34
.LBB42_119:
	v_bfe_u32 v21, v24, 20, 1
	s_mov_b32 s14, 0x487ffff
	v_add3_u32 v21, v24, v21, s14
	s_mov_b64 s[10:11], exec
	v_lshrrev_b32_e32 v25, 20, v21
	s_or_saveexec_b64 s[12:13], s[12:13]
                                        ; implicit-def: $sgpr14
	s_xor_b64 exec, exec, s[12:13]
	s_cbranch_execz .LBB42_38
.LBB42_120:
	s_mov_b32 s14, 0x46000000
	v_add_f32_e64 v21, |v24|, s14
	v_and_b32_e32 v25, 0xff, v21
	v_cmp_ne_u32_e32 vcc, 0, v25
	s_andn2_b64 s[10:11], s[10:11], exec
	s_and_b64 s[16:17], vcc, exec
	s_mov_b32 s14, 0
	s_or_b64 s[10:11], s[10:11], s[16:17]
	s_or_b64 exec, exec, s[12:13]
	v_mov_b32_e32 v21, s14
	s_and_saveexec_b64 s[12:13], s[10:11]
	s_cbranch_execnz .LBB42_39
	s_branch .LBB42_40
.LBB42_121:
	v_bfe_u32 v6, v23, 20, 1
	s_mov_b32 s9, 0x487ffff
	v_add3_u32 v6, v23, v6, s9
	s_mov_b64 s[10:11], exec
	v_lshrrev_b32_e32 v24, 20, v6
	s_or_saveexec_b64 s[12:13], s[12:13]
                                        ; implicit-def: $sgpr9
	s_xor_b64 exec, exec, s[12:13]
	s_cbranch_execz .LBB42_44
.LBB42_122:
	s_mov_b32 s9, 0x46000000
	v_add_f32_e64 v6, |v23|, s9
	v_and_b32_e32 v24, 0xff, v6
	v_cmp_ne_u32_e32 vcc, 0, v24
	s_andn2_b64 s[10:11], s[10:11], exec
	s_and_b64 s[14:15], vcc, exec
	s_mov_b32 s9, 0
	s_or_b64 s[10:11], s[10:11], s[14:15]
	s_or_b64 exec, exec, s[12:13]
	v_mov_b32_e32 v6, s9
	s_and_saveexec_b64 s[12:13], s[10:11]
	s_cbranch_execnz .LBB42_45
	s_branch .LBB42_46
.LBB42_123:
	v_bfe_u32 v23, v24, 20, 1
	s_mov_b32 s14, 0x487ffff
	v_add3_u32 v23, v24, v23, s14
	s_mov_b64 s[10:11], exec
	v_lshrrev_b32_e32 v25, 20, v23
	s_or_saveexec_b64 s[12:13], s[12:13]
                                        ; implicit-def: $sgpr14
	s_xor_b64 exec, exec, s[12:13]
	s_cbranch_execz .LBB42_50
.LBB42_124:
	s_mov_b32 s14, 0x46000000
	v_add_f32_e64 v23, |v24|, s14
	v_and_b32_e32 v25, 0xff, v23
	v_cmp_ne_u32_e32 vcc, 0, v25
	s_andn2_b64 s[10:11], s[10:11], exec
	s_and_b64 s[16:17], vcc, exec
	s_mov_b32 s14, 0
	s_or_b64 s[10:11], s[10:11], s[16:17]
	s_or_b64 exec, exec, s[12:13]
	v_mov_b32_e32 v23, s14
	s_and_saveexec_b64 s[12:13], s[10:11]
	s_cbranch_execnz .LBB42_51
	s_branch .LBB42_52
.LBB42_125:
	v_bfe_u32 v7, v22, 20, 1
	s_mov_b32 s9, 0x487ffff
	v_add3_u32 v7, v22, v7, s9
	s_mov_b64 s[10:11], exec
	v_lshrrev_b32_e32 v24, 20, v7
	s_or_saveexec_b64 s[12:13], s[12:13]
                                        ; implicit-def: $sgpr9
	s_xor_b64 exec, exec, s[12:13]
	s_cbranch_execz .LBB42_56
.LBB42_126:
	s_mov_b32 s9, 0x46000000
	v_add_f32_e64 v7, |v22|, s9
	v_and_b32_e32 v24, 0xff, v7
	v_cmp_ne_u32_e32 vcc, 0, v24
	s_andn2_b64 s[10:11], s[10:11], exec
	s_and_b64 s[14:15], vcc, exec
	s_mov_b32 s9, 0
	s_or_b64 s[10:11], s[10:11], s[14:15]
	s_or_b64 exec, exec, s[12:13]
	v_mov_b32_e32 v7, s9
	s_and_saveexec_b64 s[12:13], s[10:11]
	s_cbranch_execnz .LBB42_57
	s_branch .LBB42_58
.LBB42_127:
	v_bfe_u32 v22, v24, 20, 1
	s_mov_b32 s14, 0x487ffff
	v_add3_u32 v22, v24, v22, s14
	s_mov_b64 s[10:11], exec
	v_lshrrev_b32_e32 v25, 20, v22
	s_or_saveexec_b64 s[12:13], s[12:13]
                                        ; implicit-def: $sgpr14
	s_xor_b64 exec, exec, s[12:13]
	s_cbranch_execz .LBB42_62
.LBB42_128:
	s_mov_b32 s14, 0x46000000
	v_add_f32_e64 v22, |v24|, s14
	v_and_b32_e32 v25, 0xff, v22
	v_cmp_ne_u32_e32 vcc, 0, v25
	s_andn2_b64 s[10:11], s[10:11], exec
	s_and_b64 s[16:17], vcc, exec
	s_mov_b32 s14, 0
	s_or_b64 s[10:11], s[10:11], s[16:17]
	s_or_b64 exec, exec, s[12:13]
	v_mov_b32_e32 v22, s14
	s_and_saveexec_b64 s[12:13], s[10:11]
	s_cbranch_execnz .LBB42_63
	s_branch .LBB42_64
.LBB42_129:
	v_bfe_u32 v0, v20, 20, 1
	s_mov_b32 s9, 0x487ffff
	v_add3_u32 v0, v20, v0, s9
	s_mov_b64 s[10:11], exec
	v_lshrrev_b32_e32 v24, 20, v0
	s_or_saveexec_b64 s[12:13], s[12:13]
                                        ; implicit-def: $sgpr9
	s_xor_b64 exec, exec, s[12:13]
	s_cbranch_execz .LBB42_68
.LBB42_130:
	s_mov_b32 s9, 0x46000000
	v_add_f32_e64 v0, |v20|, s9
	v_and_b32_e32 v24, 0xff, v0
	v_cmp_ne_u32_e32 vcc, 0, v24
	s_andn2_b64 s[10:11], s[10:11], exec
	s_and_b64 s[14:15], vcc, exec
	s_mov_b32 s9, 0
	s_or_b64 s[10:11], s[10:11], s[14:15]
	s_or_b64 exec, exec, s[12:13]
	v_mov_b32_e32 v0, s9
	s_and_saveexec_b64 s[12:13], s[10:11]
	s_cbranch_execnz .LBB42_69
	s_branch .LBB42_70
.LBB42_131:
	v_bfe_u32 v1, v20, 20, 1
	s_mov_b32 s14, 0x487ffff
	v_add3_u32 v1, v20, v1, s14
	s_mov_b64 s[10:11], exec
	v_lshrrev_b32_e32 v24, 20, v1
	s_or_saveexec_b64 s[12:13], s[12:13]
                                        ; implicit-def: $sgpr14
	s_xor_b64 exec, exec, s[12:13]
	s_cbranch_execz .LBB42_74
.LBB42_132:
	s_mov_b32 s14, 0x46000000
	v_add_f32_e64 v1, |v20|, s14
	v_and_b32_e32 v24, 0xff, v1
	v_cmp_ne_u32_e32 vcc, 0, v24
	s_andn2_b64 s[10:11], s[10:11], exec
	s_and_b64 s[16:17], vcc, exec
	s_mov_b32 s14, 0
	s_or_b64 s[10:11], s[10:11], s[16:17]
	s_or_b64 exec, exec, s[12:13]
	v_mov_b32_e32 v1, s14
	s_and_saveexec_b64 s[12:13], s[10:11]
	s_cbranch_execnz .LBB42_75
	s_branch .LBB42_76
.LBB42_133:
	v_bfe_u32 v18, v20, 20, 1
	s_mov_b32 s9, 0x487ffff
	v_add3_u32 v18, v20, v18, s9
	s_mov_b64 s[10:11], exec
	v_lshrrev_b32_e32 v24, 20, v18
	s_or_saveexec_b64 s[12:13], s[12:13]
                                        ; implicit-def: $sgpr9
	s_xor_b64 exec, exec, s[12:13]
	s_cbranch_execz .LBB42_80
.LBB42_134:
	s_mov_b32 s9, 0x46000000
	v_add_f32_e64 v18, |v20|, s9
	v_and_b32_e32 v24, 0xff, v18
	v_cmp_ne_u32_e32 vcc, 0, v24
	s_andn2_b64 s[10:11], s[10:11], exec
	s_and_b64 s[14:15], vcc, exec
	s_mov_b32 s9, 0
	s_or_b64 s[10:11], s[10:11], s[14:15]
	s_or_b64 exec, exec, s[12:13]
	v_mov_b32_e32 v18, s9
	s_and_saveexec_b64 s[12:13], s[10:11]
	s_cbranch_execnz .LBB42_81
	s_branch .LBB42_82
.LBB42_135:
	v_bfe_u32 v2, v20, 20, 1
	s_mov_b32 s14, 0x487ffff
	v_add3_u32 v2, v20, v2, s14
	s_mov_b64 s[10:11], exec
	v_bfe_u32 v24, v2, 20, 8
	s_or_saveexec_b64 s[12:13], s[12:13]
                                        ; implicit-def: $sgpr14
	s_xor_b64 exec, exec, s[12:13]
	s_cbranch_execz .LBB42_86
.LBB42_136:
	s_mov_b32 s14, 0x46000000
	v_add_f32_e64 v2, |v20|, s14
	v_and_b32_e32 v24, 0xff, v2
	v_cmp_ne_u32_e32 vcc, 0, v24
	s_andn2_b64 s[10:11], s[10:11], exec
	s_and_b64 s[16:17], vcc, exec
	s_mov_b32 s14, 0
	s_or_b64 s[10:11], s[10:11], s[16:17]
	s_or_b64 exec, exec, s[12:13]
	v_mov_b32_e32 v2, s14
	s_and_saveexec_b64 s[12:13], s[10:11]
	s_cbranch_execnz .LBB42_87
	s_branch .LBB42_88
.LBB42_137:
	v_bfe_u32 v17, v20, 20, 1
	s_mov_b32 s9, 0x487ffff
	v_add3_u32 v17, v20, v17, s9
	s_mov_b64 s[10:11], exec
	v_bfe_u32 v24, v17, 20, 8
	s_or_saveexec_b64 s[12:13], s[12:13]
                                        ; implicit-def: $sgpr9
	s_xor_b64 exec, exec, s[12:13]
	s_cbranch_execz .LBB42_92
.LBB42_138:
	s_mov_b32 s9, 0x46000000
	v_add_f32_e64 v17, |v20|, s9
	v_and_b32_e32 v24, 0xff, v17
	v_cmp_ne_u32_e32 vcc, 0, v24
	s_andn2_b64 s[10:11], s[10:11], exec
	s_and_b64 s[14:15], vcc, exec
	s_mov_b32 s9, 0
	s_or_b64 s[10:11], s[10:11], s[14:15]
	s_or_b64 exec, exec, s[12:13]
	v_mov_b32_e32 v17, s9
	s_and_saveexec_b64 s[12:13], s[10:11]
	s_cbranch_execnz .LBB42_93
	s_branch .LBB42_94
.LBB42_139:
	v_bfe_u32 v3, v20, 20, 1
	s_mov_b32 s14, 0x487ffff
	v_add3_u32 v3, v20, v3, s14
	s_mov_b64 s[10:11], exec
	v_bfe_u32 v24, v3, 20, 8
	s_or_saveexec_b64 s[12:13], s[12:13]
                                        ; implicit-def: $sgpr14
	s_xor_b64 exec, exec, s[12:13]
	s_cbranch_execz .LBB42_98
.LBB42_140:
	s_mov_b32 s14, 0x46000000
	v_add_f32_e64 v3, |v20|, s14
	v_and_b32_e32 v24, 0xff, v3
	v_cmp_ne_u32_e32 vcc, 0, v24
	s_andn2_b64 s[10:11], s[10:11], exec
	s_and_b64 s[16:17], vcc, exec
	s_mov_b32 s14, 0
	s_or_b64 s[10:11], s[10:11], s[16:17]
	s_or_b64 exec, exec, s[12:13]
	v_mov_b32_e32 v3, s14
	s_and_saveexec_b64 s[12:13], s[10:11]
	s_cbranch_execnz .LBB42_99
	s_branch .LBB42_100
.LBB42_141:
	v_bfe_u32 v10, v9, 20, 1
	s_mov_b32 s9, 0x487ffff
	v_add3_u32 v10, v9, v10, s9
	s_mov_b64 s[10:11], exec
	v_bfe_u32 v10, v10, 20, 8
	s_or_saveexec_b64 s[12:13], s[12:13]
                                        ; implicit-def: $sgpr9
	s_xor_b64 exec, exec, s[12:13]
	s_cbranch_execz .LBB42_104
.LBB42_142:
	s_mov_b32 s9, 0x46000000
	v_add_f32_e64 v10, |v9|, s9
	v_and_b32_e32 v10, 0xff, v10
	v_cmp_ne_u32_e32 vcc, 0, v10
	s_andn2_b64 s[10:11], s[10:11], exec
	s_and_b64 s[14:15], vcc, exec
	s_mov_b32 s9, 0
	s_or_b64 s[10:11], s[10:11], s[14:15]
	s_or_b64 exec, exec, s[12:13]
	v_mov_b32_e32 v11, s9
	s_and_saveexec_b64 s[12:13], s[10:11]
	s_cbranch_execnz .LBB42_105
	s_branch .LBB42_106
	.section	.rodata,"a",@progbits
	.p2align	6, 0x0
	.amdhsa_kernel _Z49per_token_group_quant_8bit_packed_register_kernelIN3c104HalfENS0_15Float8_e4m3fnuzELi128ELi16ELi1EEvPKT_PvPjiiiiilfff
		.amdhsa_group_segment_fixed_size 0
		.amdhsa_private_segment_fixed_size 0
		.amdhsa_kernarg_size 68
		.amdhsa_user_sgpr_count 6
		.amdhsa_user_sgpr_private_segment_buffer 1
		.amdhsa_user_sgpr_dispatch_ptr 0
		.amdhsa_user_sgpr_queue_ptr 0
		.amdhsa_user_sgpr_kernarg_segment_ptr 1
		.amdhsa_user_sgpr_dispatch_id 0
		.amdhsa_user_sgpr_flat_scratch_init 0
		.amdhsa_user_sgpr_kernarg_preload_length 0
		.amdhsa_user_sgpr_kernarg_preload_offset 0
		.amdhsa_user_sgpr_private_segment_size 0
		.amdhsa_uses_dynamic_stack 0
		.amdhsa_system_sgpr_private_segment_wavefront_offset 0
		.amdhsa_system_sgpr_workgroup_id_x 1
		.amdhsa_system_sgpr_workgroup_id_y 1
		.amdhsa_system_sgpr_workgroup_id_z 0
		.amdhsa_system_sgpr_workgroup_info 0
		.amdhsa_system_vgpr_workitem_id 0
		.amdhsa_next_free_vgpr 36
		.amdhsa_next_free_sgpr 24
		.amdhsa_accum_offset 36
		.amdhsa_reserve_vcc 1
		.amdhsa_reserve_flat_scratch 0
		.amdhsa_float_round_mode_32 0
		.amdhsa_float_round_mode_16_64 0
		.amdhsa_float_denorm_mode_32 3
		.amdhsa_float_denorm_mode_16_64 3
		.amdhsa_dx10_clamp 1
		.amdhsa_ieee_mode 1
		.amdhsa_fp16_overflow 0
		.amdhsa_tg_split 0
		.amdhsa_exception_fp_ieee_invalid_op 0
		.amdhsa_exception_fp_denorm_src 0
		.amdhsa_exception_fp_ieee_div_zero 0
		.amdhsa_exception_fp_ieee_overflow 0
		.amdhsa_exception_fp_ieee_underflow 0
		.amdhsa_exception_fp_ieee_inexact 0
		.amdhsa_exception_int_div_zero 0
	.end_amdhsa_kernel
	.section	.text._Z49per_token_group_quant_8bit_packed_register_kernelIN3c104HalfENS0_15Float8_e4m3fnuzELi128ELi16ELi1EEvPKT_PvPjiiiiilfff,"axG",@progbits,_Z49per_token_group_quant_8bit_packed_register_kernelIN3c104HalfENS0_15Float8_e4m3fnuzELi128ELi16ELi1EEvPKT_PvPjiiiiilfff,comdat
.Lfunc_end42:
	.size	_Z49per_token_group_quant_8bit_packed_register_kernelIN3c104HalfENS0_15Float8_e4m3fnuzELi128ELi16ELi1EEvPKT_PvPjiiiiilfff, .Lfunc_end42-_Z49per_token_group_quant_8bit_packed_register_kernelIN3c104HalfENS0_15Float8_e4m3fnuzELi128ELi16ELi1EEvPKT_PvPjiiiiilfff
                                        ; -- End function
	.section	.AMDGPU.csdata,"",@progbits
; Kernel info:
; codeLenInByte = 4988
; NumSgprs: 28
; NumVgprs: 36
; NumAgprs: 0
; TotalNumVgprs: 36
; ScratchSize: 0
; MemoryBound: 0
; FloatMode: 240
; IeeeMode: 1
; LDSByteSize: 0 bytes/workgroup (compile time only)
; SGPRBlocks: 3
; VGPRBlocks: 4
; NumSGPRsForWavesPerEU: 28
; NumVGPRsForWavesPerEU: 36
; AccumOffset: 36
; Occupancy: 8
; WaveLimiterHint : 0
; COMPUTE_PGM_RSRC2:SCRATCH_EN: 0
; COMPUTE_PGM_RSRC2:USER_SGPR: 6
; COMPUTE_PGM_RSRC2:TRAP_HANDLER: 0
; COMPUTE_PGM_RSRC2:TGID_X_EN: 1
; COMPUTE_PGM_RSRC2:TGID_Y_EN: 1
; COMPUTE_PGM_RSRC2:TGID_Z_EN: 0
; COMPUTE_PGM_RSRC2:TIDIG_COMP_CNT: 0
; COMPUTE_PGM_RSRC3_GFX90A:ACCUM_OFFSET: 8
; COMPUTE_PGM_RSRC3_GFX90A:TG_SPLIT: 0
	.section	.text._Z49per_token_group_quant_8bit_packed_register_kernelIN3c104HalfENS0_15Float8_e4m3fnuzELi128ELi8ELi2EEvPKT_PvPjiiiiilfff,"axG",@progbits,_Z49per_token_group_quant_8bit_packed_register_kernelIN3c104HalfENS0_15Float8_e4m3fnuzELi128ELi8ELi2EEvPKT_PvPjiiiiilfff,comdat
	.protected	_Z49per_token_group_quant_8bit_packed_register_kernelIN3c104HalfENS0_15Float8_e4m3fnuzELi128ELi8ELi2EEvPKT_PvPjiiiiilfff ; -- Begin function _Z49per_token_group_quant_8bit_packed_register_kernelIN3c104HalfENS0_15Float8_e4m3fnuzELi128ELi8ELi2EEvPKT_PvPjiiiiilfff
	.globl	_Z49per_token_group_quant_8bit_packed_register_kernelIN3c104HalfENS0_15Float8_e4m3fnuzELi128ELi8ELi2EEvPKT_PvPjiiiiilfff
	.p2align	8
	.type	_Z49per_token_group_quant_8bit_packed_register_kernelIN3c104HalfENS0_15Float8_e4m3fnuzELi128ELi8ELi2EEvPKT_PvPjiiiiilfff,@function
_Z49per_token_group_quant_8bit_packed_register_kernelIN3c104HalfENS0_15Float8_e4m3fnuzELi128ELi8ELi2EEvPKT_PvPjiiiiilfff: ; @_Z49per_token_group_quant_8bit_packed_register_kernelIN3c104HalfENS0_15Float8_e4m3fnuzELi128ELi8ELi2EEvPKT_PvPjiiiiilfff
; %bb.0:
	s_load_dwordx4 s[8:11], s[4:5], 0x1c
	v_lshrrev_b32_e32 v1, 6, v0
	v_lshl_add_u32 v12, s7, 1, v1
	s_waitcnt lgkmcnt(0)
	v_cmp_gt_i32_e32 vcc, s11, v12
	s_and_saveexec_b64 s[0:1], vcc
	s_cbranch_execz .LBB43_110
; %bb.1:
	s_load_dwordx4 s[12:15], s[4:5], 0x38
	v_lshrrev_b32_e32 v1, 3, v0
	s_lshl_b32 s0, s6, 3
	v_and_or_b32 v10, v1, 7, s0
	v_cmp_gt_i32_e64 s[2:3], s9, v12
	v_cmp_gt_i32_e64 s[0:1], s8, v10
	v_and_b32_e32 v13, 7, v0
	s_and_b64 s[6:7], s[2:3], s[0:1]
	s_waitcnt lgkmcnt(0)
	v_mov_b32_e32 v8, s12
	v_ashrrev_i32_e32 v16, 31, v12
	v_lshlrev_b32_e32 v14, 7, v10
                                        ; implicit-def: $vgpr15
                                        ; implicit-def: $vgpr3
                                        ; implicit-def: $vgpr17
                                        ; implicit-def: $vgpr18
                                        ; implicit-def: $vgpr20
                                        ; implicit-def: $vgpr22
                                        ; implicit-def: $vgpr7
                                        ; implicit-def: $vgpr23
                                        ; implicit-def: $vgpr21
                                        ; implicit-def: $vgpr19
	s_and_saveexec_b64 s[16:17], s[6:7]
	s_cbranch_execz .LBB43_3
; %bb.2:
	s_load_dwordx2 s[18:19], s[4:5], 0x0
	v_alignbit_b32 v0, v16, v12, 24
	s_ashr_i32 s9, s8, 31
	v_lshlrev_b32_e32 v2, 8, v12
	v_mul_lo_u32 v4, v0, s8
	s_waitcnt lgkmcnt(0)
	v_pk_mov_b32 v[0:1], s[18:19], s[18:19] op_sel:[0,1]
	v_mul_lo_u32 v3, v2, s9
	v_mad_u64_u32 v[0:1], s[18:19], v2, s8, v[0:1]
	v_ashrrev_i32_e32 v15, 31, v14
	v_add3_u32 v1, v4, v1, v3
	v_lshlrev_b64 v[2:3], 1, v[14:15]
	v_add_co_u32_e32 v0, vcc, v0, v2
	v_addc_co_u32_e32 v1, vcc, v1, v3, vcc
	v_lshlrev_b32_e32 v2, 5, v13
	v_add_co_u32_e32 v8, vcc, v0, v2
	v_addc_co_u32_e32 v9, vcc, 0, v1, vcc
	global_load_dwordx4 v[4:7], v[8:9], off
	global_load_dwordx4 v[0:3], v[8:9], off offset:16
	s_waitcnt vmcnt(1)
	v_lshrrev_b32_e32 v19, 16, v4
	v_lshrrev_b32_e32 v21, 16, v5
	v_cvt_f32_f16_e64 v8, |v4|
	v_cvt_f32_f16_e64 v29, |v19|
	v_lshrrev_b32_e32 v23, 16, v6
	v_cvt_f32_f16_e64 v9, |v5|
	v_cvt_f32_f16_e64 v30, |v21|
	;; [unrolled: 3-line block ×3, first 2 shown]
	s_waitcnt vmcnt(0)
	v_lshrrev_b32_e32 v20, 16, v0
	v_cvt_f32_f16_e64 v24, |v7|
	v_cvt_f32_f16_e64 v32, |v22|
	v_lshrrev_b32_e32 v18, 16, v1
	v_cvt_f32_f16_e64 v25, |v0|
	v_cvt_f32_f16_e64 v33, |v20|
	v_max3_f32 v8, s12, v8, v29
	v_lshrrev_b32_e32 v17, 16, v2
	v_cvt_f32_f16_e64 v26, |v1|
	v_cvt_f32_f16_e64 v34, |v18|
	v_max3_f32 v8, v8, v9, v30
	;; [unrolled: 4-line block ×3, first 2 shown]
	v_cvt_f32_f16_e64 v28, |v3|
	v_max3_f32 v8, v8, v24, v32
	v_cvt_f32_f16_e64 v9, |v15|
	v_max3_f32 v8, v8, v25, v33
	v_max3_f32 v8, v8, v26, v34
	;; [unrolled: 1-line block ×4, first 2 shown]
.LBB43_3:
	s_or_b64 exec, exec, s[16:17]
	v_mbcnt_lo_u32_b32 v9, -1, 0
	v_mbcnt_hi_u32_b32 v9, -1, v9
	v_and_b32_e32 v24, 0x78, v9
	v_xor_b32_e32 v11, 4, v9
	v_add_u32_e32 v24, 8, v24
	v_cmp_lt_i32_e32 vcc, v11, v24
	v_cndmask_b32_e32 v11, v9, v11, vcc
	v_lshlrev_b32_e32 v11, 2, v11
	ds_bpermute_b32 v11, v11, v8
	v_xor_b32_e32 v25, 2, v9
	v_max_f32_e32 v8, v8, v8
	v_cmp_lt_i32_e32 vcc, v25, v24
	s_waitcnt lgkmcnt(0)
	v_max_f32_e32 v11, v11, v11
	v_max_f32_e32 v8, v8, v11
	v_cndmask_b32_e32 v11, v9, v25, vcc
	v_lshlrev_b32_e32 v11, 2, v11
	ds_bpermute_b32 v11, v11, v8
	v_xor_b32_e32 v25, 1, v9
	v_cmp_lt_i32_e32 vcc, v25, v24
	v_cndmask_b32_e32 v9, v9, v25, vcc
	v_lshlrev_b32_e32 v9, 2, v9
	s_waitcnt lgkmcnt(0)
	v_max_f32_e32 v11, v11, v11
	v_max_f32_e32 v8, v8, v11
	ds_bpermute_b32 v9, v9, v8
	s_waitcnt lgkmcnt(0)
	v_max_f32_e32 v9, v9, v9
	v_max_f32_e32 v8, v8, v9
	v_div_scale_f32 v9, s[16:17], s14, s14, v8
	v_rcp_f32_e32 v11, v9
	v_div_scale_f32 v24, vcc, v8, s14, v8
	s_xor_b64 s[16:17], s[6:7], -1
	v_fma_f32 v25, -v9, v11, 1.0
	v_fmac_f32_e32 v11, v25, v11
	v_mul_f32_e32 v25, v24, v11
	v_fma_f32 v26, -v9, v25, v24
	v_fmac_f32_e32 v25, v26, v11
	v_fma_f32 v9, -v9, v25, v24
	v_div_fmas_f32 v9, v9, v11, v25
	v_div_fixup_f32 v8, v9, s14, v8
	v_max_f32_e32 v8, 0x2edbe6ff, v8
	v_lshrrev_b32_e32 v9, 23, v8
	v_and_b32_e32 v8, 0x7fffff, v8
	v_cmp_ne_u32_e32 vcc, 0, v8
	v_addc_co_u32_e32 v24, vcc, 0, v9, vcc
	v_cmp_eq_u32_e32 vcc, 0, v13
	s_and_saveexec_b64 s[18:19], vcc
	s_cbranch_execz .LBB43_8
; %bb.4:
	v_ashrrev_i32_e32 v8, 31, v10
	v_lshrrev_b32_e32 v8, 30, v8
	v_add_u32_e32 v8, v10, v8
	v_ashrrev_i32_e32 v11, 2, v8
	v_mad_u64_u32 v[8:9], s[20:21], v11, s11, v[12:13]
	v_mov_b32_e32 v25, v24
	s_and_saveexec_b64 s[20:21], s[16:17]
	s_cbranch_execz .LBB43_6
; %bb.5:
	s_load_dwordx2 s[22:23], s[4:5], 0x30
	v_ashrrev_i32_e32 v9, 31, v8
	s_andn2_b64 s[6:7], s[6:7], exec
	v_mov_b32_e32 v25, 0
	s_waitcnt lgkmcnt(0)
	v_cmp_gt_i64_e32 vcc, s[22:23], v[8:9]
	s_and_b64 s[22:23], vcc, exec
	s_or_b64 s[6:7], s[6:7], s[22:23]
.LBB43_6:
	s_or_b64 exec, exec, s[20:21]
	s_and_b64 exec, exec, s[6:7]
	s_cbranch_execz .LBB43_8
; %bb.7:
	s_load_dwordx2 s[6:7], s[4:5], 0x10
	v_lshlrev_b32_e32 v9, 2, v11
	v_sub_u32_e32 v9, v10, v9
	v_lshl_add_u32 v8, v8, 2, v9
	v_ashrrev_i32_e32 v9, 31, v8
	s_waitcnt lgkmcnt(0)
	v_mov_b32_e32 v10, s7
	v_add_co_u32_e32 v8, vcc, s6, v8
	v_addc_co_u32_e32 v9, vcc, v10, v9, vcc
	global_store_byte v[8:9], v25, off
.LBB43_8:
	s_or_b64 exec, exec, s[18:19]
	s_mov_b64 s[6:7], 0
                                        ; implicit-def: $sgpr9
	s_and_saveexec_b64 s[18:19], s[16:17]
	s_xor_b64 s[16:17], exec, s[18:19]
; %bb.9:
	s_xor_b64 s[2:3], s[2:3], -1
	v_cmp_gt_i32_e32 vcc, s10, v12
	s_and_b64 s[2:3], vcc, s[2:3]
	s_and_b64 s[0:1], s[0:1], s[2:3]
	s_mov_b32 s9, 0
	s_and_b64 s[6:7], s[0:1], exec
                                        ; implicit-def: $vgpr15
                                        ; implicit-def: $vgpr3
                                        ; implicit-def: $vgpr17
                                        ; implicit-def: $vgpr18
                                        ; implicit-def: $vgpr20
                                        ; implicit-def: $vgpr22
                                        ; implicit-def: $vgpr7
                                        ; implicit-def: $vgpr23
                                        ; implicit-def: $vgpr21
                                        ; implicit-def: $vgpr19
                                        ; implicit-def: $vgpr24
; %bb.10:
	s_or_saveexec_b64 s[0:1], s[16:17]
	v_mov_b32_e32 v11, s9
	v_mov_b32_e32 v10, s9
	;; [unrolled: 1-line block ×4, first 2 shown]
	s_xor_b64 exec, exec, s[0:1]
	s_cbranch_execz .LBB43_108
; %bb.11:
	v_lshlrev_b32_e32 v8, 23, v24
	v_and_b32_e32 v8, 0x7f800000, v8
	v_div_scale_f32 v9, s[2:3], v8, v8, 1.0
	v_rcp_f32_e32 v10, v9
	v_div_scale_f32 v11, vcc, 1.0, v8, 1.0
	v_cvt_f32_f16_e32 v4, v4
	v_fma_f32 v24, -v9, v10, 1.0
	v_fmac_f32_e32 v10, v24, v10
	v_mul_f32_e32 v24, v11, v10
	v_fma_f32 v25, -v9, v24, v11
	v_fmac_f32_e32 v24, v25, v10
	v_fma_f32 v9, -v9, v24, v11
	v_div_fmas_f32 v9, v9, v10, v24
	v_div_fixup_f32 v9, v9, v8, 1.0
	v_mul_f32_e32 v4, v9, v4
	v_max_f32_e64 v10, s13, s13
	v_max_f32_e32 v4, v4, v10
	v_max_f32_e64 v11, s14, s14
	v_min_f32_e32 v24, v4, v11
	v_and_b32_e32 v25, 0x7fffffff, v24
	s_mov_b32 s9, 0x43800000
	v_cmp_gt_u32_e32 vcc, s9, v25
	v_mov_b32_e32 v4, 0x80
	v_mov_b32_e32 v8, 0x80
	s_and_saveexec_b64 s[2:3], vcc
	s_cbranch_execz .LBB43_17
; %bb.12:
	s_mov_b32 s10, 0x3bffffff
	v_cmp_lt_u32_e32 vcc, s10, v25
	s_mov_b64 s[10:11], 0
                                        ; implicit-def: $vgpr25
	s_and_saveexec_b64 s[12:13], vcc
	s_xor_b64 s[12:13], exec, s[12:13]
	s_cbranch_execnz .LBB43_111
; %bb.13:
	s_or_saveexec_b64 s[12:13], s[12:13]
                                        ; implicit-def: $sgpr14
	s_xor_b64 exec, exec, s[12:13]
	s_cbranch_execnz .LBB43_112
.LBB43_14:
	s_or_b64 exec, exec, s[12:13]
	v_mov_b32_e32 v8, s14
	s_and_saveexec_b64 s[12:13], s[10:11]
.LBB43_15:
	v_lshrrev_b32_e32 v8, 24, v24
	s_movk_i32 s10, 0x80
	v_and_or_b32 v8, v8, s10, v25
.LBB43_16:
	s_or_b64 exec, exec, s[12:13]
.LBB43_17:
	s_or_b64 exec, exec, s[2:3]
	v_cvt_f32_f16_e32 v19, v19
	v_mul_f32_e32 v19, v9, v19
	v_max_f32_e32 v19, v19, v10
	v_min_f32_e32 v19, v19, v11
	v_and_b32_e32 v24, 0x7fffffff, v19
	v_cmp_gt_u32_e32 vcc, s9, v24
	s_and_saveexec_b64 s[2:3], vcc
	s_cbranch_execz .LBB43_23
; %bb.18:
	s_mov_b32 s9, 0x3bffffff
	v_cmp_lt_u32_e32 vcc, s9, v24
	s_mov_b64 s[10:11], 0
                                        ; implicit-def: $vgpr24
	s_and_saveexec_b64 s[12:13], vcc
	s_xor_b64 s[12:13], exec, s[12:13]
	s_cbranch_execnz .LBB43_113
; %bb.19:
	s_or_saveexec_b64 s[12:13], s[12:13]
                                        ; implicit-def: $sgpr9
	s_xor_b64 exec, exec, s[12:13]
	s_cbranch_execnz .LBB43_114
.LBB43_20:
	s_or_b64 exec, exec, s[12:13]
	v_mov_b32_e32 v4, s9
	s_and_saveexec_b64 s[12:13], s[10:11]
.LBB43_21:
	v_lshrrev_b32_e32 v4, 24, v19
	s_movk_i32 s9, 0x80
	v_and_or_b32 v4, v4, s9, v24
.LBB43_22:
	s_or_b64 exec, exec, s[12:13]
.LBB43_23:
	s_or_b64 exec, exec, s[2:3]
	v_cvt_f32_f16_e32 v19, v5
	s_mov_b32 s9, 0x43800000
	v_mov_b32_e32 v5, 0x80
	v_mul_f32_e32 v19, v9, v19
	v_max_f32_e32 v19, v19, v10
	v_min_f32_e32 v24, v19, v11
	v_and_b32_e32 v25, 0x7fffffff, v24
	v_cmp_gt_u32_e32 vcc, s9, v25
	v_mov_b32_e32 v19, 0x80
	s_and_saveexec_b64 s[2:3], vcc
	s_cbranch_execz .LBB43_29
; %bb.24:
	s_mov_b32 s10, 0x3bffffff
	v_cmp_lt_u32_e32 vcc, s10, v25
	s_mov_b64 s[10:11], 0
                                        ; implicit-def: $vgpr25
	s_and_saveexec_b64 s[12:13], vcc
	s_xor_b64 s[12:13], exec, s[12:13]
	s_cbranch_execnz .LBB43_115
; %bb.25:
	s_or_saveexec_b64 s[12:13], s[12:13]
                                        ; implicit-def: $sgpr14
	s_xor_b64 exec, exec, s[12:13]
	s_cbranch_execnz .LBB43_116
.LBB43_26:
	s_or_b64 exec, exec, s[12:13]
	v_mov_b32_e32 v19, s14
	s_and_saveexec_b64 s[12:13], s[10:11]
.LBB43_27:
	v_lshrrev_b32_e32 v19, 24, v24
	s_movk_i32 s10, 0x80
	v_and_or_b32 v19, v19, s10, v25
.LBB43_28:
	s_or_b64 exec, exec, s[12:13]
.LBB43_29:
	s_or_b64 exec, exec, s[2:3]
	v_cvt_f32_f16_e32 v21, v21
	v_mul_f32_e32 v21, v9, v21
	v_max_f32_e32 v21, v21, v10
	v_min_f32_e32 v21, v21, v11
	v_and_b32_e32 v24, 0x7fffffff, v21
	v_cmp_gt_u32_e32 vcc, s9, v24
	s_and_saveexec_b64 s[2:3], vcc
	s_cbranch_execz .LBB43_35
; %bb.30:
	s_mov_b32 s9, 0x3bffffff
	v_cmp_lt_u32_e32 vcc, s9, v24
	s_mov_b64 s[10:11], 0
                                        ; implicit-def: $vgpr24
	s_and_saveexec_b64 s[12:13], vcc
	s_xor_b64 s[12:13], exec, s[12:13]
	s_cbranch_execnz .LBB43_117
; %bb.31:
	s_or_saveexec_b64 s[12:13], s[12:13]
                                        ; implicit-def: $sgpr9
	s_xor_b64 exec, exec, s[12:13]
	s_cbranch_execnz .LBB43_118
.LBB43_32:
	s_or_b64 exec, exec, s[12:13]
	v_mov_b32_e32 v5, s9
	s_and_saveexec_b64 s[12:13], s[10:11]
.LBB43_33:
	v_lshrrev_b32_e32 v5, 24, v21
	s_movk_i32 s9, 0x80
	v_and_or_b32 v5, v5, s9, v24
.LBB43_34:
	s_or_b64 exec, exec, s[12:13]
.LBB43_35:
	s_or_b64 exec, exec, s[2:3]
	v_cvt_f32_f16_e32 v21, v6
	s_mov_b32 s9, 0x43800000
	v_mov_b32_e32 v6, 0x80
	v_mul_f32_e32 v21, v9, v21
	v_max_f32_e32 v21, v21, v10
	v_min_f32_e32 v24, v21, v11
	v_and_b32_e32 v25, 0x7fffffff, v24
	v_cmp_gt_u32_e32 vcc, s9, v25
	v_mov_b32_e32 v21, 0x80
	s_and_saveexec_b64 s[2:3], vcc
	s_cbranch_execz .LBB43_41
; %bb.36:
	s_mov_b32 s10, 0x3bffffff
	v_cmp_lt_u32_e32 vcc, s10, v25
	s_mov_b64 s[10:11], 0
                                        ; implicit-def: $vgpr25
	s_and_saveexec_b64 s[12:13], vcc
	s_xor_b64 s[12:13], exec, s[12:13]
	s_cbranch_execnz .LBB43_119
; %bb.37:
	s_or_saveexec_b64 s[12:13], s[12:13]
                                        ; implicit-def: $sgpr14
	s_xor_b64 exec, exec, s[12:13]
	s_cbranch_execnz .LBB43_120
.LBB43_38:
	s_or_b64 exec, exec, s[12:13]
	v_mov_b32_e32 v21, s14
	s_and_saveexec_b64 s[12:13], s[10:11]
.LBB43_39:
	v_lshrrev_b32_e32 v21, 24, v24
	s_movk_i32 s10, 0x80
	v_and_or_b32 v21, v21, s10, v25
.LBB43_40:
	s_or_b64 exec, exec, s[12:13]
.LBB43_41:
	s_or_b64 exec, exec, s[2:3]
	v_cvt_f32_f16_e32 v23, v23
	v_mul_f32_e32 v23, v9, v23
	v_max_f32_e32 v23, v23, v10
	v_min_f32_e32 v23, v23, v11
	v_and_b32_e32 v24, 0x7fffffff, v23
	v_cmp_gt_u32_e32 vcc, s9, v24
	s_and_saveexec_b64 s[2:3], vcc
	s_cbranch_execz .LBB43_47
; %bb.42:
	s_mov_b32 s9, 0x3bffffff
	v_cmp_lt_u32_e32 vcc, s9, v24
	s_mov_b64 s[10:11], 0
                                        ; implicit-def: $vgpr24
	s_and_saveexec_b64 s[12:13], vcc
	s_xor_b64 s[12:13], exec, s[12:13]
	s_cbranch_execnz .LBB43_121
; %bb.43:
	s_or_saveexec_b64 s[12:13], s[12:13]
                                        ; implicit-def: $sgpr9
	s_xor_b64 exec, exec, s[12:13]
	s_cbranch_execnz .LBB43_122
.LBB43_44:
	s_or_b64 exec, exec, s[12:13]
	v_mov_b32_e32 v6, s9
	s_and_saveexec_b64 s[12:13], s[10:11]
.LBB43_45:
	v_lshrrev_b32_e32 v6, 24, v23
	s_movk_i32 s9, 0x80
	v_and_or_b32 v6, v6, s9, v24
.LBB43_46:
	s_or_b64 exec, exec, s[12:13]
.LBB43_47:
	s_or_b64 exec, exec, s[2:3]
	v_cvt_f32_f16_e32 v23, v7
	s_mov_b32 s9, 0x43800000
	v_mov_b32_e32 v7, 0x80
	v_mul_f32_e32 v23, v9, v23
	v_max_f32_e32 v23, v23, v10
	v_min_f32_e32 v24, v23, v11
	v_and_b32_e32 v25, 0x7fffffff, v24
	v_cmp_gt_u32_e32 vcc, s9, v25
	v_mov_b32_e32 v23, 0x80
	s_and_saveexec_b64 s[2:3], vcc
	s_cbranch_execz .LBB43_53
; %bb.48:
	s_mov_b32 s10, 0x3bffffff
	v_cmp_lt_u32_e32 vcc, s10, v25
	s_mov_b64 s[10:11], 0
                                        ; implicit-def: $vgpr25
	s_and_saveexec_b64 s[12:13], vcc
	s_xor_b64 s[12:13], exec, s[12:13]
	s_cbranch_execnz .LBB43_123
; %bb.49:
	s_or_saveexec_b64 s[12:13], s[12:13]
                                        ; implicit-def: $sgpr14
	s_xor_b64 exec, exec, s[12:13]
	s_cbranch_execnz .LBB43_124
.LBB43_50:
	s_or_b64 exec, exec, s[12:13]
	v_mov_b32_e32 v23, s14
	s_and_saveexec_b64 s[12:13], s[10:11]
.LBB43_51:
	v_lshrrev_b32_e32 v23, 24, v24
	s_movk_i32 s10, 0x80
	v_and_or_b32 v23, v23, s10, v25
.LBB43_52:
	s_or_b64 exec, exec, s[12:13]
.LBB43_53:
	s_or_b64 exec, exec, s[2:3]
	v_cvt_f32_f16_e32 v22, v22
	v_mul_f32_e32 v22, v9, v22
	v_max_f32_e32 v22, v22, v10
	v_min_f32_e32 v22, v22, v11
	v_and_b32_e32 v24, 0x7fffffff, v22
	v_cmp_gt_u32_e32 vcc, s9, v24
	s_and_saveexec_b64 s[2:3], vcc
	s_cbranch_execz .LBB43_59
; %bb.54:
	s_mov_b32 s9, 0x3bffffff
	v_cmp_lt_u32_e32 vcc, s9, v24
	s_mov_b64 s[10:11], 0
                                        ; implicit-def: $vgpr24
	s_and_saveexec_b64 s[12:13], vcc
	s_xor_b64 s[12:13], exec, s[12:13]
	s_cbranch_execnz .LBB43_125
; %bb.55:
	s_or_saveexec_b64 s[12:13], s[12:13]
                                        ; implicit-def: $sgpr9
	s_xor_b64 exec, exec, s[12:13]
	s_cbranch_execnz .LBB43_126
.LBB43_56:
	s_or_b64 exec, exec, s[12:13]
	v_mov_b32_e32 v7, s9
	s_and_saveexec_b64 s[12:13], s[10:11]
.LBB43_57:
	v_lshrrev_b32_e32 v7, 24, v22
	s_movk_i32 s9, 0x80
	v_and_or_b32 v7, v7, s9, v24
.LBB43_58:
	s_or_b64 exec, exec, s[12:13]
.LBB43_59:
	s_or_b64 exec, exec, s[2:3]
	v_cvt_f32_f16_e32 v22, v0
	s_mov_b32 s9, 0x43800000
	v_mov_b32_e32 v0, 0x80
	v_mul_f32_e32 v22, v9, v22
	v_max_f32_e32 v22, v22, v10
	v_min_f32_e32 v24, v22, v11
	v_and_b32_e32 v25, 0x7fffffff, v24
	v_cmp_gt_u32_e32 vcc, s9, v25
	v_mov_b32_e32 v22, 0x80
	s_and_saveexec_b64 s[2:3], vcc
	s_cbranch_execz .LBB43_65
; %bb.60:
	s_mov_b32 s10, 0x3bffffff
	v_cmp_lt_u32_e32 vcc, s10, v25
	s_mov_b64 s[10:11], 0
                                        ; implicit-def: $vgpr25
	s_and_saveexec_b64 s[12:13], vcc
	s_xor_b64 s[12:13], exec, s[12:13]
	s_cbranch_execnz .LBB43_127
; %bb.61:
	s_or_saveexec_b64 s[12:13], s[12:13]
                                        ; implicit-def: $sgpr14
	s_xor_b64 exec, exec, s[12:13]
	s_cbranch_execnz .LBB43_128
.LBB43_62:
	s_or_b64 exec, exec, s[12:13]
	v_mov_b32_e32 v22, s14
	s_and_saveexec_b64 s[12:13], s[10:11]
.LBB43_63:
	v_lshrrev_b32_e32 v22, 24, v24
	s_movk_i32 s10, 0x80
	v_and_or_b32 v22, v22, s10, v25
.LBB43_64:
	s_or_b64 exec, exec, s[12:13]
.LBB43_65:
	s_or_b64 exec, exec, s[2:3]
	v_cvt_f32_f16_e32 v20, v20
	v_mul_f32_e32 v20, v9, v20
	v_max_f32_e32 v20, v20, v10
	v_min_f32_e32 v20, v20, v11
	v_and_b32_e32 v24, 0x7fffffff, v20
	v_cmp_gt_u32_e32 vcc, s9, v24
	s_and_saveexec_b64 s[2:3], vcc
	s_cbranch_execz .LBB43_71
; %bb.66:
	s_mov_b32 s9, 0x3bffffff
	v_cmp_lt_u32_e32 vcc, s9, v24
	s_mov_b64 s[10:11], 0
                                        ; implicit-def: $vgpr24
	s_and_saveexec_b64 s[12:13], vcc
	s_xor_b64 s[12:13], exec, s[12:13]
	s_cbranch_execnz .LBB43_129
; %bb.67:
	s_or_saveexec_b64 s[12:13], s[12:13]
                                        ; implicit-def: $sgpr9
	s_xor_b64 exec, exec, s[12:13]
	s_cbranch_execnz .LBB43_130
.LBB43_68:
	s_or_b64 exec, exec, s[12:13]
	v_mov_b32_e32 v0, s9
	s_and_saveexec_b64 s[12:13], s[10:11]
.LBB43_69:
	v_lshrrev_b32_e32 v0, 24, v20
	s_movk_i32 s9, 0x80
	v_and_or_b32 v0, v0, s9, v24
.LBB43_70:
	s_or_b64 exec, exec, s[12:13]
.LBB43_71:
	s_or_b64 exec, exec, s[2:3]
	v_cvt_f32_f16_e32 v1, v1
	s_mov_b32 s9, 0x43800000
	v_mul_f32_e32 v1, v9, v1
	v_max_f32_e32 v1, v1, v10
	v_min_f32_e32 v20, v1, v11
	v_and_b32_e32 v24, 0x7fffffff, v20
	v_cmp_gt_u32_e32 vcc, s9, v24
	v_mov_b32_e32 v1, 0x800000
	s_and_saveexec_b64 s[2:3], vcc
	s_cbranch_execz .LBB43_77
; %bb.72:
	s_mov_b32 s10, 0x3bffffff
	v_cmp_lt_u32_e32 vcc, s10, v24
	s_mov_b64 s[10:11], 0
                                        ; implicit-def: $vgpr24
	s_and_saveexec_b64 s[12:13], vcc
	s_xor_b64 s[12:13], exec, s[12:13]
	s_cbranch_execnz .LBB43_131
; %bb.73:
	s_or_saveexec_b64 s[12:13], s[12:13]
                                        ; implicit-def: $sgpr14
	s_xor_b64 exec, exec, s[12:13]
	s_cbranch_execnz .LBB43_132
.LBB43_74:
	s_or_b64 exec, exec, s[12:13]
	v_mov_b32_e32 v1, s14
	s_and_saveexec_b64 s[12:13], s[10:11]
.LBB43_75:
	v_lshrrev_b32_e32 v1, 24, v20
	s_movk_i32 s10, 0x80
	v_and_or_b32 v1, v1, s10, v24
	v_lshlrev_b32_e32 v1, 16, v1
	v_and_b32_e32 v1, 0xff0000, v1
.LBB43_76:
	s_or_b64 exec, exec, s[12:13]
.LBB43_77:
	s_or_b64 exec, exec, s[2:3]
	v_cvt_f32_f16_e32 v18, v18
	v_mul_f32_e32 v18, v9, v18
	v_max_f32_e32 v18, v18, v10
	v_min_f32_e32 v20, v18, v11
	v_and_b32_e32 v24, 0x7fffffff, v20
	v_cmp_gt_u32_e32 vcc, s9, v24
	v_bfrev_b32_e32 v18, 1
	s_and_saveexec_b64 s[2:3], vcc
	s_cbranch_execz .LBB43_83
; %bb.78:
	s_mov_b32 s9, 0x3bffffff
	v_cmp_lt_u32_e32 vcc, s9, v24
	s_mov_b64 s[10:11], 0
                                        ; implicit-def: $vgpr24
	s_and_saveexec_b64 s[12:13], vcc
	s_xor_b64 s[12:13], exec, s[12:13]
	s_cbranch_execnz .LBB43_133
; %bb.79:
	s_or_saveexec_b64 s[12:13], s[12:13]
                                        ; implicit-def: $sgpr9
	s_xor_b64 exec, exec, s[12:13]
	s_cbranch_execnz .LBB43_134
.LBB43_80:
	s_or_b64 exec, exec, s[12:13]
	v_mov_b32_e32 v18, s9
	s_and_saveexec_b64 s[12:13], s[10:11]
.LBB43_81:
	v_lshlrev_b32_e32 v18, 24, v24
	s_brev_b32 s9, 1
	v_and_or_b32 v18, v20, s9, v18
.LBB43_82:
	s_or_b64 exec, exec, s[12:13]
.LBB43_83:
	s_or_b64 exec, exec, s[2:3]
	v_cvt_f32_f16_e32 v2, v2
	s_mov_b32 s9, 0x43800000
	v_mul_f32_e32 v2, v9, v2
	v_max_f32_e32 v2, v2, v10
	v_min_f32_e32 v20, v2, v11
	v_and_b32_e32 v24, 0x7fffffff, v20
	v_cmp_gt_u32_e32 vcc, s9, v24
	v_mov_b32_e32 v2, 0x80
	s_and_saveexec_b64 s[2:3], vcc
	s_cbranch_execz .LBB43_89
; %bb.84:
	s_mov_b32 s10, 0x3bffffff
	v_cmp_lt_u32_e32 vcc, s10, v24
	s_mov_b64 s[10:11], 0
                                        ; implicit-def: $vgpr24
	s_and_saveexec_b64 s[12:13], vcc
	s_xor_b64 s[12:13], exec, s[12:13]
	s_cbranch_execnz .LBB43_135
; %bb.85:
	s_or_saveexec_b64 s[12:13], s[12:13]
                                        ; implicit-def: $sgpr14
	s_xor_b64 exec, exec, s[12:13]
	s_cbranch_execnz .LBB43_136
.LBB43_86:
	s_or_b64 exec, exec, s[12:13]
	v_mov_b32_e32 v2, s14
	s_and_saveexec_b64 s[12:13], s[10:11]
.LBB43_87:
	v_lshrrev_b32_e32 v2, 24, v20
	s_movk_i32 s10, 0x80
	v_and_or_b32 v2, v2, s10, v24
.LBB43_88:
	s_or_b64 exec, exec, s[12:13]
.LBB43_89:
	s_or_b64 exec, exec, s[2:3]
	v_cvt_f32_f16_e32 v17, v17
	v_mul_f32_e32 v17, v9, v17
	v_max_f32_e32 v17, v17, v10
	v_min_f32_e32 v20, v17, v11
	v_and_b32_e32 v24, 0x7fffffff, v20
	v_cmp_gt_u32_e32 vcc, s9, v24
	v_mov_b32_e32 v17, 0x8000
	s_and_saveexec_b64 s[2:3], vcc
	s_cbranch_execz .LBB43_95
; %bb.90:
	s_mov_b32 s9, 0x3bffffff
	v_cmp_lt_u32_e32 vcc, s9, v24
	s_mov_b64 s[10:11], 0
                                        ; implicit-def: $vgpr24
	s_and_saveexec_b64 s[12:13], vcc
	s_xor_b64 s[12:13], exec, s[12:13]
	s_cbranch_execnz .LBB43_137
; %bb.91:
	s_or_saveexec_b64 s[12:13], s[12:13]
                                        ; implicit-def: $sgpr9
	s_xor_b64 exec, exec, s[12:13]
	s_cbranch_execnz .LBB43_138
.LBB43_92:
	s_or_b64 exec, exec, s[12:13]
	v_mov_b32_e32 v17, s9
	s_and_saveexec_b64 s[12:13], s[10:11]
.LBB43_93:
	v_lshrrev_b32_e32 v17, 24, v20
	s_movk_i32 s9, 0x80
	v_and_or_b32 v17, v17, s9, v24
	v_lshlrev_b32_e32 v17, 8, v17
.LBB43_94:
	s_or_b64 exec, exec, s[12:13]
.LBB43_95:
	s_or_b64 exec, exec, s[2:3]
	v_cvt_f32_f16_e32 v3, v3
	s_mov_b32 s9, 0x43800000
	v_mul_f32_e32 v3, v9, v3
	v_max_f32_e32 v3, v3, v10
	v_min_f32_e32 v20, v3, v11
	v_and_b32_e32 v24, 0x7fffffff, v20
	v_cmp_gt_u32_e32 vcc, s9, v24
	v_mov_b32_e32 v3, 0x800000
	s_and_saveexec_b64 s[2:3], vcc
	s_cbranch_execz .LBB43_101
; %bb.96:
	s_mov_b32 s10, 0x3bffffff
	v_cmp_lt_u32_e32 vcc, s10, v24
	s_mov_b64 s[10:11], 0
                                        ; implicit-def: $vgpr24
	s_and_saveexec_b64 s[12:13], vcc
	s_xor_b64 s[12:13], exec, s[12:13]
	s_cbranch_execnz .LBB43_139
; %bb.97:
	s_or_saveexec_b64 s[12:13], s[12:13]
                                        ; implicit-def: $sgpr14
	s_xor_b64 exec, exec, s[12:13]
	s_cbranch_execnz .LBB43_140
.LBB43_98:
	s_or_b64 exec, exec, s[12:13]
	v_mov_b32_e32 v3, s14
	s_and_saveexec_b64 s[12:13], s[10:11]
.LBB43_99:
	v_lshrrev_b32_e32 v3, 24, v20
	s_movk_i32 s10, 0x80
	v_and_or_b32 v3, v3, s10, v24
	v_lshlrev_b32_e32 v3, 16, v3
.LBB43_100:
	s_or_b64 exec, exec, s[12:13]
.LBB43_101:
	s_or_b64 exec, exec, s[2:3]
	v_cvt_f32_f16_e32 v15, v15
	v_mul_f32_e32 v9, v9, v15
	v_max_f32_e32 v9, v9, v10
	v_min_f32_e32 v9, v9, v11
	v_and_b32_e32 v10, 0x7fffffff, v9
	v_cmp_gt_u32_e32 vcc, s9, v10
	v_bfrev_b32_e32 v11, 1
	s_and_saveexec_b64 s[2:3], vcc
	s_cbranch_execz .LBB43_107
; %bb.102:
	s_mov_b32 s9, 0x3bffffff
	v_cmp_lt_u32_e32 vcc, s9, v10
	s_mov_b64 s[10:11], 0
                                        ; implicit-def: $vgpr10
	s_and_saveexec_b64 s[12:13], vcc
	s_xor_b64 s[12:13], exec, s[12:13]
	s_cbranch_execnz .LBB43_141
; %bb.103:
	s_or_saveexec_b64 s[12:13], s[12:13]
                                        ; implicit-def: $sgpr9
	s_xor_b64 exec, exec, s[12:13]
	s_cbranch_execnz .LBB43_142
.LBB43_104:
	s_or_b64 exec, exec, s[12:13]
	v_mov_b32_e32 v11, s9
	s_and_saveexec_b64 s[12:13], s[10:11]
.LBB43_105:
	v_lshlrev_b32_e32 v10, 24, v10
	s_brev_b32 s9, 1
	v_and_or_b32 v11, v9, s9, v10
.LBB43_106:
	s_or_b64 exec, exec, s[12:13]
.LBB43_107:
	s_or_b64 exec, exec, s[2:3]
	v_lshlrev_b32_e32 v0, 8, v0
	s_mov_b32 s2, 0xc0c0500
	v_perm_b32 v0, v0, v22, s2
	v_or3_b32 v10, v1, v0, v18
	v_lshlrev_b32_e32 v0, 8, v6
	v_perm_b32 v0, v0, v21, s2
	v_lshlrev_b32_e32 v1, 16, v23
	s_mov_b32 s3, 0xff0000
	v_and_or_b32 v0, v1, s3, v0
	v_lshl_or_b32 v9, v7, 24, v0
	v_lshlrev_b32_e32 v0, 8, v4
	v_perm_b32 v0, v0, v8, s2
	v_lshlrev_b32_e32 v1, 16, v19
	v_or_b32_e32 v2, v17, v2
	v_and_or_b32 v0, v1, s3, v0
	v_lshl_or_b32 v8, v5, 24, v0
	v_or3_b32 v11, v3, v2, v11
	s_or_b64 s[6:7], s[6:7], exec
.LBB43_108:
	s_or_b64 exec, exec, s[0:1]
	s_and_b64 exec, exec, s[6:7]
	s_cbranch_execz .LBB43_110
; %bb.109:
	s_load_dwordx2 s[0:1], s[4:5], 0x8
	v_alignbit_b32 v0, v16, v12, 25
	s_ashr_i32 s2, s8, 31
	v_lshlrev_b32_e32 v2, 7, v12
	v_mul_lo_u32 v4, v0, s8
	s_waitcnt lgkmcnt(0)
	v_pk_mov_b32 v[0:1], s[0:1], s[0:1] op_sel:[0,1]
	v_mul_lo_u32 v3, v2, s2
	v_mad_u64_u32 v[0:1], s[0:1], v2, s8, v[0:1]
	v_add3_u32 v1, v4, v1, v3
	v_ashrrev_i32_e32 v2, 31, v14
	v_add_co_u32_e32 v0, vcc, v0, v14
	v_addc_co_u32_e32 v1, vcc, v1, v2, vcc
	v_lshlrev_b32_e32 v2, 4, v13
	v_add_co_u32_e32 v0, vcc, v0, v2
	v_addc_co_u32_e32 v1, vcc, 0, v1, vcc
	global_store_dwordx4 v[0:1], v[8:11], off
.LBB43_110:
	s_endpgm
.LBB43_111:
	v_bfe_u32 v8, v24, 20, 1
	s_mov_b32 s14, 0x487ffff
	v_add3_u32 v8, v24, v8, s14
	s_mov_b64 s[10:11], exec
	v_lshrrev_b32_e32 v25, 20, v8
	s_or_saveexec_b64 s[12:13], s[12:13]
                                        ; implicit-def: $sgpr14
	s_xor_b64 exec, exec, s[12:13]
	s_cbranch_execz .LBB43_14
.LBB43_112:
	s_mov_b32 s14, 0x46000000
	v_add_f32_e64 v8, |v24|, s14
	v_and_b32_e32 v25, 0xff, v8
	v_cmp_ne_u32_e32 vcc, 0, v25
	s_andn2_b64 s[10:11], s[10:11], exec
	s_and_b64 s[16:17], vcc, exec
	s_mov_b32 s14, 0
	s_or_b64 s[10:11], s[10:11], s[16:17]
	s_or_b64 exec, exec, s[12:13]
	v_mov_b32_e32 v8, s14
	s_and_saveexec_b64 s[12:13], s[10:11]
	s_cbranch_execnz .LBB43_15
	s_branch .LBB43_16
.LBB43_113:
	v_bfe_u32 v4, v19, 20, 1
	s_mov_b32 s9, 0x487ffff
	v_add3_u32 v4, v19, v4, s9
	s_mov_b64 s[10:11], exec
	v_lshrrev_b32_e32 v24, 20, v4
	s_or_saveexec_b64 s[12:13], s[12:13]
                                        ; implicit-def: $sgpr9
	s_xor_b64 exec, exec, s[12:13]
	s_cbranch_execz .LBB43_20
.LBB43_114:
	s_mov_b32 s9, 0x46000000
	v_add_f32_e64 v4, |v19|, s9
	v_and_b32_e32 v24, 0xff, v4
	v_cmp_ne_u32_e32 vcc, 0, v24
	s_andn2_b64 s[10:11], s[10:11], exec
	s_and_b64 s[14:15], vcc, exec
	s_mov_b32 s9, 0
	s_or_b64 s[10:11], s[10:11], s[14:15]
	s_or_b64 exec, exec, s[12:13]
	v_mov_b32_e32 v4, s9
	s_and_saveexec_b64 s[12:13], s[10:11]
	s_cbranch_execnz .LBB43_21
	s_branch .LBB43_22
.LBB43_115:
	v_bfe_u32 v19, v24, 20, 1
	s_mov_b32 s14, 0x487ffff
	v_add3_u32 v19, v24, v19, s14
	s_mov_b64 s[10:11], exec
	v_lshrrev_b32_e32 v25, 20, v19
	s_or_saveexec_b64 s[12:13], s[12:13]
                                        ; implicit-def: $sgpr14
	s_xor_b64 exec, exec, s[12:13]
	s_cbranch_execz .LBB43_26
.LBB43_116:
	s_mov_b32 s14, 0x46000000
	v_add_f32_e64 v19, |v24|, s14
	v_and_b32_e32 v25, 0xff, v19
	v_cmp_ne_u32_e32 vcc, 0, v25
	s_andn2_b64 s[10:11], s[10:11], exec
	s_and_b64 s[16:17], vcc, exec
	s_mov_b32 s14, 0
	s_or_b64 s[10:11], s[10:11], s[16:17]
	s_or_b64 exec, exec, s[12:13]
	v_mov_b32_e32 v19, s14
	s_and_saveexec_b64 s[12:13], s[10:11]
	s_cbranch_execnz .LBB43_27
	s_branch .LBB43_28
.LBB43_117:
	v_bfe_u32 v5, v21, 20, 1
	s_mov_b32 s9, 0x487ffff
	v_add3_u32 v5, v21, v5, s9
	s_mov_b64 s[10:11], exec
	v_lshrrev_b32_e32 v24, 20, v5
	s_or_saveexec_b64 s[12:13], s[12:13]
                                        ; implicit-def: $sgpr9
	s_xor_b64 exec, exec, s[12:13]
	s_cbranch_execz .LBB43_32
.LBB43_118:
	s_mov_b32 s9, 0x46000000
	v_add_f32_e64 v5, |v21|, s9
	v_and_b32_e32 v24, 0xff, v5
	v_cmp_ne_u32_e32 vcc, 0, v24
	s_andn2_b64 s[10:11], s[10:11], exec
	s_and_b64 s[14:15], vcc, exec
	s_mov_b32 s9, 0
	s_or_b64 s[10:11], s[10:11], s[14:15]
	s_or_b64 exec, exec, s[12:13]
	v_mov_b32_e32 v5, s9
	s_and_saveexec_b64 s[12:13], s[10:11]
	s_cbranch_execnz .LBB43_33
	s_branch .LBB43_34
.LBB43_119:
	v_bfe_u32 v21, v24, 20, 1
	s_mov_b32 s14, 0x487ffff
	v_add3_u32 v21, v24, v21, s14
	s_mov_b64 s[10:11], exec
	v_lshrrev_b32_e32 v25, 20, v21
	s_or_saveexec_b64 s[12:13], s[12:13]
                                        ; implicit-def: $sgpr14
	s_xor_b64 exec, exec, s[12:13]
	s_cbranch_execz .LBB43_38
.LBB43_120:
	s_mov_b32 s14, 0x46000000
	v_add_f32_e64 v21, |v24|, s14
	v_and_b32_e32 v25, 0xff, v21
	v_cmp_ne_u32_e32 vcc, 0, v25
	s_andn2_b64 s[10:11], s[10:11], exec
	s_and_b64 s[16:17], vcc, exec
	s_mov_b32 s14, 0
	s_or_b64 s[10:11], s[10:11], s[16:17]
	s_or_b64 exec, exec, s[12:13]
	v_mov_b32_e32 v21, s14
	s_and_saveexec_b64 s[12:13], s[10:11]
	s_cbranch_execnz .LBB43_39
	s_branch .LBB43_40
.LBB43_121:
	v_bfe_u32 v6, v23, 20, 1
	s_mov_b32 s9, 0x487ffff
	v_add3_u32 v6, v23, v6, s9
	s_mov_b64 s[10:11], exec
	v_lshrrev_b32_e32 v24, 20, v6
	s_or_saveexec_b64 s[12:13], s[12:13]
                                        ; implicit-def: $sgpr9
	s_xor_b64 exec, exec, s[12:13]
	s_cbranch_execz .LBB43_44
.LBB43_122:
	s_mov_b32 s9, 0x46000000
	v_add_f32_e64 v6, |v23|, s9
	v_and_b32_e32 v24, 0xff, v6
	v_cmp_ne_u32_e32 vcc, 0, v24
	s_andn2_b64 s[10:11], s[10:11], exec
	s_and_b64 s[14:15], vcc, exec
	s_mov_b32 s9, 0
	s_or_b64 s[10:11], s[10:11], s[14:15]
	s_or_b64 exec, exec, s[12:13]
	v_mov_b32_e32 v6, s9
	s_and_saveexec_b64 s[12:13], s[10:11]
	s_cbranch_execnz .LBB43_45
	s_branch .LBB43_46
.LBB43_123:
	v_bfe_u32 v23, v24, 20, 1
	s_mov_b32 s14, 0x487ffff
	v_add3_u32 v23, v24, v23, s14
	s_mov_b64 s[10:11], exec
	v_lshrrev_b32_e32 v25, 20, v23
	s_or_saveexec_b64 s[12:13], s[12:13]
                                        ; implicit-def: $sgpr14
	s_xor_b64 exec, exec, s[12:13]
	s_cbranch_execz .LBB43_50
.LBB43_124:
	s_mov_b32 s14, 0x46000000
	v_add_f32_e64 v23, |v24|, s14
	v_and_b32_e32 v25, 0xff, v23
	v_cmp_ne_u32_e32 vcc, 0, v25
	s_andn2_b64 s[10:11], s[10:11], exec
	s_and_b64 s[16:17], vcc, exec
	s_mov_b32 s14, 0
	s_or_b64 s[10:11], s[10:11], s[16:17]
	s_or_b64 exec, exec, s[12:13]
	v_mov_b32_e32 v23, s14
	s_and_saveexec_b64 s[12:13], s[10:11]
	s_cbranch_execnz .LBB43_51
	s_branch .LBB43_52
.LBB43_125:
	v_bfe_u32 v7, v22, 20, 1
	s_mov_b32 s9, 0x487ffff
	v_add3_u32 v7, v22, v7, s9
	s_mov_b64 s[10:11], exec
	v_lshrrev_b32_e32 v24, 20, v7
	s_or_saveexec_b64 s[12:13], s[12:13]
                                        ; implicit-def: $sgpr9
	s_xor_b64 exec, exec, s[12:13]
	s_cbranch_execz .LBB43_56
.LBB43_126:
	s_mov_b32 s9, 0x46000000
	v_add_f32_e64 v7, |v22|, s9
	v_and_b32_e32 v24, 0xff, v7
	v_cmp_ne_u32_e32 vcc, 0, v24
	s_andn2_b64 s[10:11], s[10:11], exec
	s_and_b64 s[14:15], vcc, exec
	s_mov_b32 s9, 0
	s_or_b64 s[10:11], s[10:11], s[14:15]
	s_or_b64 exec, exec, s[12:13]
	v_mov_b32_e32 v7, s9
	s_and_saveexec_b64 s[12:13], s[10:11]
	s_cbranch_execnz .LBB43_57
	s_branch .LBB43_58
.LBB43_127:
	v_bfe_u32 v22, v24, 20, 1
	s_mov_b32 s14, 0x487ffff
	v_add3_u32 v22, v24, v22, s14
	s_mov_b64 s[10:11], exec
	v_lshrrev_b32_e32 v25, 20, v22
	s_or_saveexec_b64 s[12:13], s[12:13]
                                        ; implicit-def: $sgpr14
	s_xor_b64 exec, exec, s[12:13]
	s_cbranch_execz .LBB43_62
.LBB43_128:
	s_mov_b32 s14, 0x46000000
	v_add_f32_e64 v22, |v24|, s14
	v_and_b32_e32 v25, 0xff, v22
	v_cmp_ne_u32_e32 vcc, 0, v25
	s_andn2_b64 s[10:11], s[10:11], exec
	s_and_b64 s[16:17], vcc, exec
	s_mov_b32 s14, 0
	s_or_b64 s[10:11], s[10:11], s[16:17]
	s_or_b64 exec, exec, s[12:13]
	v_mov_b32_e32 v22, s14
	s_and_saveexec_b64 s[12:13], s[10:11]
	s_cbranch_execnz .LBB43_63
	s_branch .LBB43_64
.LBB43_129:
	v_bfe_u32 v0, v20, 20, 1
	s_mov_b32 s9, 0x487ffff
	v_add3_u32 v0, v20, v0, s9
	s_mov_b64 s[10:11], exec
	v_lshrrev_b32_e32 v24, 20, v0
	s_or_saveexec_b64 s[12:13], s[12:13]
                                        ; implicit-def: $sgpr9
	s_xor_b64 exec, exec, s[12:13]
	s_cbranch_execz .LBB43_68
.LBB43_130:
	s_mov_b32 s9, 0x46000000
	v_add_f32_e64 v0, |v20|, s9
	v_and_b32_e32 v24, 0xff, v0
	v_cmp_ne_u32_e32 vcc, 0, v24
	s_andn2_b64 s[10:11], s[10:11], exec
	s_and_b64 s[14:15], vcc, exec
	s_mov_b32 s9, 0
	s_or_b64 s[10:11], s[10:11], s[14:15]
	s_or_b64 exec, exec, s[12:13]
	v_mov_b32_e32 v0, s9
	s_and_saveexec_b64 s[12:13], s[10:11]
	s_cbranch_execnz .LBB43_69
	s_branch .LBB43_70
.LBB43_131:
	v_bfe_u32 v1, v20, 20, 1
	s_mov_b32 s14, 0x487ffff
	v_add3_u32 v1, v20, v1, s14
	s_mov_b64 s[10:11], exec
	v_lshrrev_b32_e32 v24, 20, v1
	s_or_saveexec_b64 s[12:13], s[12:13]
                                        ; implicit-def: $sgpr14
	s_xor_b64 exec, exec, s[12:13]
	s_cbranch_execz .LBB43_74
.LBB43_132:
	s_mov_b32 s14, 0x46000000
	v_add_f32_e64 v1, |v20|, s14
	v_and_b32_e32 v24, 0xff, v1
	v_cmp_ne_u32_e32 vcc, 0, v24
	s_andn2_b64 s[10:11], s[10:11], exec
	s_and_b64 s[16:17], vcc, exec
	s_mov_b32 s14, 0
	s_or_b64 s[10:11], s[10:11], s[16:17]
	s_or_b64 exec, exec, s[12:13]
	v_mov_b32_e32 v1, s14
	s_and_saveexec_b64 s[12:13], s[10:11]
	s_cbranch_execnz .LBB43_75
	s_branch .LBB43_76
.LBB43_133:
	v_bfe_u32 v18, v20, 20, 1
	s_mov_b32 s9, 0x487ffff
	v_add3_u32 v18, v20, v18, s9
	s_mov_b64 s[10:11], exec
	v_lshrrev_b32_e32 v24, 20, v18
	s_or_saveexec_b64 s[12:13], s[12:13]
                                        ; implicit-def: $sgpr9
	s_xor_b64 exec, exec, s[12:13]
	s_cbranch_execz .LBB43_80
.LBB43_134:
	s_mov_b32 s9, 0x46000000
	v_add_f32_e64 v18, |v20|, s9
	v_and_b32_e32 v24, 0xff, v18
	v_cmp_ne_u32_e32 vcc, 0, v24
	s_andn2_b64 s[10:11], s[10:11], exec
	s_and_b64 s[14:15], vcc, exec
	s_mov_b32 s9, 0
	s_or_b64 s[10:11], s[10:11], s[14:15]
	s_or_b64 exec, exec, s[12:13]
	v_mov_b32_e32 v18, s9
	s_and_saveexec_b64 s[12:13], s[10:11]
	s_cbranch_execnz .LBB43_81
	s_branch .LBB43_82
.LBB43_135:
	v_bfe_u32 v2, v20, 20, 1
	s_mov_b32 s14, 0x487ffff
	v_add3_u32 v2, v20, v2, s14
	s_mov_b64 s[10:11], exec
	v_bfe_u32 v24, v2, 20, 8
	s_or_saveexec_b64 s[12:13], s[12:13]
                                        ; implicit-def: $sgpr14
	s_xor_b64 exec, exec, s[12:13]
	s_cbranch_execz .LBB43_86
.LBB43_136:
	s_mov_b32 s14, 0x46000000
	v_add_f32_e64 v2, |v20|, s14
	v_and_b32_e32 v24, 0xff, v2
	v_cmp_ne_u32_e32 vcc, 0, v24
	s_andn2_b64 s[10:11], s[10:11], exec
	s_and_b64 s[16:17], vcc, exec
	s_mov_b32 s14, 0
	s_or_b64 s[10:11], s[10:11], s[16:17]
	s_or_b64 exec, exec, s[12:13]
	v_mov_b32_e32 v2, s14
	s_and_saveexec_b64 s[12:13], s[10:11]
	s_cbranch_execnz .LBB43_87
	s_branch .LBB43_88
.LBB43_137:
	v_bfe_u32 v17, v20, 20, 1
	s_mov_b32 s9, 0x487ffff
	v_add3_u32 v17, v20, v17, s9
	s_mov_b64 s[10:11], exec
	v_bfe_u32 v24, v17, 20, 8
	s_or_saveexec_b64 s[12:13], s[12:13]
                                        ; implicit-def: $sgpr9
	s_xor_b64 exec, exec, s[12:13]
	s_cbranch_execz .LBB43_92
.LBB43_138:
	s_mov_b32 s9, 0x46000000
	v_add_f32_e64 v17, |v20|, s9
	v_and_b32_e32 v24, 0xff, v17
	v_cmp_ne_u32_e32 vcc, 0, v24
	s_andn2_b64 s[10:11], s[10:11], exec
	s_and_b64 s[14:15], vcc, exec
	s_mov_b32 s9, 0
	s_or_b64 s[10:11], s[10:11], s[14:15]
	s_or_b64 exec, exec, s[12:13]
	v_mov_b32_e32 v17, s9
	s_and_saveexec_b64 s[12:13], s[10:11]
	s_cbranch_execnz .LBB43_93
	s_branch .LBB43_94
.LBB43_139:
	v_bfe_u32 v3, v20, 20, 1
	s_mov_b32 s14, 0x487ffff
	v_add3_u32 v3, v20, v3, s14
	s_mov_b64 s[10:11], exec
	v_bfe_u32 v24, v3, 20, 8
	s_or_saveexec_b64 s[12:13], s[12:13]
                                        ; implicit-def: $sgpr14
	s_xor_b64 exec, exec, s[12:13]
	s_cbranch_execz .LBB43_98
.LBB43_140:
	s_mov_b32 s14, 0x46000000
	v_add_f32_e64 v3, |v20|, s14
	v_and_b32_e32 v24, 0xff, v3
	v_cmp_ne_u32_e32 vcc, 0, v24
	s_andn2_b64 s[10:11], s[10:11], exec
	s_and_b64 s[16:17], vcc, exec
	s_mov_b32 s14, 0
	s_or_b64 s[10:11], s[10:11], s[16:17]
	s_or_b64 exec, exec, s[12:13]
	v_mov_b32_e32 v3, s14
	s_and_saveexec_b64 s[12:13], s[10:11]
	s_cbranch_execnz .LBB43_99
	s_branch .LBB43_100
.LBB43_141:
	v_bfe_u32 v10, v9, 20, 1
	s_mov_b32 s9, 0x487ffff
	v_add3_u32 v10, v9, v10, s9
	s_mov_b64 s[10:11], exec
	v_bfe_u32 v10, v10, 20, 8
	s_or_saveexec_b64 s[12:13], s[12:13]
                                        ; implicit-def: $sgpr9
	s_xor_b64 exec, exec, s[12:13]
	s_cbranch_execz .LBB43_104
.LBB43_142:
	s_mov_b32 s9, 0x46000000
	v_add_f32_e64 v10, |v9|, s9
	v_and_b32_e32 v10, 0xff, v10
	v_cmp_ne_u32_e32 vcc, 0, v10
	s_andn2_b64 s[10:11], s[10:11], exec
	s_and_b64 s[14:15], vcc, exec
	s_mov_b32 s9, 0
	s_or_b64 s[10:11], s[10:11], s[14:15]
	s_or_b64 exec, exec, s[12:13]
	v_mov_b32_e32 v11, s9
	s_and_saveexec_b64 s[12:13], s[10:11]
	s_cbranch_execnz .LBB43_105
	s_branch .LBB43_106
	.section	.rodata,"a",@progbits
	.p2align	6, 0x0
	.amdhsa_kernel _Z49per_token_group_quant_8bit_packed_register_kernelIN3c104HalfENS0_15Float8_e4m3fnuzELi128ELi8ELi2EEvPKT_PvPjiiiiilfff
		.amdhsa_group_segment_fixed_size 0
		.amdhsa_private_segment_fixed_size 0
		.amdhsa_kernarg_size 68
		.amdhsa_user_sgpr_count 6
		.amdhsa_user_sgpr_private_segment_buffer 1
		.amdhsa_user_sgpr_dispatch_ptr 0
		.amdhsa_user_sgpr_queue_ptr 0
		.amdhsa_user_sgpr_kernarg_segment_ptr 1
		.amdhsa_user_sgpr_dispatch_id 0
		.amdhsa_user_sgpr_flat_scratch_init 0
		.amdhsa_user_sgpr_kernarg_preload_length 0
		.amdhsa_user_sgpr_kernarg_preload_offset 0
		.amdhsa_user_sgpr_private_segment_size 0
		.amdhsa_uses_dynamic_stack 0
		.amdhsa_system_sgpr_private_segment_wavefront_offset 0
		.amdhsa_system_sgpr_workgroup_id_x 1
		.amdhsa_system_sgpr_workgroup_id_y 1
		.amdhsa_system_sgpr_workgroup_id_z 0
		.amdhsa_system_sgpr_workgroup_info 0
		.amdhsa_system_vgpr_workitem_id 0
		.amdhsa_next_free_vgpr 36
		.amdhsa_next_free_sgpr 24
		.amdhsa_accum_offset 36
		.amdhsa_reserve_vcc 1
		.amdhsa_reserve_flat_scratch 0
		.amdhsa_float_round_mode_32 0
		.amdhsa_float_round_mode_16_64 0
		.amdhsa_float_denorm_mode_32 3
		.amdhsa_float_denorm_mode_16_64 3
		.amdhsa_dx10_clamp 1
		.amdhsa_ieee_mode 1
		.amdhsa_fp16_overflow 0
		.amdhsa_tg_split 0
		.amdhsa_exception_fp_ieee_invalid_op 0
		.amdhsa_exception_fp_denorm_src 0
		.amdhsa_exception_fp_ieee_div_zero 0
		.amdhsa_exception_fp_ieee_overflow 0
		.amdhsa_exception_fp_ieee_underflow 0
		.amdhsa_exception_fp_ieee_inexact 0
		.amdhsa_exception_int_div_zero 0
	.end_amdhsa_kernel
	.section	.text._Z49per_token_group_quant_8bit_packed_register_kernelIN3c104HalfENS0_15Float8_e4m3fnuzELi128ELi8ELi2EEvPKT_PvPjiiiiilfff,"axG",@progbits,_Z49per_token_group_quant_8bit_packed_register_kernelIN3c104HalfENS0_15Float8_e4m3fnuzELi128ELi8ELi2EEvPKT_PvPjiiiiilfff,comdat
.Lfunc_end43:
	.size	_Z49per_token_group_quant_8bit_packed_register_kernelIN3c104HalfENS0_15Float8_e4m3fnuzELi128ELi8ELi2EEvPKT_PvPjiiiiilfff, .Lfunc_end43-_Z49per_token_group_quant_8bit_packed_register_kernelIN3c104HalfENS0_15Float8_e4m3fnuzELi128ELi8ELi2EEvPKT_PvPjiiiiilfff
                                        ; -- End function
	.section	.AMDGPU.csdata,"",@progbits
; Kernel info:
; codeLenInByte = 4992
; NumSgprs: 28
; NumVgprs: 36
; NumAgprs: 0
; TotalNumVgprs: 36
; ScratchSize: 0
; MemoryBound: 0
; FloatMode: 240
; IeeeMode: 1
; LDSByteSize: 0 bytes/workgroup (compile time only)
; SGPRBlocks: 3
; VGPRBlocks: 4
; NumSGPRsForWavesPerEU: 28
; NumVGPRsForWavesPerEU: 36
; AccumOffset: 36
; Occupancy: 8
; WaveLimiterHint : 0
; COMPUTE_PGM_RSRC2:SCRATCH_EN: 0
; COMPUTE_PGM_RSRC2:USER_SGPR: 6
; COMPUTE_PGM_RSRC2:TRAP_HANDLER: 0
; COMPUTE_PGM_RSRC2:TGID_X_EN: 1
; COMPUTE_PGM_RSRC2:TGID_Y_EN: 1
; COMPUTE_PGM_RSRC2:TGID_Z_EN: 0
; COMPUTE_PGM_RSRC2:TIDIG_COMP_CNT: 0
; COMPUTE_PGM_RSRC3_GFX90A:ACCUM_OFFSET: 8
; COMPUTE_PGM_RSRC3_GFX90A:TG_SPLIT: 0
	.section	.text._Z49per_token_group_quant_8bit_packed_register_kernelIN3c104HalfENS0_15Float8_e4m3fnuzELi128ELi4ELi4EEvPKT_PvPjiiiiilfff,"axG",@progbits,_Z49per_token_group_quant_8bit_packed_register_kernelIN3c104HalfENS0_15Float8_e4m3fnuzELi128ELi4ELi4EEvPKT_PvPjiiiiilfff,comdat
	.protected	_Z49per_token_group_quant_8bit_packed_register_kernelIN3c104HalfENS0_15Float8_e4m3fnuzELi128ELi4ELi4EEvPKT_PvPjiiiiilfff ; -- Begin function _Z49per_token_group_quant_8bit_packed_register_kernelIN3c104HalfENS0_15Float8_e4m3fnuzELi128ELi4ELi4EEvPKT_PvPjiiiiilfff
	.globl	_Z49per_token_group_quant_8bit_packed_register_kernelIN3c104HalfENS0_15Float8_e4m3fnuzELi128ELi4ELi4EEvPKT_PvPjiiiiilfff
	.p2align	8
	.type	_Z49per_token_group_quant_8bit_packed_register_kernelIN3c104HalfENS0_15Float8_e4m3fnuzELi128ELi4ELi4EEvPKT_PvPjiiiiilfff,@function
_Z49per_token_group_quant_8bit_packed_register_kernelIN3c104HalfENS0_15Float8_e4m3fnuzELi128ELi4ELi4EEvPKT_PvPjiiiiilfff: ; @_Z49per_token_group_quant_8bit_packed_register_kernelIN3c104HalfENS0_15Float8_e4m3fnuzELi128ELi4ELi4EEvPKT_PvPjiiiiilfff
; %bb.0:
	s_load_dwordx4 s[8:11], s[4:5], 0x1c
	v_lshrrev_b32_e32 v1, 5, v0
	v_lshl_add_u32 v12, s7, 2, v1
	s_waitcnt lgkmcnt(0)
	v_cmp_gt_i32_e32 vcc, s11, v12
	s_and_saveexec_b64 s[0:1], vcc
	s_cbranch_execz .LBB44_110
; %bb.1:
	s_load_dwordx4 s[12:15], s[4:5], 0x38
	v_lshrrev_b32_e32 v1, 3, v0
	s_lshl_b32 s0, s6, 2
	v_and_or_b32 v10, v1, 3, s0
	v_cmp_gt_i32_e64 s[2:3], s9, v12
	v_cmp_gt_i32_e64 s[0:1], s8, v10
	v_and_b32_e32 v13, 7, v0
	s_and_b64 s[6:7], s[2:3], s[0:1]
	s_waitcnt lgkmcnt(0)
	v_mov_b32_e32 v8, s12
	v_ashrrev_i32_e32 v16, 31, v12
	v_lshlrev_b32_e32 v14, 7, v10
                                        ; implicit-def: $vgpr15
                                        ; implicit-def: $vgpr3
                                        ; implicit-def: $vgpr17
                                        ; implicit-def: $vgpr18
                                        ; implicit-def: $vgpr20
                                        ; implicit-def: $vgpr22
                                        ; implicit-def: $vgpr7
                                        ; implicit-def: $vgpr23
                                        ; implicit-def: $vgpr21
                                        ; implicit-def: $vgpr19
	s_and_saveexec_b64 s[16:17], s[6:7]
	s_cbranch_execz .LBB44_3
; %bb.2:
	s_load_dwordx2 s[18:19], s[4:5], 0x0
	v_alignbit_b32 v0, v16, v12, 24
	s_ashr_i32 s9, s8, 31
	v_lshlrev_b32_e32 v2, 8, v12
	v_mul_lo_u32 v4, v0, s8
	s_waitcnt lgkmcnt(0)
	v_pk_mov_b32 v[0:1], s[18:19], s[18:19] op_sel:[0,1]
	v_mul_lo_u32 v3, v2, s9
	v_mad_u64_u32 v[0:1], s[18:19], v2, s8, v[0:1]
	v_ashrrev_i32_e32 v15, 31, v14
	v_add3_u32 v1, v4, v1, v3
	v_lshlrev_b64 v[2:3], 1, v[14:15]
	v_add_co_u32_e32 v0, vcc, v0, v2
	v_addc_co_u32_e32 v1, vcc, v1, v3, vcc
	v_lshlrev_b32_e32 v2, 5, v13
	v_add_co_u32_e32 v8, vcc, v0, v2
	v_addc_co_u32_e32 v9, vcc, 0, v1, vcc
	global_load_dwordx4 v[4:7], v[8:9], off
	global_load_dwordx4 v[0:3], v[8:9], off offset:16
	s_waitcnt vmcnt(1)
	v_lshrrev_b32_e32 v19, 16, v4
	v_lshrrev_b32_e32 v21, 16, v5
	v_cvt_f32_f16_e64 v8, |v4|
	v_cvt_f32_f16_e64 v29, |v19|
	v_lshrrev_b32_e32 v23, 16, v6
	v_cvt_f32_f16_e64 v9, |v5|
	v_cvt_f32_f16_e64 v30, |v21|
	;; [unrolled: 3-line block ×3, first 2 shown]
	s_waitcnt vmcnt(0)
	v_lshrrev_b32_e32 v20, 16, v0
	v_cvt_f32_f16_e64 v24, |v7|
	v_cvt_f32_f16_e64 v32, |v22|
	v_lshrrev_b32_e32 v18, 16, v1
	v_cvt_f32_f16_e64 v25, |v0|
	v_cvt_f32_f16_e64 v33, |v20|
	v_max3_f32 v8, s12, v8, v29
	v_lshrrev_b32_e32 v17, 16, v2
	v_cvt_f32_f16_e64 v26, |v1|
	v_cvt_f32_f16_e64 v34, |v18|
	v_max3_f32 v8, v8, v9, v30
	v_lshrrev_b32_e32 v15, 16, v3
	v_cvt_f32_f16_e64 v27, |v2|
	v_cvt_f32_f16_e64 v35, |v17|
	v_max3_f32 v8, v8, v11, v31
	v_cvt_f32_f16_e64 v28, |v3|
	v_max3_f32 v8, v8, v24, v32
	v_cvt_f32_f16_e64 v9, |v15|
	v_max3_f32 v8, v8, v25, v33
	v_max3_f32 v8, v8, v26, v34
	;; [unrolled: 1-line block ×4, first 2 shown]
.LBB44_3:
	s_or_b64 exec, exec, s[16:17]
	v_mbcnt_lo_u32_b32 v9, -1, 0
	v_mbcnt_hi_u32_b32 v9, -1, v9
	v_and_b32_e32 v24, 0x78, v9
	v_xor_b32_e32 v11, 4, v9
	v_add_u32_e32 v24, 8, v24
	v_cmp_lt_i32_e32 vcc, v11, v24
	v_cndmask_b32_e32 v11, v9, v11, vcc
	v_lshlrev_b32_e32 v11, 2, v11
	ds_bpermute_b32 v11, v11, v8
	v_xor_b32_e32 v25, 2, v9
	v_max_f32_e32 v8, v8, v8
	v_cmp_lt_i32_e32 vcc, v25, v24
	s_waitcnt lgkmcnt(0)
	v_max_f32_e32 v11, v11, v11
	v_max_f32_e32 v8, v8, v11
	v_cndmask_b32_e32 v11, v9, v25, vcc
	v_lshlrev_b32_e32 v11, 2, v11
	ds_bpermute_b32 v11, v11, v8
	v_xor_b32_e32 v25, 1, v9
	v_cmp_lt_i32_e32 vcc, v25, v24
	v_cndmask_b32_e32 v9, v9, v25, vcc
	v_lshlrev_b32_e32 v9, 2, v9
	s_waitcnt lgkmcnt(0)
	v_max_f32_e32 v11, v11, v11
	v_max_f32_e32 v8, v8, v11
	ds_bpermute_b32 v9, v9, v8
	s_waitcnt lgkmcnt(0)
	v_max_f32_e32 v9, v9, v9
	v_max_f32_e32 v8, v8, v9
	v_div_scale_f32 v9, s[16:17], s14, s14, v8
	v_rcp_f32_e32 v11, v9
	v_div_scale_f32 v24, vcc, v8, s14, v8
	s_xor_b64 s[16:17], s[6:7], -1
	v_fma_f32 v25, -v9, v11, 1.0
	v_fmac_f32_e32 v11, v25, v11
	v_mul_f32_e32 v25, v24, v11
	v_fma_f32 v26, -v9, v25, v24
	v_fmac_f32_e32 v25, v26, v11
	v_fma_f32 v9, -v9, v25, v24
	v_div_fmas_f32 v9, v9, v11, v25
	v_div_fixup_f32 v8, v9, s14, v8
	v_max_f32_e32 v8, 0x2edbe6ff, v8
	v_lshrrev_b32_e32 v9, 23, v8
	v_and_b32_e32 v8, 0x7fffff, v8
	v_cmp_ne_u32_e32 vcc, 0, v8
	v_addc_co_u32_e32 v24, vcc, 0, v9, vcc
	v_cmp_eq_u32_e32 vcc, 0, v13
	s_and_saveexec_b64 s[18:19], vcc
	s_cbranch_execz .LBB44_8
; %bb.4:
	v_ashrrev_i32_e32 v8, 31, v10
	v_lshrrev_b32_e32 v8, 30, v8
	v_add_u32_e32 v8, v10, v8
	v_ashrrev_i32_e32 v11, 2, v8
	v_mad_u64_u32 v[8:9], s[20:21], v11, s11, v[12:13]
	v_mov_b32_e32 v25, v24
	s_and_saveexec_b64 s[20:21], s[16:17]
	s_cbranch_execz .LBB44_6
; %bb.5:
	s_load_dwordx2 s[22:23], s[4:5], 0x30
	v_ashrrev_i32_e32 v9, 31, v8
	s_andn2_b64 s[6:7], s[6:7], exec
	v_mov_b32_e32 v25, 0
	s_waitcnt lgkmcnt(0)
	v_cmp_gt_i64_e32 vcc, s[22:23], v[8:9]
	s_and_b64 s[22:23], vcc, exec
	s_or_b64 s[6:7], s[6:7], s[22:23]
.LBB44_6:
	s_or_b64 exec, exec, s[20:21]
	s_and_b64 exec, exec, s[6:7]
	s_cbranch_execz .LBB44_8
; %bb.7:
	s_load_dwordx2 s[6:7], s[4:5], 0x10
	v_lshlrev_b32_e32 v9, 2, v11
	v_sub_u32_e32 v9, v10, v9
	v_lshl_add_u32 v8, v8, 2, v9
	v_ashrrev_i32_e32 v9, 31, v8
	s_waitcnt lgkmcnt(0)
	v_mov_b32_e32 v10, s7
	v_add_co_u32_e32 v8, vcc, s6, v8
	v_addc_co_u32_e32 v9, vcc, v10, v9, vcc
	global_store_byte v[8:9], v25, off
.LBB44_8:
	s_or_b64 exec, exec, s[18:19]
	s_mov_b64 s[6:7], 0
                                        ; implicit-def: $sgpr9
	s_and_saveexec_b64 s[18:19], s[16:17]
	s_xor_b64 s[16:17], exec, s[18:19]
; %bb.9:
	s_xor_b64 s[2:3], s[2:3], -1
	v_cmp_gt_i32_e32 vcc, s10, v12
	s_and_b64 s[2:3], vcc, s[2:3]
	s_and_b64 s[0:1], s[0:1], s[2:3]
	s_mov_b32 s9, 0
	s_and_b64 s[6:7], s[0:1], exec
                                        ; implicit-def: $vgpr15
                                        ; implicit-def: $vgpr3
                                        ; implicit-def: $vgpr17
                                        ; implicit-def: $vgpr18
                                        ; implicit-def: $vgpr20
                                        ; implicit-def: $vgpr22
                                        ; implicit-def: $vgpr7
                                        ; implicit-def: $vgpr23
                                        ; implicit-def: $vgpr21
                                        ; implicit-def: $vgpr19
                                        ; implicit-def: $vgpr24
; %bb.10:
	s_or_saveexec_b64 s[0:1], s[16:17]
	v_mov_b32_e32 v11, s9
	v_mov_b32_e32 v10, s9
	;; [unrolled: 1-line block ×4, first 2 shown]
	s_xor_b64 exec, exec, s[0:1]
	s_cbranch_execz .LBB44_108
; %bb.11:
	v_lshlrev_b32_e32 v8, 23, v24
	v_and_b32_e32 v8, 0x7f800000, v8
	v_div_scale_f32 v9, s[2:3], v8, v8, 1.0
	v_rcp_f32_e32 v10, v9
	v_div_scale_f32 v11, vcc, 1.0, v8, 1.0
	v_cvt_f32_f16_e32 v4, v4
	v_fma_f32 v24, -v9, v10, 1.0
	v_fmac_f32_e32 v10, v24, v10
	v_mul_f32_e32 v24, v11, v10
	v_fma_f32 v25, -v9, v24, v11
	v_fmac_f32_e32 v24, v25, v10
	v_fma_f32 v9, -v9, v24, v11
	v_div_fmas_f32 v9, v9, v10, v24
	v_div_fixup_f32 v9, v9, v8, 1.0
	v_mul_f32_e32 v4, v9, v4
	v_max_f32_e64 v10, s13, s13
	v_max_f32_e32 v4, v4, v10
	v_max_f32_e64 v11, s14, s14
	v_min_f32_e32 v24, v4, v11
	v_and_b32_e32 v25, 0x7fffffff, v24
	s_mov_b32 s9, 0x43800000
	v_cmp_gt_u32_e32 vcc, s9, v25
	v_mov_b32_e32 v4, 0x80
	v_mov_b32_e32 v8, 0x80
	s_and_saveexec_b64 s[2:3], vcc
	s_cbranch_execz .LBB44_17
; %bb.12:
	s_mov_b32 s10, 0x3bffffff
	v_cmp_lt_u32_e32 vcc, s10, v25
	s_mov_b64 s[10:11], 0
                                        ; implicit-def: $vgpr25
	s_and_saveexec_b64 s[12:13], vcc
	s_xor_b64 s[12:13], exec, s[12:13]
	s_cbranch_execnz .LBB44_111
; %bb.13:
	s_or_saveexec_b64 s[12:13], s[12:13]
                                        ; implicit-def: $sgpr14
	s_xor_b64 exec, exec, s[12:13]
	s_cbranch_execnz .LBB44_112
.LBB44_14:
	s_or_b64 exec, exec, s[12:13]
	v_mov_b32_e32 v8, s14
	s_and_saveexec_b64 s[12:13], s[10:11]
.LBB44_15:
	v_lshrrev_b32_e32 v8, 24, v24
	s_movk_i32 s10, 0x80
	v_and_or_b32 v8, v8, s10, v25
.LBB44_16:
	s_or_b64 exec, exec, s[12:13]
.LBB44_17:
	s_or_b64 exec, exec, s[2:3]
	v_cvt_f32_f16_e32 v19, v19
	v_mul_f32_e32 v19, v9, v19
	v_max_f32_e32 v19, v19, v10
	v_min_f32_e32 v19, v19, v11
	v_and_b32_e32 v24, 0x7fffffff, v19
	v_cmp_gt_u32_e32 vcc, s9, v24
	s_and_saveexec_b64 s[2:3], vcc
	s_cbranch_execz .LBB44_23
; %bb.18:
	s_mov_b32 s9, 0x3bffffff
	v_cmp_lt_u32_e32 vcc, s9, v24
	s_mov_b64 s[10:11], 0
                                        ; implicit-def: $vgpr24
	s_and_saveexec_b64 s[12:13], vcc
	s_xor_b64 s[12:13], exec, s[12:13]
	s_cbranch_execnz .LBB44_113
; %bb.19:
	s_or_saveexec_b64 s[12:13], s[12:13]
                                        ; implicit-def: $sgpr9
	s_xor_b64 exec, exec, s[12:13]
	s_cbranch_execnz .LBB44_114
.LBB44_20:
	s_or_b64 exec, exec, s[12:13]
	v_mov_b32_e32 v4, s9
	s_and_saveexec_b64 s[12:13], s[10:11]
.LBB44_21:
	v_lshrrev_b32_e32 v4, 24, v19
	s_movk_i32 s9, 0x80
	v_and_or_b32 v4, v4, s9, v24
.LBB44_22:
	s_or_b64 exec, exec, s[12:13]
.LBB44_23:
	s_or_b64 exec, exec, s[2:3]
	v_cvt_f32_f16_e32 v19, v5
	s_mov_b32 s9, 0x43800000
	v_mov_b32_e32 v5, 0x80
	v_mul_f32_e32 v19, v9, v19
	v_max_f32_e32 v19, v19, v10
	v_min_f32_e32 v24, v19, v11
	v_and_b32_e32 v25, 0x7fffffff, v24
	v_cmp_gt_u32_e32 vcc, s9, v25
	v_mov_b32_e32 v19, 0x80
	s_and_saveexec_b64 s[2:3], vcc
	s_cbranch_execz .LBB44_29
; %bb.24:
	s_mov_b32 s10, 0x3bffffff
	v_cmp_lt_u32_e32 vcc, s10, v25
	s_mov_b64 s[10:11], 0
                                        ; implicit-def: $vgpr25
	s_and_saveexec_b64 s[12:13], vcc
	s_xor_b64 s[12:13], exec, s[12:13]
	s_cbranch_execnz .LBB44_115
; %bb.25:
	s_or_saveexec_b64 s[12:13], s[12:13]
                                        ; implicit-def: $sgpr14
	s_xor_b64 exec, exec, s[12:13]
	s_cbranch_execnz .LBB44_116
.LBB44_26:
	s_or_b64 exec, exec, s[12:13]
	v_mov_b32_e32 v19, s14
	s_and_saveexec_b64 s[12:13], s[10:11]
.LBB44_27:
	v_lshrrev_b32_e32 v19, 24, v24
	s_movk_i32 s10, 0x80
	v_and_or_b32 v19, v19, s10, v25
.LBB44_28:
	s_or_b64 exec, exec, s[12:13]
.LBB44_29:
	s_or_b64 exec, exec, s[2:3]
	v_cvt_f32_f16_e32 v21, v21
	v_mul_f32_e32 v21, v9, v21
	v_max_f32_e32 v21, v21, v10
	v_min_f32_e32 v21, v21, v11
	v_and_b32_e32 v24, 0x7fffffff, v21
	v_cmp_gt_u32_e32 vcc, s9, v24
	s_and_saveexec_b64 s[2:3], vcc
	s_cbranch_execz .LBB44_35
; %bb.30:
	s_mov_b32 s9, 0x3bffffff
	v_cmp_lt_u32_e32 vcc, s9, v24
	s_mov_b64 s[10:11], 0
                                        ; implicit-def: $vgpr24
	s_and_saveexec_b64 s[12:13], vcc
	s_xor_b64 s[12:13], exec, s[12:13]
	s_cbranch_execnz .LBB44_117
; %bb.31:
	s_or_saveexec_b64 s[12:13], s[12:13]
                                        ; implicit-def: $sgpr9
	s_xor_b64 exec, exec, s[12:13]
	s_cbranch_execnz .LBB44_118
.LBB44_32:
	s_or_b64 exec, exec, s[12:13]
	v_mov_b32_e32 v5, s9
	s_and_saveexec_b64 s[12:13], s[10:11]
.LBB44_33:
	v_lshrrev_b32_e32 v5, 24, v21
	s_movk_i32 s9, 0x80
	v_and_or_b32 v5, v5, s9, v24
.LBB44_34:
	s_or_b64 exec, exec, s[12:13]
.LBB44_35:
	s_or_b64 exec, exec, s[2:3]
	v_cvt_f32_f16_e32 v21, v6
	s_mov_b32 s9, 0x43800000
	v_mov_b32_e32 v6, 0x80
	v_mul_f32_e32 v21, v9, v21
	v_max_f32_e32 v21, v21, v10
	v_min_f32_e32 v24, v21, v11
	v_and_b32_e32 v25, 0x7fffffff, v24
	v_cmp_gt_u32_e32 vcc, s9, v25
	v_mov_b32_e32 v21, 0x80
	s_and_saveexec_b64 s[2:3], vcc
	s_cbranch_execz .LBB44_41
; %bb.36:
	s_mov_b32 s10, 0x3bffffff
	v_cmp_lt_u32_e32 vcc, s10, v25
	s_mov_b64 s[10:11], 0
                                        ; implicit-def: $vgpr25
	s_and_saveexec_b64 s[12:13], vcc
	s_xor_b64 s[12:13], exec, s[12:13]
	s_cbranch_execnz .LBB44_119
; %bb.37:
	s_or_saveexec_b64 s[12:13], s[12:13]
                                        ; implicit-def: $sgpr14
	s_xor_b64 exec, exec, s[12:13]
	s_cbranch_execnz .LBB44_120
.LBB44_38:
	s_or_b64 exec, exec, s[12:13]
	v_mov_b32_e32 v21, s14
	s_and_saveexec_b64 s[12:13], s[10:11]
.LBB44_39:
	v_lshrrev_b32_e32 v21, 24, v24
	s_movk_i32 s10, 0x80
	v_and_or_b32 v21, v21, s10, v25
.LBB44_40:
	s_or_b64 exec, exec, s[12:13]
.LBB44_41:
	s_or_b64 exec, exec, s[2:3]
	v_cvt_f32_f16_e32 v23, v23
	v_mul_f32_e32 v23, v9, v23
	v_max_f32_e32 v23, v23, v10
	v_min_f32_e32 v23, v23, v11
	v_and_b32_e32 v24, 0x7fffffff, v23
	v_cmp_gt_u32_e32 vcc, s9, v24
	s_and_saveexec_b64 s[2:3], vcc
	s_cbranch_execz .LBB44_47
; %bb.42:
	s_mov_b32 s9, 0x3bffffff
	v_cmp_lt_u32_e32 vcc, s9, v24
	s_mov_b64 s[10:11], 0
                                        ; implicit-def: $vgpr24
	s_and_saveexec_b64 s[12:13], vcc
	s_xor_b64 s[12:13], exec, s[12:13]
	s_cbranch_execnz .LBB44_121
; %bb.43:
	s_or_saveexec_b64 s[12:13], s[12:13]
                                        ; implicit-def: $sgpr9
	s_xor_b64 exec, exec, s[12:13]
	s_cbranch_execnz .LBB44_122
.LBB44_44:
	s_or_b64 exec, exec, s[12:13]
	v_mov_b32_e32 v6, s9
	s_and_saveexec_b64 s[12:13], s[10:11]
.LBB44_45:
	v_lshrrev_b32_e32 v6, 24, v23
	s_movk_i32 s9, 0x80
	v_and_or_b32 v6, v6, s9, v24
.LBB44_46:
	s_or_b64 exec, exec, s[12:13]
.LBB44_47:
	s_or_b64 exec, exec, s[2:3]
	v_cvt_f32_f16_e32 v23, v7
	s_mov_b32 s9, 0x43800000
	v_mov_b32_e32 v7, 0x80
	v_mul_f32_e32 v23, v9, v23
	v_max_f32_e32 v23, v23, v10
	v_min_f32_e32 v24, v23, v11
	v_and_b32_e32 v25, 0x7fffffff, v24
	v_cmp_gt_u32_e32 vcc, s9, v25
	v_mov_b32_e32 v23, 0x80
	s_and_saveexec_b64 s[2:3], vcc
	s_cbranch_execz .LBB44_53
; %bb.48:
	s_mov_b32 s10, 0x3bffffff
	v_cmp_lt_u32_e32 vcc, s10, v25
	s_mov_b64 s[10:11], 0
                                        ; implicit-def: $vgpr25
	s_and_saveexec_b64 s[12:13], vcc
	s_xor_b64 s[12:13], exec, s[12:13]
	s_cbranch_execnz .LBB44_123
; %bb.49:
	s_or_saveexec_b64 s[12:13], s[12:13]
                                        ; implicit-def: $sgpr14
	s_xor_b64 exec, exec, s[12:13]
	s_cbranch_execnz .LBB44_124
.LBB44_50:
	s_or_b64 exec, exec, s[12:13]
	v_mov_b32_e32 v23, s14
	s_and_saveexec_b64 s[12:13], s[10:11]
.LBB44_51:
	v_lshrrev_b32_e32 v23, 24, v24
	s_movk_i32 s10, 0x80
	v_and_or_b32 v23, v23, s10, v25
.LBB44_52:
	s_or_b64 exec, exec, s[12:13]
.LBB44_53:
	s_or_b64 exec, exec, s[2:3]
	v_cvt_f32_f16_e32 v22, v22
	v_mul_f32_e32 v22, v9, v22
	v_max_f32_e32 v22, v22, v10
	v_min_f32_e32 v22, v22, v11
	v_and_b32_e32 v24, 0x7fffffff, v22
	v_cmp_gt_u32_e32 vcc, s9, v24
	s_and_saveexec_b64 s[2:3], vcc
	s_cbranch_execz .LBB44_59
; %bb.54:
	s_mov_b32 s9, 0x3bffffff
	v_cmp_lt_u32_e32 vcc, s9, v24
	s_mov_b64 s[10:11], 0
                                        ; implicit-def: $vgpr24
	s_and_saveexec_b64 s[12:13], vcc
	s_xor_b64 s[12:13], exec, s[12:13]
	s_cbranch_execnz .LBB44_125
; %bb.55:
	s_or_saveexec_b64 s[12:13], s[12:13]
                                        ; implicit-def: $sgpr9
	s_xor_b64 exec, exec, s[12:13]
	s_cbranch_execnz .LBB44_126
.LBB44_56:
	s_or_b64 exec, exec, s[12:13]
	v_mov_b32_e32 v7, s9
	s_and_saveexec_b64 s[12:13], s[10:11]
.LBB44_57:
	v_lshrrev_b32_e32 v7, 24, v22
	s_movk_i32 s9, 0x80
	v_and_or_b32 v7, v7, s9, v24
.LBB44_58:
	s_or_b64 exec, exec, s[12:13]
.LBB44_59:
	s_or_b64 exec, exec, s[2:3]
	v_cvt_f32_f16_e32 v22, v0
	s_mov_b32 s9, 0x43800000
	v_mov_b32_e32 v0, 0x80
	v_mul_f32_e32 v22, v9, v22
	v_max_f32_e32 v22, v22, v10
	v_min_f32_e32 v24, v22, v11
	v_and_b32_e32 v25, 0x7fffffff, v24
	v_cmp_gt_u32_e32 vcc, s9, v25
	v_mov_b32_e32 v22, 0x80
	s_and_saveexec_b64 s[2:3], vcc
	s_cbranch_execz .LBB44_65
; %bb.60:
	s_mov_b32 s10, 0x3bffffff
	v_cmp_lt_u32_e32 vcc, s10, v25
	s_mov_b64 s[10:11], 0
                                        ; implicit-def: $vgpr25
	s_and_saveexec_b64 s[12:13], vcc
	s_xor_b64 s[12:13], exec, s[12:13]
	s_cbranch_execnz .LBB44_127
; %bb.61:
	s_or_saveexec_b64 s[12:13], s[12:13]
                                        ; implicit-def: $sgpr14
	s_xor_b64 exec, exec, s[12:13]
	s_cbranch_execnz .LBB44_128
.LBB44_62:
	s_or_b64 exec, exec, s[12:13]
	v_mov_b32_e32 v22, s14
	s_and_saveexec_b64 s[12:13], s[10:11]
.LBB44_63:
	v_lshrrev_b32_e32 v22, 24, v24
	s_movk_i32 s10, 0x80
	v_and_or_b32 v22, v22, s10, v25
.LBB44_64:
	s_or_b64 exec, exec, s[12:13]
.LBB44_65:
	s_or_b64 exec, exec, s[2:3]
	v_cvt_f32_f16_e32 v20, v20
	v_mul_f32_e32 v20, v9, v20
	v_max_f32_e32 v20, v20, v10
	v_min_f32_e32 v20, v20, v11
	v_and_b32_e32 v24, 0x7fffffff, v20
	v_cmp_gt_u32_e32 vcc, s9, v24
	s_and_saveexec_b64 s[2:3], vcc
	s_cbranch_execz .LBB44_71
; %bb.66:
	s_mov_b32 s9, 0x3bffffff
	v_cmp_lt_u32_e32 vcc, s9, v24
	s_mov_b64 s[10:11], 0
                                        ; implicit-def: $vgpr24
	s_and_saveexec_b64 s[12:13], vcc
	s_xor_b64 s[12:13], exec, s[12:13]
	s_cbranch_execnz .LBB44_129
; %bb.67:
	s_or_saveexec_b64 s[12:13], s[12:13]
                                        ; implicit-def: $sgpr9
	s_xor_b64 exec, exec, s[12:13]
	s_cbranch_execnz .LBB44_130
.LBB44_68:
	s_or_b64 exec, exec, s[12:13]
	v_mov_b32_e32 v0, s9
	s_and_saveexec_b64 s[12:13], s[10:11]
.LBB44_69:
	v_lshrrev_b32_e32 v0, 24, v20
	s_movk_i32 s9, 0x80
	v_and_or_b32 v0, v0, s9, v24
.LBB44_70:
	s_or_b64 exec, exec, s[12:13]
.LBB44_71:
	s_or_b64 exec, exec, s[2:3]
	v_cvt_f32_f16_e32 v1, v1
	s_mov_b32 s9, 0x43800000
	v_mul_f32_e32 v1, v9, v1
	v_max_f32_e32 v1, v1, v10
	v_min_f32_e32 v20, v1, v11
	v_and_b32_e32 v24, 0x7fffffff, v20
	v_cmp_gt_u32_e32 vcc, s9, v24
	v_mov_b32_e32 v1, 0x800000
	s_and_saveexec_b64 s[2:3], vcc
	s_cbranch_execz .LBB44_77
; %bb.72:
	s_mov_b32 s10, 0x3bffffff
	v_cmp_lt_u32_e32 vcc, s10, v24
	s_mov_b64 s[10:11], 0
                                        ; implicit-def: $vgpr24
	s_and_saveexec_b64 s[12:13], vcc
	s_xor_b64 s[12:13], exec, s[12:13]
	s_cbranch_execnz .LBB44_131
; %bb.73:
	s_or_saveexec_b64 s[12:13], s[12:13]
                                        ; implicit-def: $sgpr14
	s_xor_b64 exec, exec, s[12:13]
	s_cbranch_execnz .LBB44_132
.LBB44_74:
	s_or_b64 exec, exec, s[12:13]
	v_mov_b32_e32 v1, s14
	s_and_saveexec_b64 s[12:13], s[10:11]
.LBB44_75:
	v_lshrrev_b32_e32 v1, 24, v20
	s_movk_i32 s10, 0x80
	v_and_or_b32 v1, v1, s10, v24
	v_lshlrev_b32_e32 v1, 16, v1
	v_and_b32_e32 v1, 0xff0000, v1
.LBB44_76:
	s_or_b64 exec, exec, s[12:13]
.LBB44_77:
	s_or_b64 exec, exec, s[2:3]
	v_cvt_f32_f16_e32 v18, v18
	v_mul_f32_e32 v18, v9, v18
	v_max_f32_e32 v18, v18, v10
	v_min_f32_e32 v20, v18, v11
	v_and_b32_e32 v24, 0x7fffffff, v20
	v_cmp_gt_u32_e32 vcc, s9, v24
	v_bfrev_b32_e32 v18, 1
	s_and_saveexec_b64 s[2:3], vcc
	s_cbranch_execz .LBB44_83
; %bb.78:
	s_mov_b32 s9, 0x3bffffff
	v_cmp_lt_u32_e32 vcc, s9, v24
	s_mov_b64 s[10:11], 0
                                        ; implicit-def: $vgpr24
	s_and_saveexec_b64 s[12:13], vcc
	s_xor_b64 s[12:13], exec, s[12:13]
	s_cbranch_execnz .LBB44_133
; %bb.79:
	s_or_saveexec_b64 s[12:13], s[12:13]
                                        ; implicit-def: $sgpr9
	s_xor_b64 exec, exec, s[12:13]
	s_cbranch_execnz .LBB44_134
.LBB44_80:
	s_or_b64 exec, exec, s[12:13]
	v_mov_b32_e32 v18, s9
	s_and_saveexec_b64 s[12:13], s[10:11]
.LBB44_81:
	v_lshlrev_b32_e32 v18, 24, v24
	s_brev_b32 s9, 1
	v_and_or_b32 v18, v20, s9, v18
.LBB44_82:
	s_or_b64 exec, exec, s[12:13]
.LBB44_83:
	s_or_b64 exec, exec, s[2:3]
	v_cvt_f32_f16_e32 v2, v2
	s_mov_b32 s9, 0x43800000
	v_mul_f32_e32 v2, v9, v2
	v_max_f32_e32 v2, v2, v10
	v_min_f32_e32 v20, v2, v11
	v_and_b32_e32 v24, 0x7fffffff, v20
	v_cmp_gt_u32_e32 vcc, s9, v24
	v_mov_b32_e32 v2, 0x80
	s_and_saveexec_b64 s[2:3], vcc
	s_cbranch_execz .LBB44_89
; %bb.84:
	s_mov_b32 s10, 0x3bffffff
	v_cmp_lt_u32_e32 vcc, s10, v24
	s_mov_b64 s[10:11], 0
                                        ; implicit-def: $vgpr24
	s_and_saveexec_b64 s[12:13], vcc
	s_xor_b64 s[12:13], exec, s[12:13]
	s_cbranch_execnz .LBB44_135
; %bb.85:
	s_or_saveexec_b64 s[12:13], s[12:13]
                                        ; implicit-def: $sgpr14
	s_xor_b64 exec, exec, s[12:13]
	s_cbranch_execnz .LBB44_136
.LBB44_86:
	s_or_b64 exec, exec, s[12:13]
	v_mov_b32_e32 v2, s14
	s_and_saveexec_b64 s[12:13], s[10:11]
.LBB44_87:
	v_lshrrev_b32_e32 v2, 24, v20
	s_movk_i32 s10, 0x80
	v_and_or_b32 v2, v2, s10, v24
.LBB44_88:
	s_or_b64 exec, exec, s[12:13]
.LBB44_89:
	s_or_b64 exec, exec, s[2:3]
	v_cvt_f32_f16_e32 v17, v17
	v_mul_f32_e32 v17, v9, v17
	v_max_f32_e32 v17, v17, v10
	v_min_f32_e32 v20, v17, v11
	v_and_b32_e32 v24, 0x7fffffff, v20
	v_cmp_gt_u32_e32 vcc, s9, v24
	v_mov_b32_e32 v17, 0x8000
	s_and_saveexec_b64 s[2:3], vcc
	s_cbranch_execz .LBB44_95
; %bb.90:
	s_mov_b32 s9, 0x3bffffff
	v_cmp_lt_u32_e32 vcc, s9, v24
	s_mov_b64 s[10:11], 0
                                        ; implicit-def: $vgpr24
	s_and_saveexec_b64 s[12:13], vcc
	s_xor_b64 s[12:13], exec, s[12:13]
	s_cbranch_execnz .LBB44_137
; %bb.91:
	s_or_saveexec_b64 s[12:13], s[12:13]
                                        ; implicit-def: $sgpr9
	s_xor_b64 exec, exec, s[12:13]
	s_cbranch_execnz .LBB44_138
.LBB44_92:
	s_or_b64 exec, exec, s[12:13]
	v_mov_b32_e32 v17, s9
	s_and_saveexec_b64 s[12:13], s[10:11]
.LBB44_93:
	v_lshrrev_b32_e32 v17, 24, v20
	s_movk_i32 s9, 0x80
	v_and_or_b32 v17, v17, s9, v24
	v_lshlrev_b32_e32 v17, 8, v17
.LBB44_94:
	s_or_b64 exec, exec, s[12:13]
.LBB44_95:
	s_or_b64 exec, exec, s[2:3]
	v_cvt_f32_f16_e32 v3, v3
	s_mov_b32 s9, 0x43800000
	v_mul_f32_e32 v3, v9, v3
	v_max_f32_e32 v3, v3, v10
	v_min_f32_e32 v20, v3, v11
	v_and_b32_e32 v24, 0x7fffffff, v20
	v_cmp_gt_u32_e32 vcc, s9, v24
	v_mov_b32_e32 v3, 0x800000
	s_and_saveexec_b64 s[2:3], vcc
	s_cbranch_execz .LBB44_101
; %bb.96:
	s_mov_b32 s10, 0x3bffffff
	v_cmp_lt_u32_e32 vcc, s10, v24
	s_mov_b64 s[10:11], 0
                                        ; implicit-def: $vgpr24
	s_and_saveexec_b64 s[12:13], vcc
	s_xor_b64 s[12:13], exec, s[12:13]
	s_cbranch_execnz .LBB44_139
; %bb.97:
	s_or_saveexec_b64 s[12:13], s[12:13]
                                        ; implicit-def: $sgpr14
	s_xor_b64 exec, exec, s[12:13]
	s_cbranch_execnz .LBB44_140
.LBB44_98:
	s_or_b64 exec, exec, s[12:13]
	v_mov_b32_e32 v3, s14
	s_and_saveexec_b64 s[12:13], s[10:11]
.LBB44_99:
	v_lshrrev_b32_e32 v3, 24, v20
	s_movk_i32 s10, 0x80
	v_and_or_b32 v3, v3, s10, v24
	v_lshlrev_b32_e32 v3, 16, v3
.LBB44_100:
	s_or_b64 exec, exec, s[12:13]
.LBB44_101:
	s_or_b64 exec, exec, s[2:3]
	v_cvt_f32_f16_e32 v15, v15
	v_mul_f32_e32 v9, v9, v15
	v_max_f32_e32 v9, v9, v10
	v_min_f32_e32 v9, v9, v11
	v_and_b32_e32 v10, 0x7fffffff, v9
	v_cmp_gt_u32_e32 vcc, s9, v10
	v_bfrev_b32_e32 v11, 1
	s_and_saveexec_b64 s[2:3], vcc
	s_cbranch_execz .LBB44_107
; %bb.102:
	s_mov_b32 s9, 0x3bffffff
	v_cmp_lt_u32_e32 vcc, s9, v10
	s_mov_b64 s[10:11], 0
                                        ; implicit-def: $vgpr10
	s_and_saveexec_b64 s[12:13], vcc
	s_xor_b64 s[12:13], exec, s[12:13]
	s_cbranch_execnz .LBB44_141
; %bb.103:
	s_or_saveexec_b64 s[12:13], s[12:13]
                                        ; implicit-def: $sgpr9
	s_xor_b64 exec, exec, s[12:13]
	s_cbranch_execnz .LBB44_142
.LBB44_104:
	s_or_b64 exec, exec, s[12:13]
	v_mov_b32_e32 v11, s9
	s_and_saveexec_b64 s[12:13], s[10:11]
.LBB44_105:
	v_lshlrev_b32_e32 v10, 24, v10
	s_brev_b32 s9, 1
	v_and_or_b32 v11, v9, s9, v10
.LBB44_106:
	s_or_b64 exec, exec, s[12:13]
.LBB44_107:
	s_or_b64 exec, exec, s[2:3]
	v_lshlrev_b32_e32 v0, 8, v0
	s_mov_b32 s2, 0xc0c0500
	v_perm_b32 v0, v0, v22, s2
	v_or3_b32 v10, v1, v0, v18
	v_lshlrev_b32_e32 v0, 8, v6
	v_perm_b32 v0, v0, v21, s2
	v_lshlrev_b32_e32 v1, 16, v23
	s_mov_b32 s3, 0xff0000
	v_and_or_b32 v0, v1, s3, v0
	v_lshl_or_b32 v9, v7, 24, v0
	v_lshlrev_b32_e32 v0, 8, v4
	v_perm_b32 v0, v0, v8, s2
	v_lshlrev_b32_e32 v1, 16, v19
	v_or_b32_e32 v2, v17, v2
	v_and_or_b32 v0, v1, s3, v0
	v_lshl_or_b32 v8, v5, 24, v0
	v_or3_b32 v11, v3, v2, v11
	s_or_b64 s[6:7], s[6:7], exec
.LBB44_108:
	s_or_b64 exec, exec, s[0:1]
	s_and_b64 exec, exec, s[6:7]
	s_cbranch_execz .LBB44_110
; %bb.109:
	s_load_dwordx2 s[0:1], s[4:5], 0x8
	v_alignbit_b32 v0, v16, v12, 25
	s_ashr_i32 s2, s8, 31
	v_lshlrev_b32_e32 v2, 7, v12
	v_mul_lo_u32 v4, v0, s8
	s_waitcnt lgkmcnt(0)
	v_pk_mov_b32 v[0:1], s[0:1], s[0:1] op_sel:[0,1]
	v_mul_lo_u32 v3, v2, s2
	v_mad_u64_u32 v[0:1], s[0:1], v2, s8, v[0:1]
	v_add3_u32 v1, v4, v1, v3
	v_ashrrev_i32_e32 v2, 31, v14
	v_add_co_u32_e32 v0, vcc, v0, v14
	v_addc_co_u32_e32 v1, vcc, v1, v2, vcc
	v_lshlrev_b32_e32 v2, 4, v13
	v_add_co_u32_e32 v0, vcc, v0, v2
	v_addc_co_u32_e32 v1, vcc, 0, v1, vcc
	global_store_dwordx4 v[0:1], v[8:11], off
.LBB44_110:
	s_endpgm
.LBB44_111:
	v_bfe_u32 v8, v24, 20, 1
	s_mov_b32 s14, 0x487ffff
	v_add3_u32 v8, v24, v8, s14
	s_mov_b64 s[10:11], exec
	v_lshrrev_b32_e32 v25, 20, v8
	s_or_saveexec_b64 s[12:13], s[12:13]
                                        ; implicit-def: $sgpr14
	s_xor_b64 exec, exec, s[12:13]
	s_cbranch_execz .LBB44_14
.LBB44_112:
	s_mov_b32 s14, 0x46000000
	v_add_f32_e64 v8, |v24|, s14
	v_and_b32_e32 v25, 0xff, v8
	v_cmp_ne_u32_e32 vcc, 0, v25
	s_andn2_b64 s[10:11], s[10:11], exec
	s_and_b64 s[16:17], vcc, exec
	s_mov_b32 s14, 0
	s_or_b64 s[10:11], s[10:11], s[16:17]
	s_or_b64 exec, exec, s[12:13]
	v_mov_b32_e32 v8, s14
	s_and_saveexec_b64 s[12:13], s[10:11]
	s_cbranch_execnz .LBB44_15
	s_branch .LBB44_16
.LBB44_113:
	v_bfe_u32 v4, v19, 20, 1
	s_mov_b32 s9, 0x487ffff
	v_add3_u32 v4, v19, v4, s9
	s_mov_b64 s[10:11], exec
	v_lshrrev_b32_e32 v24, 20, v4
	s_or_saveexec_b64 s[12:13], s[12:13]
                                        ; implicit-def: $sgpr9
	s_xor_b64 exec, exec, s[12:13]
	s_cbranch_execz .LBB44_20
.LBB44_114:
	s_mov_b32 s9, 0x46000000
	v_add_f32_e64 v4, |v19|, s9
	v_and_b32_e32 v24, 0xff, v4
	v_cmp_ne_u32_e32 vcc, 0, v24
	s_andn2_b64 s[10:11], s[10:11], exec
	s_and_b64 s[14:15], vcc, exec
	s_mov_b32 s9, 0
	s_or_b64 s[10:11], s[10:11], s[14:15]
	s_or_b64 exec, exec, s[12:13]
	v_mov_b32_e32 v4, s9
	s_and_saveexec_b64 s[12:13], s[10:11]
	s_cbranch_execnz .LBB44_21
	s_branch .LBB44_22
.LBB44_115:
	v_bfe_u32 v19, v24, 20, 1
	s_mov_b32 s14, 0x487ffff
	v_add3_u32 v19, v24, v19, s14
	s_mov_b64 s[10:11], exec
	v_lshrrev_b32_e32 v25, 20, v19
	s_or_saveexec_b64 s[12:13], s[12:13]
                                        ; implicit-def: $sgpr14
	s_xor_b64 exec, exec, s[12:13]
	s_cbranch_execz .LBB44_26
.LBB44_116:
	s_mov_b32 s14, 0x46000000
	v_add_f32_e64 v19, |v24|, s14
	v_and_b32_e32 v25, 0xff, v19
	v_cmp_ne_u32_e32 vcc, 0, v25
	s_andn2_b64 s[10:11], s[10:11], exec
	s_and_b64 s[16:17], vcc, exec
	s_mov_b32 s14, 0
	s_or_b64 s[10:11], s[10:11], s[16:17]
	s_or_b64 exec, exec, s[12:13]
	v_mov_b32_e32 v19, s14
	s_and_saveexec_b64 s[12:13], s[10:11]
	s_cbranch_execnz .LBB44_27
	s_branch .LBB44_28
.LBB44_117:
	v_bfe_u32 v5, v21, 20, 1
	s_mov_b32 s9, 0x487ffff
	v_add3_u32 v5, v21, v5, s9
	s_mov_b64 s[10:11], exec
	v_lshrrev_b32_e32 v24, 20, v5
	s_or_saveexec_b64 s[12:13], s[12:13]
                                        ; implicit-def: $sgpr9
	s_xor_b64 exec, exec, s[12:13]
	s_cbranch_execz .LBB44_32
.LBB44_118:
	s_mov_b32 s9, 0x46000000
	v_add_f32_e64 v5, |v21|, s9
	v_and_b32_e32 v24, 0xff, v5
	v_cmp_ne_u32_e32 vcc, 0, v24
	s_andn2_b64 s[10:11], s[10:11], exec
	s_and_b64 s[14:15], vcc, exec
	s_mov_b32 s9, 0
	s_or_b64 s[10:11], s[10:11], s[14:15]
	s_or_b64 exec, exec, s[12:13]
	v_mov_b32_e32 v5, s9
	s_and_saveexec_b64 s[12:13], s[10:11]
	s_cbranch_execnz .LBB44_33
	s_branch .LBB44_34
.LBB44_119:
	v_bfe_u32 v21, v24, 20, 1
	s_mov_b32 s14, 0x487ffff
	v_add3_u32 v21, v24, v21, s14
	s_mov_b64 s[10:11], exec
	v_lshrrev_b32_e32 v25, 20, v21
	s_or_saveexec_b64 s[12:13], s[12:13]
                                        ; implicit-def: $sgpr14
	s_xor_b64 exec, exec, s[12:13]
	s_cbranch_execz .LBB44_38
.LBB44_120:
	s_mov_b32 s14, 0x46000000
	v_add_f32_e64 v21, |v24|, s14
	v_and_b32_e32 v25, 0xff, v21
	v_cmp_ne_u32_e32 vcc, 0, v25
	s_andn2_b64 s[10:11], s[10:11], exec
	s_and_b64 s[16:17], vcc, exec
	s_mov_b32 s14, 0
	s_or_b64 s[10:11], s[10:11], s[16:17]
	s_or_b64 exec, exec, s[12:13]
	v_mov_b32_e32 v21, s14
	s_and_saveexec_b64 s[12:13], s[10:11]
	s_cbranch_execnz .LBB44_39
	s_branch .LBB44_40
.LBB44_121:
	v_bfe_u32 v6, v23, 20, 1
	s_mov_b32 s9, 0x487ffff
	v_add3_u32 v6, v23, v6, s9
	s_mov_b64 s[10:11], exec
	v_lshrrev_b32_e32 v24, 20, v6
	s_or_saveexec_b64 s[12:13], s[12:13]
                                        ; implicit-def: $sgpr9
	s_xor_b64 exec, exec, s[12:13]
	s_cbranch_execz .LBB44_44
.LBB44_122:
	s_mov_b32 s9, 0x46000000
	v_add_f32_e64 v6, |v23|, s9
	v_and_b32_e32 v24, 0xff, v6
	v_cmp_ne_u32_e32 vcc, 0, v24
	s_andn2_b64 s[10:11], s[10:11], exec
	s_and_b64 s[14:15], vcc, exec
	s_mov_b32 s9, 0
	s_or_b64 s[10:11], s[10:11], s[14:15]
	s_or_b64 exec, exec, s[12:13]
	v_mov_b32_e32 v6, s9
	s_and_saveexec_b64 s[12:13], s[10:11]
	s_cbranch_execnz .LBB44_45
	s_branch .LBB44_46
.LBB44_123:
	v_bfe_u32 v23, v24, 20, 1
	s_mov_b32 s14, 0x487ffff
	v_add3_u32 v23, v24, v23, s14
	s_mov_b64 s[10:11], exec
	v_lshrrev_b32_e32 v25, 20, v23
	s_or_saveexec_b64 s[12:13], s[12:13]
                                        ; implicit-def: $sgpr14
	s_xor_b64 exec, exec, s[12:13]
	s_cbranch_execz .LBB44_50
.LBB44_124:
	s_mov_b32 s14, 0x46000000
	v_add_f32_e64 v23, |v24|, s14
	v_and_b32_e32 v25, 0xff, v23
	v_cmp_ne_u32_e32 vcc, 0, v25
	s_andn2_b64 s[10:11], s[10:11], exec
	s_and_b64 s[16:17], vcc, exec
	s_mov_b32 s14, 0
	s_or_b64 s[10:11], s[10:11], s[16:17]
	s_or_b64 exec, exec, s[12:13]
	v_mov_b32_e32 v23, s14
	s_and_saveexec_b64 s[12:13], s[10:11]
	s_cbranch_execnz .LBB44_51
	s_branch .LBB44_52
.LBB44_125:
	v_bfe_u32 v7, v22, 20, 1
	s_mov_b32 s9, 0x487ffff
	v_add3_u32 v7, v22, v7, s9
	s_mov_b64 s[10:11], exec
	v_lshrrev_b32_e32 v24, 20, v7
	s_or_saveexec_b64 s[12:13], s[12:13]
                                        ; implicit-def: $sgpr9
	s_xor_b64 exec, exec, s[12:13]
	s_cbranch_execz .LBB44_56
.LBB44_126:
	s_mov_b32 s9, 0x46000000
	v_add_f32_e64 v7, |v22|, s9
	v_and_b32_e32 v24, 0xff, v7
	v_cmp_ne_u32_e32 vcc, 0, v24
	s_andn2_b64 s[10:11], s[10:11], exec
	s_and_b64 s[14:15], vcc, exec
	s_mov_b32 s9, 0
	s_or_b64 s[10:11], s[10:11], s[14:15]
	s_or_b64 exec, exec, s[12:13]
	v_mov_b32_e32 v7, s9
	s_and_saveexec_b64 s[12:13], s[10:11]
	s_cbranch_execnz .LBB44_57
	s_branch .LBB44_58
.LBB44_127:
	v_bfe_u32 v22, v24, 20, 1
	s_mov_b32 s14, 0x487ffff
	v_add3_u32 v22, v24, v22, s14
	s_mov_b64 s[10:11], exec
	v_lshrrev_b32_e32 v25, 20, v22
	s_or_saveexec_b64 s[12:13], s[12:13]
                                        ; implicit-def: $sgpr14
	s_xor_b64 exec, exec, s[12:13]
	s_cbranch_execz .LBB44_62
.LBB44_128:
	s_mov_b32 s14, 0x46000000
	v_add_f32_e64 v22, |v24|, s14
	v_and_b32_e32 v25, 0xff, v22
	v_cmp_ne_u32_e32 vcc, 0, v25
	s_andn2_b64 s[10:11], s[10:11], exec
	s_and_b64 s[16:17], vcc, exec
	s_mov_b32 s14, 0
	s_or_b64 s[10:11], s[10:11], s[16:17]
	s_or_b64 exec, exec, s[12:13]
	v_mov_b32_e32 v22, s14
	s_and_saveexec_b64 s[12:13], s[10:11]
	s_cbranch_execnz .LBB44_63
	s_branch .LBB44_64
.LBB44_129:
	v_bfe_u32 v0, v20, 20, 1
	s_mov_b32 s9, 0x487ffff
	v_add3_u32 v0, v20, v0, s9
	s_mov_b64 s[10:11], exec
	v_lshrrev_b32_e32 v24, 20, v0
	s_or_saveexec_b64 s[12:13], s[12:13]
                                        ; implicit-def: $sgpr9
	s_xor_b64 exec, exec, s[12:13]
	s_cbranch_execz .LBB44_68
.LBB44_130:
	s_mov_b32 s9, 0x46000000
	v_add_f32_e64 v0, |v20|, s9
	v_and_b32_e32 v24, 0xff, v0
	v_cmp_ne_u32_e32 vcc, 0, v24
	s_andn2_b64 s[10:11], s[10:11], exec
	s_and_b64 s[14:15], vcc, exec
	s_mov_b32 s9, 0
	s_or_b64 s[10:11], s[10:11], s[14:15]
	s_or_b64 exec, exec, s[12:13]
	v_mov_b32_e32 v0, s9
	s_and_saveexec_b64 s[12:13], s[10:11]
	s_cbranch_execnz .LBB44_69
	s_branch .LBB44_70
.LBB44_131:
	v_bfe_u32 v1, v20, 20, 1
	s_mov_b32 s14, 0x487ffff
	v_add3_u32 v1, v20, v1, s14
	s_mov_b64 s[10:11], exec
	v_lshrrev_b32_e32 v24, 20, v1
	s_or_saveexec_b64 s[12:13], s[12:13]
                                        ; implicit-def: $sgpr14
	s_xor_b64 exec, exec, s[12:13]
	s_cbranch_execz .LBB44_74
.LBB44_132:
	s_mov_b32 s14, 0x46000000
	v_add_f32_e64 v1, |v20|, s14
	v_and_b32_e32 v24, 0xff, v1
	v_cmp_ne_u32_e32 vcc, 0, v24
	s_andn2_b64 s[10:11], s[10:11], exec
	s_and_b64 s[16:17], vcc, exec
	s_mov_b32 s14, 0
	s_or_b64 s[10:11], s[10:11], s[16:17]
	s_or_b64 exec, exec, s[12:13]
	v_mov_b32_e32 v1, s14
	s_and_saveexec_b64 s[12:13], s[10:11]
	s_cbranch_execnz .LBB44_75
	s_branch .LBB44_76
.LBB44_133:
	v_bfe_u32 v18, v20, 20, 1
	s_mov_b32 s9, 0x487ffff
	v_add3_u32 v18, v20, v18, s9
	s_mov_b64 s[10:11], exec
	v_lshrrev_b32_e32 v24, 20, v18
	s_or_saveexec_b64 s[12:13], s[12:13]
                                        ; implicit-def: $sgpr9
	s_xor_b64 exec, exec, s[12:13]
	s_cbranch_execz .LBB44_80
.LBB44_134:
	s_mov_b32 s9, 0x46000000
	v_add_f32_e64 v18, |v20|, s9
	v_and_b32_e32 v24, 0xff, v18
	v_cmp_ne_u32_e32 vcc, 0, v24
	s_andn2_b64 s[10:11], s[10:11], exec
	s_and_b64 s[14:15], vcc, exec
	s_mov_b32 s9, 0
	s_or_b64 s[10:11], s[10:11], s[14:15]
	s_or_b64 exec, exec, s[12:13]
	v_mov_b32_e32 v18, s9
	s_and_saveexec_b64 s[12:13], s[10:11]
	s_cbranch_execnz .LBB44_81
	s_branch .LBB44_82
.LBB44_135:
	v_bfe_u32 v2, v20, 20, 1
	s_mov_b32 s14, 0x487ffff
	v_add3_u32 v2, v20, v2, s14
	s_mov_b64 s[10:11], exec
	v_bfe_u32 v24, v2, 20, 8
	s_or_saveexec_b64 s[12:13], s[12:13]
                                        ; implicit-def: $sgpr14
	s_xor_b64 exec, exec, s[12:13]
	s_cbranch_execz .LBB44_86
.LBB44_136:
	s_mov_b32 s14, 0x46000000
	v_add_f32_e64 v2, |v20|, s14
	v_and_b32_e32 v24, 0xff, v2
	v_cmp_ne_u32_e32 vcc, 0, v24
	s_andn2_b64 s[10:11], s[10:11], exec
	s_and_b64 s[16:17], vcc, exec
	s_mov_b32 s14, 0
	s_or_b64 s[10:11], s[10:11], s[16:17]
	s_or_b64 exec, exec, s[12:13]
	v_mov_b32_e32 v2, s14
	s_and_saveexec_b64 s[12:13], s[10:11]
	s_cbranch_execnz .LBB44_87
	s_branch .LBB44_88
.LBB44_137:
	v_bfe_u32 v17, v20, 20, 1
	s_mov_b32 s9, 0x487ffff
	v_add3_u32 v17, v20, v17, s9
	s_mov_b64 s[10:11], exec
	v_bfe_u32 v24, v17, 20, 8
	s_or_saveexec_b64 s[12:13], s[12:13]
                                        ; implicit-def: $sgpr9
	s_xor_b64 exec, exec, s[12:13]
	s_cbranch_execz .LBB44_92
.LBB44_138:
	s_mov_b32 s9, 0x46000000
	v_add_f32_e64 v17, |v20|, s9
	v_and_b32_e32 v24, 0xff, v17
	v_cmp_ne_u32_e32 vcc, 0, v24
	s_andn2_b64 s[10:11], s[10:11], exec
	s_and_b64 s[14:15], vcc, exec
	s_mov_b32 s9, 0
	s_or_b64 s[10:11], s[10:11], s[14:15]
	s_or_b64 exec, exec, s[12:13]
	v_mov_b32_e32 v17, s9
	s_and_saveexec_b64 s[12:13], s[10:11]
	s_cbranch_execnz .LBB44_93
	s_branch .LBB44_94
.LBB44_139:
	v_bfe_u32 v3, v20, 20, 1
	s_mov_b32 s14, 0x487ffff
	v_add3_u32 v3, v20, v3, s14
	s_mov_b64 s[10:11], exec
	v_bfe_u32 v24, v3, 20, 8
	s_or_saveexec_b64 s[12:13], s[12:13]
                                        ; implicit-def: $sgpr14
	s_xor_b64 exec, exec, s[12:13]
	s_cbranch_execz .LBB44_98
.LBB44_140:
	s_mov_b32 s14, 0x46000000
	v_add_f32_e64 v3, |v20|, s14
	v_and_b32_e32 v24, 0xff, v3
	v_cmp_ne_u32_e32 vcc, 0, v24
	s_andn2_b64 s[10:11], s[10:11], exec
	s_and_b64 s[16:17], vcc, exec
	s_mov_b32 s14, 0
	s_or_b64 s[10:11], s[10:11], s[16:17]
	s_or_b64 exec, exec, s[12:13]
	v_mov_b32_e32 v3, s14
	s_and_saveexec_b64 s[12:13], s[10:11]
	s_cbranch_execnz .LBB44_99
	s_branch .LBB44_100
.LBB44_141:
	v_bfe_u32 v10, v9, 20, 1
	s_mov_b32 s9, 0x487ffff
	v_add3_u32 v10, v9, v10, s9
	s_mov_b64 s[10:11], exec
	v_bfe_u32 v10, v10, 20, 8
	s_or_saveexec_b64 s[12:13], s[12:13]
                                        ; implicit-def: $sgpr9
	s_xor_b64 exec, exec, s[12:13]
	s_cbranch_execz .LBB44_104
.LBB44_142:
	s_mov_b32 s9, 0x46000000
	v_add_f32_e64 v10, |v9|, s9
	v_and_b32_e32 v10, 0xff, v10
	v_cmp_ne_u32_e32 vcc, 0, v10
	s_andn2_b64 s[10:11], s[10:11], exec
	s_and_b64 s[14:15], vcc, exec
	s_mov_b32 s9, 0
	s_or_b64 s[10:11], s[10:11], s[14:15]
	s_or_b64 exec, exec, s[12:13]
	v_mov_b32_e32 v11, s9
	s_and_saveexec_b64 s[12:13], s[10:11]
	s_cbranch_execnz .LBB44_105
	s_branch .LBB44_106
	.section	.rodata,"a",@progbits
	.p2align	6, 0x0
	.amdhsa_kernel _Z49per_token_group_quant_8bit_packed_register_kernelIN3c104HalfENS0_15Float8_e4m3fnuzELi128ELi4ELi4EEvPKT_PvPjiiiiilfff
		.amdhsa_group_segment_fixed_size 0
		.amdhsa_private_segment_fixed_size 0
		.amdhsa_kernarg_size 68
		.amdhsa_user_sgpr_count 6
		.amdhsa_user_sgpr_private_segment_buffer 1
		.amdhsa_user_sgpr_dispatch_ptr 0
		.amdhsa_user_sgpr_queue_ptr 0
		.amdhsa_user_sgpr_kernarg_segment_ptr 1
		.amdhsa_user_sgpr_dispatch_id 0
		.amdhsa_user_sgpr_flat_scratch_init 0
		.amdhsa_user_sgpr_kernarg_preload_length 0
		.amdhsa_user_sgpr_kernarg_preload_offset 0
		.amdhsa_user_sgpr_private_segment_size 0
		.amdhsa_uses_dynamic_stack 0
		.amdhsa_system_sgpr_private_segment_wavefront_offset 0
		.amdhsa_system_sgpr_workgroup_id_x 1
		.amdhsa_system_sgpr_workgroup_id_y 1
		.amdhsa_system_sgpr_workgroup_id_z 0
		.amdhsa_system_sgpr_workgroup_info 0
		.amdhsa_system_vgpr_workitem_id 0
		.amdhsa_next_free_vgpr 36
		.amdhsa_next_free_sgpr 24
		.amdhsa_accum_offset 36
		.amdhsa_reserve_vcc 1
		.amdhsa_reserve_flat_scratch 0
		.amdhsa_float_round_mode_32 0
		.amdhsa_float_round_mode_16_64 0
		.amdhsa_float_denorm_mode_32 3
		.amdhsa_float_denorm_mode_16_64 3
		.amdhsa_dx10_clamp 1
		.amdhsa_ieee_mode 1
		.amdhsa_fp16_overflow 0
		.amdhsa_tg_split 0
		.amdhsa_exception_fp_ieee_invalid_op 0
		.amdhsa_exception_fp_denorm_src 0
		.amdhsa_exception_fp_ieee_div_zero 0
		.amdhsa_exception_fp_ieee_overflow 0
		.amdhsa_exception_fp_ieee_underflow 0
		.amdhsa_exception_fp_ieee_inexact 0
		.amdhsa_exception_int_div_zero 0
	.end_amdhsa_kernel
	.section	.text._Z49per_token_group_quant_8bit_packed_register_kernelIN3c104HalfENS0_15Float8_e4m3fnuzELi128ELi4ELi4EEvPKT_PvPjiiiiilfff,"axG",@progbits,_Z49per_token_group_quant_8bit_packed_register_kernelIN3c104HalfENS0_15Float8_e4m3fnuzELi128ELi4ELi4EEvPKT_PvPjiiiiilfff,comdat
.Lfunc_end44:
	.size	_Z49per_token_group_quant_8bit_packed_register_kernelIN3c104HalfENS0_15Float8_e4m3fnuzELi128ELi4ELi4EEvPKT_PvPjiiiiilfff, .Lfunc_end44-_Z49per_token_group_quant_8bit_packed_register_kernelIN3c104HalfENS0_15Float8_e4m3fnuzELi128ELi4ELi4EEvPKT_PvPjiiiiilfff
                                        ; -- End function
	.section	.AMDGPU.csdata,"",@progbits
; Kernel info:
; codeLenInByte = 4992
; NumSgprs: 28
; NumVgprs: 36
; NumAgprs: 0
; TotalNumVgprs: 36
; ScratchSize: 0
; MemoryBound: 0
; FloatMode: 240
; IeeeMode: 1
; LDSByteSize: 0 bytes/workgroup (compile time only)
; SGPRBlocks: 3
; VGPRBlocks: 4
; NumSGPRsForWavesPerEU: 28
; NumVGPRsForWavesPerEU: 36
; AccumOffset: 36
; Occupancy: 8
; WaveLimiterHint : 0
; COMPUTE_PGM_RSRC2:SCRATCH_EN: 0
; COMPUTE_PGM_RSRC2:USER_SGPR: 6
; COMPUTE_PGM_RSRC2:TRAP_HANDLER: 0
; COMPUTE_PGM_RSRC2:TGID_X_EN: 1
; COMPUTE_PGM_RSRC2:TGID_Y_EN: 1
; COMPUTE_PGM_RSRC2:TGID_Z_EN: 0
; COMPUTE_PGM_RSRC2:TIDIG_COMP_CNT: 0
; COMPUTE_PGM_RSRC3_GFX90A:ACCUM_OFFSET: 8
; COMPUTE_PGM_RSRC3_GFX90A:TG_SPLIT: 0
	.section	.text._Z49per_token_group_quant_8bit_packed_register_kernelIN3c108BFloat16EaLi128ELi16ELi1EEvPKT_PvPjiiiiilfff,"axG",@progbits,_Z49per_token_group_quant_8bit_packed_register_kernelIN3c108BFloat16EaLi128ELi16ELi1EEvPKT_PvPjiiiiilfff,comdat
	.protected	_Z49per_token_group_quant_8bit_packed_register_kernelIN3c108BFloat16EaLi128ELi16ELi1EEvPKT_PvPjiiiiilfff ; -- Begin function _Z49per_token_group_quant_8bit_packed_register_kernelIN3c108BFloat16EaLi128ELi16ELi1EEvPKT_PvPjiiiiilfff
	.globl	_Z49per_token_group_quant_8bit_packed_register_kernelIN3c108BFloat16EaLi128ELi16ELi1EEvPKT_PvPjiiiiilfff
	.p2align	8
	.type	_Z49per_token_group_quant_8bit_packed_register_kernelIN3c108BFloat16EaLi128ELi16ELi1EEvPKT_PvPjiiiiilfff,@function
_Z49per_token_group_quant_8bit_packed_register_kernelIN3c108BFloat16EaLi128ELi16ELi1EEvPKT_PvPjiiiiilfff: ; @_Z49per_token_group_quant_8bit_packed_register_kernelIN3c108BFloat16EaLi128ELi16ELi1EEvPKT_PvPjiiiiilfff
; %bb.0:
	s_load_dwordx4 s[8:11], s[4:5], 0x1c
	v_lshrrev_b32_e32 v1, 7, v0
	v_add_u32_e32 v4, s7, v1
	s_waitcnt lgkmcnt(0)
	v_cmp_gt_i32_e32 vcc, s11, v4
	s_and_saveexec_b64 s[0:1], vcc
	s_cbranch_execz .LBB45_14
; %bb.1:
	s_load_dwordx4 s[12:15], s[4:5], 0x38
	v_lshrrev_b32_e32 v1, 3, v0
	s_lshl_b32 s0, s6, 4
	v_and_or_b32 v2, v1, 15, s0
	v_cmp_gt_i32_e64 s[2:3], s9, v4
	v_cmp_gt_i32_e64 s[0:1], s8, v2
	v_and_b32_e32 v5, 7, v0
	s_and_b64 s[6:7], s[2:3], s[0:1]
	s_waitcnt lgkmcnt(0)
	v_mov_b32_e32 v0, s12
	v_mov_b32_e32 v7, 0
	v_ashrrev_i32_e32 v8, 31, v4
	v_lshlrev_b32_e32 v6, 7, v2
	v_mov_b32_e32 v9, 0
	v_mov_b32_e32 v11, 0
	;; [unrolled: 1-line block ×15, first 2 shown]
	s_and_saveexec_b64 s[16:17], s[6:7]
	s_cbranch_execz .LBB45_3
; %bb.2:
	s_load_dwordx2 s[18:19], s[4:5], 0x0
	v_alignbit_b32 v0, v8, v4, 24
	s_ashr_i32 s9, s8, 31
	v_lshlrev_b32_e32 v3, 8, v4
	v_mul_lo_u32 v9, v0, s8
	s_waitcnt lgkmcnt(0)
	v_pk_mov_b32 v[0:1], s[18:19], s[18:19] op_sel:[0,1]
	v_mul_lo_u32 v7, v3, s9
	v_mad_u64_u32 v[0:1], s[18:19], v3, s8, v[0:1]
	v_add3_u32 v1, v9, v1, v7
	v_ashrrev_i32_e32 v7, 31, v6
	v_lshlrev_b64 v[10:11], 1, v[6:7]
	v_add_co_u32_e32 v0, vcc, v0, v10
	v_addc_co_u32_e32 v1, vcc, v1, v11, vcc
	v_lshlrev_b32_e32 v3, 5, v5
	v_add_co_u32_e32 v0, vcc, v0, v3
	v_addc_co_u32_e32 v1, vcc, 0, v1, vcc
	global_load_dwordx4 v[10:13], v[0:1], off
	global_load_dwordx4 v[24:27], v[0:1], off offset:16
	s_waitcnt vmcnt(1)
	v_lshlrev_b32_e32 v23, 16, v10
	v_and_b32_e32 v22, 0xffff0000, v10
	v_lshlrev_b32_e32 v21, 16, v11
	v_and_b32_e32 v20, 0xffff0000, v11
	v_max3_f32 v0, s12, |v23|, |v22|
	v_lshlrev_b32_e32 v19, 16, v12
	v_and_b32_e32 v18, 0xffff0000, v12
	v_max3_f32 v0, v0, |v21|, |v20|
	;; [unrolled: 3-line block ×3, first 2 shown]
	s_waitcnt vmcnt(0)
	v_lshlrev_b32_e32 v15, 16, v24
	v_and_b32_e32 v14, 0xffff0000, v24
	v_max3_f32 v0, v0, |v17|, |v16|
	v_lshlrev_b32_e32 v13, 16, v25
	v_and_b32_e32 v12, 0xffff0000, v25
	v_max3_f32 v0, v0, |v15|, |v14|
	;; [unrolled: 3-line block ×3, first 2 shown]
	v_lshlrev_b32_e32 v7, 16, v27
	v_max3_f32 v0, v0, |v11|, |v10|
	v_and_b32_e32 v9, 0xffff0000, v27
	v_max3_f32 v0, v0, |v7|, |v9|
.LBB45_3:
	s_or_b64 exec, exec, s[16:17]
	v_mbcnt_lo_u32_b32 v1, -1, 0
	v_mbcnt_hi_u32_b32 v1, -1, v1
	v_and_b32_e32 v24, 0x78, v1
	v_xor_b32_e32 v3, 4, v1
	v_add_u32_e32 v24, 8, v24
	v_cmp_lt_i32_e32 vcc, v3, v24
	v_cndmask_b32_e32 v3, v1, v3, vcc
	v_lshlrev_b32_e32 v3, 2, v3
	ds_bpermute_b32 v3, v3, v0
	v_xor_b32_e32 v25, 2, v1
	v_max_f32_e32 v0, v0, v0
	v_cmp_lt_i32_e32 vcc, v25, v24
	s_waitcnt lgkmcnt(0)
	v_max_f32_e32 v3, v3, v3
	v_max_f32_e32 v0, v0, v3
	v_cndmask_b32_e32 v3, v1, v25, vcc
	v_lshlrev_b32_e32 v3, 2, v3
	ds_bpermute_b32 v3, v3, v0
	v_xor_b32_e32 v25, 1, v1
	v_cmp_lt_i32_e32 vcc, v25, v24
	v_cndmask_b32_e32 v1, v1, v25, vcc
	v_lshlrev_b32_e32 v1, 2, v1
	s_waitcnt lgkmcnt(0)
	v_max_f32_e32 v3, v3, v3
	v_max_f32_e32 v0, v0, v3
	ds_bpermute_b32 v1, v1, v0
	s_waitcnt lgkmcnt(0)
	v_max_f32_e32 v1, v1, v1
	v_max_f32_e32 v0, v0, v1
	v_div_scale_f32 v1, s[16:17], s14, s14, v0
	v_rcp_f32_e32 v3, v1
	v_div_scale_f32 v24, vcc, v0, s14, v0
	s_xor_b64 s[16:17], s[6:7], -1
	v_fma_f32 v25, -v1, v3, 1.0
	v_fmac_f32_e32 v3, v25, v3
	v_mul_f32_e32 v25, v24, v3
	v_fma_f32 v26, -v1, v25, v24
	v_fmac_f32_e32 v25, v26, v3
	v_fma_f32 v1, -v1, v25, v24
	v_div_fmas_f32 v1, v1, v3, v25
	v_div_fixup_f32 v0, v1, s14, v0
	v_max_f32_e32 v0, 0x2edbe6ff, v0
	v_lshrrev_b32_e32 v1, 23, v0
	v_and_b32_e32 v0, 0x7fffff, v0
	v_cmp_ne_u32_e32 vcc, 0, v0
	v_addc_co_u32_e32 v24, vcc, 0, v1, vcc
	v_cmp_eq_u32_e32 vcc, 0, v5
	s_and_saveexec_b64 s[18:19], vcc
	s_cbranch_execz .LBB45_8
; %bb.4:
	v_ashrrev_i32_e32 v0, 31, v2
	v_lshrrev_b32_e32 v0, 30, v0
	v_add_u32_e32 v0, v2, v0
	v_ashrrev_i32_e32 v3, 2, v0
	v_mad_u64_u32 v[0:1], s[20:21], v3, s11, v[4:5]
	v_mov_b32_e32 v25, v24
	s_and_saveexec_b64 s[20:21], s[16:17]
	s_cbranch_execz .LBB45_6
; %bb.5:
	s_load_dwordx2 s[22:23], s[4:5], 0x30
	v_ashrrev_i32_e32 v1, 31, v0
	s_andn2_b64 s[6:7], s[6:7], exec
	v_mov_b32_e32 v25, 0
	s_waitcnt lgkmcnt(0)
	v_cmp_gt_i64_e32 vcc, s[22:23], v[0:1]
	s_and_b64 s[22:23], vcc, exec
	s_or_b64 s[6:7], s[6:7], s[22:23]
.LBB45_6:
	s_or_b64 exec, exec, s[20:21]
	s_and_b64 exec, exec, s[6:7]
	s_cbranch_execz .LBB45_8
; %bb.7:
	s_load_dwordx2 s[6:7], s[4:5], 0x10
	v_lshlrev_b32_e32 v1, 2, v3
	v_sub_u32_e32 v1, v2, v1
	v_lshl_add_u32 v0, v0, 2, v1
	v_ashrrev_i32_e32 v1, 31, v0
	s_waitcnt lgkmcnt(0)
	v_mov_b32_e32 v2, s7
	v_add_co_u32_e32 v0, vcc, s6, v0
	v_addc_co_u32_e32 v1, vcc, v2, v1, vcc
	global_store_byte v[0:1], v25, off
.LBB45_8:
	s_or_b64 exec, exec, s[18:19]
	s_mov_b64 s[6:7], 0
                                        ; implicit-def: $sgpr9
	s_and_saveexec_b64 s[18:19], s[16:17]
	s_xor_b64 s[16:17], exec, s[18:19]
; %bb.9:
	s_xor_b64 s[2:3], s[2:3], -1
	v_cmp_gt_i32_e32 vcc, s10, v4
	s_and_b64 s[2:3], vcc, s[2:3]
	s_and_b64 s[0:1], s[0:1], s[2:3]
	s_mov_b32 s9, 0
	s_and_b64 s[6:7], s[0:1], exec
                                        ; implicit-def: $vgpr7
                                        ; implicit-def: $vgpr9
                                        ; implicit-def: $vgpr11
                                        ; implicit-def: $vgpr10
                                        ; implicit-def: $vgpr13
                                        ; implicit-def: $vgpr12
                                        ; implicit-def: $vgpr15
                                        ; implicit-def: $vgpr14
                                        ; implicit-def: $vgpr17
                                        ; implicit-def: $vgpr16
                                        ; implicit-def: $vgpr19
                                        ; implicit-def: $vgpr18
                                        ; implicit-def: $vgpr21
                                        ; implicit-def: $vgpr20
                                        ; implicit-def: $vgpr23
                                        ; implicit-def: $vgpr22
                                        ; implicit-def: $vgpr24
; %bb.10:
	s_or_saveexec_b64 s[0:1], s[16:17]
	v_mov_b32_e32 v3, s9
	v_mov_b32_e32 v2, s9
	;; [unrolled: 1-line block ×4, first 2 shown]
	s_xor_b64 exec, exec, s[0:1]
	s_cbranch_execz .LBB45_12
; %bb.11:
	v_lshlrev_b32_e32 v0, 23, v24
	v_and_b32_e32 v0, 0x7f800000, v0
	v_div_scale_f32 v1, s[2:3], v0, v0, 1.0
	v_rcp_f32_e32 v2, v1
	v_div_scale_f32 v3, vcc, 1.0, v0, 1.0
	s_mov_b32 s2, 0x6050400
	v_fma_f32 v24, -v1, v2, 1.0
	v_fmac_f32_e32 v2, v24, v2
	v_mul_f32_e32 v24, v3, v2
	v_fma_f32 v25, -v1, v24, v3
	v_fmac_f32_e32 v24, v25, v2
	v_fma_f32 v1, -v1, v24, v3
	v_div_fmas_f32 v1, v1, v2, v24
	v_div_fixup_f32 v3, v1, v0, 1.0
	v_mul_f32_e32 v0, v3, v23
	v_max_f32_e64 v23, s13, s13
	v_mul_f32_e32 v1, v3, v22
	v_max_f32_e64 v24, s14, s14
	v_max_f32_e32 v1, v1, v23
	v_mul_f32_e32 v2, v3, v21
	v_min_f32_e32 v1, v1, v24
	v_max_f32_e32 v0, v0, v23
	v_max_f32_e32 v2, v2, v23
	v_cvt_i32_f32_e32 v1, v1
	v_min_f32_e32 v0, v0, v24
	v_min_f32_e32 v2, v2, v24
	v_cvt_i32_f32_e32 v0, v0
	v_cvt_i32_f32_e32 v2, v2
	v_and_b32_e32 v1, 0xff, v1
	v_mul_f32_e32 v17, v3, v17
	v_perm_b32 v0, v1, v0, s2
	v_and_b32_e32 v1, 0xff, v2
	v_mul_f32_e32 v2, v3, v18
	v_lshl_or_b32 v0, v1, 16, v0
	v_mul_f32_e32 v1, v3, v19
	v_max_f32_e32 v2, v2, v23
	v_min_f32_e32 v2, v2, v24
	v_max_f32_e32 v1, v1, v23
	v_max_f32_e32 v17, v17, v23
	v_cvt_i32_f32_e32 v2, v2
	v_min_f32_e32 v1, v1, v24
	v_min_f32_e32 v17, v17, v24
	v_cvt_i32_f32_e32 v1, v1
	v_cvt_i32_f32_e32 v17, v17
	v_and_b32_e32 v2, 0xff, v2
	v_mul_f32_e32 v14, v3, v14
	v_perm_b32 v1, v2, v1, s2
	v_and_b32_e32 v2, 0xff, v17
	v_mul_f32_e32 v10, v3, v10
	v_lshl_or_b32 v1, v2, 16, v1
	v_mul_f32_e32 v2, v3, v15
	v_max_f32_e32 v14, v14, v23
	v_mul_f32_e32 v13, v3, v13
	v_mul_f32_e32 v11, v3, v11
	v_max_f32_e32 v10, v10, v23
	v_mul_f32_e32 v7, v3, v7
	v_min_f32_e32 v14, v14, v24
	v_max_f32_e32 v2, v2, v23
	v_max_f32_e32 v13, v13, v23
	v_min_f32_e32 v10, v10, v24
	v_max_f32_e32 v11, v11, v23
	v_max_f32_e32 v7, v7, v23
	v_mul_f32_e32 v20, v3, v20
	v_mul_f32_e32 v16, v3, v16
	v_cvt_i32_f32_e32 v14, v14
	v_min_f32_e32 v2, v2, v24
	v_min_f32_e32 v13, v13, v24
	v_mul_f32_e32 v12, v3, v12
	v_cvt_i32_f32_e32 v10, v10
	v_min_f32_e32 v11, v11, v24
	v_min_f32_e32 v7, v7, v24
	v_mul_f32_e32 v3, v3, v9
	v_max_f32_e32 v20, v20, v23
	v_max_f32_e32 v16, v16, v23
	v_cvt_i32_f32_e32 v2, v2
	v_cvt_i32_f32_e32 v13, v13
	v_max_f32_e32 v12, v12, v23
	v_cvt_i32_f32_e32 v11, v11
	v_cvt_i32_f32_e32 v7, v7
	v_max_f32_e32 v3, v3, v23
	v_min_f32_e32 v20, v20, v24
	v_min_f32_e32 v16, v16, v24
	;; [unrolled: 1-line block ×4, first 2 shown]
	v_cvt_i32_f32_e32 v20, v20
	v_cvt_i32_f32_e32 v16, v16
	;; [unrolled: 1-line block ×4, first 2 shown]
	v_and_b32_e32 v14, 0xff, v14
	v_and_b32_e32 v10, 0xff, v10
	v_perm_b32 v2, v14, v2, s2
	v_and_b32_e32 v13, 0xff, v13
	v_perm_b32 v9, v10, v11, s2
	v_and_b32_e32 v7, 0xff, v7
	v_lshl_or_b32 v2, v13, 16, v2
	v_lshl_or_b32 v7, v7, 16, v9
	;; [unrolled: 1-line block ×6, first 2 shown]
	s_or_b64 s[6:7], s[6:7], exec
.LBB45_12:
	s_or_b64 exec, exec, s[0:1]
	s_and_b64 exec, exec, s[6:7]
	s_cbranch_execz .LBB45_14
; %bb.13:
	s_load_dwordx2 s[0:1], s[4:5], 0x8
	s_ashr_i32 s2, s8, 31
	v_lshlrev_b32_e32 v7, 7, v4
	v_alignbit_b32 v4, v8, v4, 25
	v_mul_lo_u32 v10, v7, s2
	s_waitcnt lgkmcnt(0)
	v_pk_mov_b32 v[8:9], s[0:1], s[0:1] op_sel:[0,1]
	v_mul_lo_u32 v4, v4, s8
	v_mad_u64_u32 v[8:9], s[0:1], v7, s8, v[8:9]
	v_add3_u32 v4, v4, v9, v10
	v_ashrrev_i32_e32 v7, 31, v6
	v_add_co_u32_e32 v6, vcc, v8, v6
	v_addc_co_u32_e32 v7, vcc, v4, v7, vcc
	v_lshlrev_b32_e32 v4, 4, v5
	v_add_co_u32_e32 v4, vcc, v6, v4
	v_addc_co_u32_e32 v5, vcc, 0, v7, vcc
	global_store_dwordx4 v[4:5], v[0:3], off
.LBB45_14:
	s_endpgm
	.section	.rodata,"a",@progbits
	.p2align	6, 0x0
	.amdhsa_kernel _Z49per_token_group_quant_8bit_packed_register_kernelIN3c108BFloat16EaLi128ELi16ELi1EEvPKT_PvPjiiiiilfff
		.amdhsa_group_segment_fixed_size 0
		.amdhsa_private_segment_fixed_size 0
		.amdhsa_kernarg_size 68
		.amdhsa_user_sgpr_count 6
		.amdhsa_user_sgpr_private_segment_buffer 1
		.amdhsa_user_sgpr_dispatch_ptr 0
		.amdhsa_user_sgpr_queue_ptr 0
		.amdhsa_user_sgpr_kernarg_segment_ptr 1
		.amdhsa_user_sgpr_dispatch_id 0
		.amdhsa_user_sgpr_flat_scratch_init 0
		.amdhsa_user_sgpr_kernarg_preload_length 0
		.amdhsa_user_sgpr_kernarg_preload_offset 0
		.amdhsa_user_sgpr_private_segment_size 0
		.amdhsa_uses_dynamic_stack 0
		.amdhsa_system_sgpr_private_segment_wavefront_offset 0
		.amdhsa_system_sgpr_workgroup_id_x 1
		.amdhsa_system_sgpr_workgroup_id_y 1
		.amdhsa_system_sgpr_workgroup_id_z 0
		.amdhsa_system_sgpr_workgroup_info 0
		.amdhsa_system_vgpr_workitem_id 0
		.amdhsa_next_free_vgpr 28
		.amdhsa_next_free_sgpr 24
		.amdhsa_accum_offset 28
		.amdhsa_reserve_vcc 1
		.amdhsa_reserve_flat_scratch 0
		.amdhsa_float_round_mode_32 0
		.amdhsa_float_round_mode_16_64 0
		.amdhsa_float_denorm_mode_32 3
		.amdhsa_float_denorm_mode_16_64 3
		.amdhsa_dx10_clamp 1
		.amdhsa_ieee_mode 1
		.amdhsa_fp16_overflow 0
		.amdhsa_tg_split 0
		.amdhsa_exception_fp_ieee_invalid_op 0
		.amdhsa_exception_fp_denorm_src 0
		.amdhsa_exception_fp_ieee_div_zero 0
		.amdhsa_exception_fp_ieee_overflow 0
		.amdhsa_exception_fp_ieee_underflow 0
		.amdhsa_exception_fp_ieee_inexact 0
		.amdhsa_exception_int_div_zero 0
	.end_amdhsa_kernel
	.section	.text._Z49per_token_group_quant_8bit_packed_register_kernelIN3c108BFloat16EaLi128ELi16ELi1EEvPKT_PvPjiiiiilfff,"axG",@progbits,_Z49per_token_group_quant_8bit_packed_register_kernelIN3c108BFloat16EaLi128ELi16ELi1EEvPKT_PvPjiiiiilfff,comdat
.Lfunc_end45:
	.size	_Z49per_token_group_quant_8bit_packed_register_kernelIN3c108BFloat16EaLi128ELi16ELi1EEvPKT_PvPjiiiiilfff, .Lfunc_end45-_Z49per_token_group_quant_8bit_packed_register_kernelIN3c108BFloat16EaLi128ELi16ELi1EEvPKT_PvPjiiiiilfff
                                        ; -- End function
	.section	.AMDGPU.csdata,"",@progbits
; Kernel info:
; codeLenInByte = 1560
; NumSgprs: 28
; NumVgprs: 28
; NumAgprs: 0
; TotalNumVgprs: 28
; ScratchSize: 0
; MemoryBound: 0
; FloatMode: 240
; IeeeMode: 1
; LDSByteSize: 0 bytes/workgroup (compile time only)
; SGPRBlocks: 3
; VGPRBlocks: 3
; NumSGPRsForWavesPerEU: 28
; NumVGPRsForWavesPerEU: 28
; AccumOffset: 28
; Occupancy: 8
; WaveLimiterHint : 0
; COMPUTE_PGM_RSRC2:SCRATCH_EN: 0
; COMPUTE_PGM_RSRC2:USER_SGPR: 6
; COMPUTE_PGM_RSRC2:TRAP_HANDLER: 0
; COMPUTE_PGM_RSRC2:TGID_X_EN: 1
; COMPUTE_PGM_RSRC2:TGID_Y_EN: 1
; COMPUTE_PGM_RSRC2:TGID_Z_EN: 0
; COMPUTE_PGM_RSRC2:TIDIG_COMP_CNT: 0
; COMPUTE_PGM_RSRC3_GFX90A:ACCUM_OFFSET: 6
; COMPUTE_PGM_RSRC3_GFX90A:TG_SPLIT: 0
	.section	.text._Z49per_token_group_quant_8bit_packed_register_kernelIN3c108BFloat16EaLi128ELi8ELi2EEvPKT_PvPjiiiiilfff,"axG",@progbits,_Z49per_token_group_quant_8bit_packed_register_kernelIN3c108BFloat16EaLi128ELi8ELi2EEvPKT_PvPjiiiiilfff,comdat
	.protected	_Z49per_token_group_quant_8bit_packed_register_kernelIN3c108BFloat16EaLi128ELi8ELi2EEvPKT_PvPjiiiiilfff ; -- Begin function _Z49per_token_group_quant_8bit_packed_register_kernelIN3c108BFloat16EaLi128ELi8ELi2EEvPKT_PvPjiiiiilfff
	.globl	_Z49per_token_group_quant_8bit_packed_register_kernelIN3c108BFloat16EaLi128ELi8ELi2EEvPKT_PvPjiiiiilfff
	.p2align	8
	.type	_Z49per_token_group_quant_8bit_packed_register_kernelIN3c108BFloat16EaLi128ELi8ELi2EEvPKT_PvPjiiiiilfff,@function
_Z49per_token_group_quant_8bit_packed_register_kernelIN3c108BFloat16EaLi128ELi8ELi2EEvPKT_PvPjiiiiilfff: ; @_Z49per_token_group_quant_8bit_packed_register_kernelIN3c108BFloat16EaLi128ELi8ELi2EEvPKT_PvPjiiiiilfff
; %bb.0:
	s_load_dwordx4 s[8:11], s[4:5], 0x1c
	v_lshrrev_b32_e32 v1, 6, v0
	v_lshl_add_u32 v4, s7, 1, v1
	s_waitcnt lgkmcnt(0)
	v_cmp_gt_i32_e32 vcc, s11, v4
	s_and_saveexec_b64 s[0:1], vcc
	s_cbranch_execz .LBB46_14
; %bb.1:
	s_load_dwordx4 s[12:15], s[4:5], 0x38
	v_lshrrev_b32_e32 v1, 3, v0
	s_lshl_b32 s0, s6, 3
	v_and_or_b32 v2, v1, 7, s0
	v_cmp_gt_i32_e64 s[2:3], s9, v4
	v_cmp_gt_i32_e64 s[0:1], s8, v2
	v_and_b32_e32 v5, 7, v0
	s_and_b64 s[6:7], s[2:3], s[0:1]
	s_waitcnt lgkmcnt(0)
	v_mov_b32_e32 v0, s12
	v_mov_b32_e32 v7, 0
	v_ashrrev_i32_e32 v8, 31, v4
	v_lshlrev_b32_e32 v6, 7, v2
	v_mov_b32_e32 v9, 0
	v_mov_b32_e32 v11, 0
	;; [unrolled: 1-line block ×15, first 2 shown]
	s_and_saveexec_b64 s[16:17], s[6:7]
	s_cbranch_execz .LBB46_3
; %bb.2:
	s_load_dwordx2 s[18:19], s[4:5], 0x0
	v_alignbit_b32 v0, v8, v4, 24
	s_ashr_i32 s9, s8, 31
	v_lshlrev_b32_e32 v3, 8, v4
	v_mul_lo_u32 v9, v0, s8
	s_waitcnt lgkmcnt(0)
	v_pk_mov_b32 v[0:1], s[18:19], s[18:19] op_sel:[0,1]
	v_mul_lo_u32 v7, v3, s9
	v_mad_u64_u32 v[0:1], s[18:19], v3, s8, v[0:1]
	v_add3_u32 v1, v9, v1, v7
	v_ashrrev_i32_e32 v7, 31, v6
	v_lshlrev_b64 v[10:11], 1, v[6:7]
	v_add_co_u32_e32 v0, vcc, v0, v10
	v_addc_co_u32_e32 v1, vcc, v1, v11, vcc
	v_lshlrev_b32_e32 v3, 5, v5
	v_add_co_u32_e32 v0, vcc, v0, v3
	v_addc_co_u32_e32 v1, vcc, 0, v1, vcc
	global_load_dwordx4 v[10:13], v[0:1], off
	global_load_dwordx4 v[24:27], v[0:1], off offset:16
	s_waitcnt vmcnt(1)
	v_lshlrev_b32_e32 v23, 16, v10
	v_and_b32_e32 v22, 0xffff0000, v10
	v_lshlrev_b32_e32 v21, 16, v11
	v_and_b32_e32 v20, 0xffff0000, v11
	v_max3_f32 v0, s12, |v23|, |v22|
	v_lshlrev_b32_e32 v19, 16, v12
	v_and_b32_e32 v18, 0xffff0000, v12
	v_max3_f32 v0, v0, |v21|, |v20|
	;; [unrolled: 3-line block ×3, first 2 shown]
	s_waitcnt vmcnt(0)
	v_lshlrev_b32_e32 v15, 16, v24
	v_and_b32_e32 v14, 0xffff0000, v24
	v_max3_f32 v0, v0, |v17|, |v16|
	v_lshlrev_b32_e32 v13, 16, v25
	v_and_b32_e32 v12, 0xffff0000, v25
	v_max3_f32 v0, v0, |v15|, |v14|
	;; [unrolled: 3-line block ×3, first 2 shown]
	v_lshlrev_b32_e32 v7, 16, v27
	v_max3_f32 v0, v0, |v11|, |v10|
	v_and_b32_e32 v9, 0xffff0000, v27
	v_max3_f32 v0, v0, |v7|, |v9|
.LBB46_3:
	s_or_b64 exec, exec, s[16:17]
	v_mbcnt_lo_u32_b32 v1, -1, 0
	v_mbcnt_hi_u32_b32 v1, -1, v1
	v_and_b32_e32 v24, 0x78, v1
	v_xor_b32_e32 v3, 4, v1
	v_add_u32_e32 v24, 8, v24
	v_cmp_lt_i32_e32 vcc, v3, v24
	v_cndmask_b32_e32 v3, v1, v3, vcc
	v_lshlrev_b32_e32 v3, 2, v3
	ds_bpermute_b32 v3, v3, v0
	v_xor_b32_e32 v25, 2, v1
	v_max_f32_e32 v0, v0, v0
	v_cmp_lt_i32_e32 vcc, v25, v24
	s_waitcnt lgkmcnt(0)
	v_max_f32_e32 v3, v3, v3
	v_max_f32_e32 v0, v0, v3
	v_cndmask_b32_e32 v3, v1, v25, vcc
	v_lshlrev_b32_e32 v3, 2, v3
	ds_bpermute_b32 v3, v3, v0
	v_xor_b32_e32 v25, 1, v1
	v_cmp_lt_i32_e32 vcc, v25, v24
	v_cndmask_b32_e32 v1, v1, v25, vcc
	v_lshlrev_b32_e32 v1, 2, v1
	s_waitcnt lgkmcnt(0)
	v_max_f32_e32 v3, v3, v3
	v_max_f32_e32 v0, v0, v3
	ds_bpermute_b32 v1, v1, v0
	s_waitcnt lgkmcnt(0)
	v_max_f32_e32 v1, v1, v1
	v_max_f32_e32 v0, v0, v1
	v_div_scale_f32 v1, s[16:17], s14, s14, v0
	v_rcp_f32_e32 v3, v1
	v_div_scale_f32 v24, vcc, v0, s14, v0
	s_xor_b64 s[16:17], s[6:7], -1
	v_fma_f32 v25, -v1, v3, 1.0
	v_fmac_f32_e32 v3, v25, v3
	v_mul_f32_e32 v25, v24, v3
	v_fma_f32 v26, -v1, v25, v24
	v_fmac_f32_e32 v25, v26, v3
	v_fma_f32 v1, -v1, v25, v24
	v_div_fmas_f32 v1, v1, v3, v25
	v_div_fixup_f32 v0, v1, s14, v0
	v_max_f32_e32 v0, 0x2edbe6ff, v0
	v_lshrrev_b32_e32 v1, 23, v0
	v_and_b32_e32 v0, 0x7fffff, v0
	v_cmp_ne_u32_e32 vcc, 0, v0
	v_addc_co_u32_e32 v24, vcc, 0, v1, vcc
	v_cmp_eq_u32_e32 vcc, 0, v5
	s_and_saveexec_b64 s[18:19], vcc
	s_cbranch_execz .LBB46_8
; %bb.4:
	v_ashrrev_i32_e32 v0, 31, v2
	v_lshrrev_b32_e32 v0, 30, v0
	v_add_u32_e32 v0, v2, v0
	v_ashrrev_i32_e32 v3, 2, v0
	v_mad_u64_u32 v[0:1], s[20:21], v3, s11, v[4:5]
	v_mov_b32_e32 v25, v24
	s_and_saveexec_b64 s[20:21], s[16:17]
	s_cbranch_execz .LBB46_6
; %bb.5:
	s_load_dwordx2 s[22:23], s[4:5], 0x30
	v_ashrrev_i32_e32 v1, 31, v0
	s_andn2_b64 s[6:7], s[6:7], exec
	v_mov_b32_e32 v25, 0
	s_waitcnt lgkmcnt(0)
	v_cmp_gt_i64_e32 vcc, s[22:23], v[0:1]
	s_and_b64 s[22:23], vcc, exec
	s_or_b64 s[6:7], s[6:7], s[22:23]
.LBB46_6:
	s_or_b64 exec, exec, s[20:21]
	s_and_b64 exec, exec, s[6:7]
	s_cbranch_execz .LBB46_8
; %bb.7:
	s_load_dwordx2 s[6:7], s[4:5], 0x10
	v_lshlrev_b32_e32 v1, 2, v3
	v_sub_u32_e32 v1, v2, v1
	v_lshl_add_u32 v0, v0, 2, v1
	v_ashrrev_i32_e32 v1, 31, v0
	s_waitcnt lgkmcnt(0)
	v_mov_b32_e32 v2, s7
	v_add_co_u32_e32 v0, vcc, s6, v0
	v_addc_co_u32_e32 v1, vcc, v2, v1, vcc
	global_store_byte v[0:1], v25, off
.LBB46_8:
	s_or_b64 exec, exec, s[18:19]
	s_mov_b64 s[6:7], 0
                                        ; implicit-def: $sgpr9
	s_and_saveexec_b64 s[18:19], s[16:17]
	s_xor_b64 s[16:17], exec, s[18:19]
; %bb.9:
	s_xor_b64 s[2:3], s[2:3], -1
	v_cmp_gt_i32_e32 vcc, s10, v4
	s_and_b64 s[2:3], vcc, s[2:3]
	s_and_b64 s[0:1], s[0:1], s[2:3]
	s_mov_b32 s9, 0
	s_and_b64 s[6:7], s[0:1], exec
                                        ; implicit-def: $vgpr7
                                        ; implicit-def: $vgpr9
                                        ; implicit-def: $vgpr11
                                        ; implicit-def: $vgpr10
                                        ; implicit-def: $vgpr13
                                        ; implicit-def: $vgpr12
                                        ; implicit-def: $vgpr15
                                        ; implicit-def: $vgpr14
                                        ; implicit-def: $vgpr17
                                        ; implicit-def: $vgpr16
                                        ; implicit-def: $vgpr19
                                        ; implicit-def: $vgpr18
                                        ; implicit-def: $vgpr21
                                        ; implicit-def: $vgpr20
                                        ; implicit-def: $vgpr23
                                        ; implicit-def: $vgpr22
                                        ; implicit-def: $vgpr24
; %bb.10:
	s_or_saveexec_b64 s[0:1], s[16:17]
	v_mov_b32_e32 v3, s9
	v_mov_b32_e32 v2, s9
	;; [unrolled: 1-line block ×4, first 2 shown]
	s_xor_b64 exec, exec, s[0:1]
	s_cbranch_execz .LBB46_12
; %bb.11:
	v_lshlrev_b32_e32 v0, 23, v24
	v_and_b32_e32 v0, 0x7f800000, v0
	v_div_scale_f32 v1, s[2:3], v0, v0, 1.0
	v_rcp_f32_e32 v2, v1
	v_div_scale_f32 v3, vcc, 1.0, v0, 1.0
	s_mov_b32 s2, 0x6050400
	v_fma_f32 v24, -v1, v2, 1.0
	v_fmac_f32_e32 v2, v24, v2
	v_mul_f32_e32 v24, v3, v2
	v_fma_f32 v25, -v1, v24, v3
	v_fmac_f32_e32 v24, v25, v2
	v_fma_f32 v1, -v1, v24, v3
	v_div_fmas_f32 v1, v1, v2, v24
	v_div_fixup_f32 v3, v1, v0, 1.0
	v_mul_f32_e32 v0, v3, v23
	v_max_f32_e64 v23, s13, s13
	v_mul_f32_e32 v1, v3, v22
	v_max_f32_e64 v24, s14, s14
	v_max_f32_e32 v1, v1, v23
	v_mul_f32_e32 v2, v3, v21
	v_min_f32_e32 v1, v1, v24
	v_max_f32_e32 v0, v0, v23
	v_max_f32_e32 v2, v2, v23
	v_cvt_i32_f32_e32 v1, v1
	v_min_f32_e32 v0, v0, v24
	v_min_f32_e32 v2, v2, v24
	v_cvt_i32_f32_e32 v0, v0
	v_cvt_i32_f32_e32 v2, v2
	v_and_b32_e32 v1, 0xff, v1
	v_mul_f32_e32 v17, v3, v17
	v_perm_b32 v0, v1, v0, s2
	v_and_b32_e32 v1, 0xff, v2
	v_mul_f32_e32 v2, v3, v18
	v_lshl_or_b32 v0, v1, 16, v0
	v_mul_f32_e32 v1, v3, v19
	v_max_f32_e32 v2, v2, v23
	v_min_f32_e32 v2, v2, v24
	v_max_f32_e32 v1, v1, v23
	v_max_f32_e32 v17, v17, v23
	v_cvt_i32_f32_e32 v2, v2
	v_min_f32_e32 v1, v1, v24
	v_min_f32_e32 v17, v17, v24
	v_cvt_i32_f32_e32 v1, v1
	v_cvt_i32_f32_e32 v17, v17
	v_and_b32_e32 v2, 0xff, v2
	v_mul_f32_e32 v14, v3, v14
	v_perm_b32 v1, v2, v1, s2
	v_and_b32_e32 v2, 0xff, v17
	v_mul_f32_e32 v10, v3, v10
	v_lshl_or_b32 v1, v2, 16, v1
	v_mul_f32_e32 v2, v3, v15
	v_max_f32_e32 v14, v14, v23
	v_mul_f32_e32 v13, v3, v13
	v_mul_f32_e32 v11, v3, v11
	v_max_f32_e32 v10, v10, v23
	v_mul_f32_e32 v7, v3, v7
	v_min_f32_e32 v14, v14, v24
	v_max_f32_e32 v2, v2, v23
	v_max_f32_e32 v13, v13, v23
	v_min_f32_e32 v10, v10, v24
	v_max_f32_e32 v11, v11, v23
	v_max_f32_e32 v7, v7, v23
	v_mul_f32_e32 v20, v3, v20
	v_mul_f32_e32 v16, v3, v16
	v_cvt_i32_f32_e32 v14, v14
	v_min_f32_e32 v2, v2, v24
	v_min_f32_e32 v13, v13, v24
	v_mul_f32_e32 v12, v3, v12
	v_cvt_i32_f32_e32 v10, v10
	v_min_f32_e32 v11, v11, v24
	v_min_f32_e32 v7, v7, v24
	v_mul_f32_e32 v3, v3, v9
	v_max_f32_e32 v20, v20, v23
	v_max_f32_e32 v16, v16, v23
	v_cvt_i32_f32_e32 v2, v2
	v_cvt_i32_f32_e32 v13, v13
	v_max_f32_e32 v12, v12, v23
	v_cvt_i32_f32_e32 v11, v11
	v_cvt_i32_f32_e32 v7, v7
	v_max_f32_e32 v3, v3, v23
	v_min_f32_e32 v20, v20, v24
	v_min_f32_e32 v16, v16, v24
	;; [unrolled: 1-line block ×4, first 2 shown]
	v_cvt_i32_f32_e32 v20, v20
	v_cvt_i32_f32_e32 v16, v16
	;; [unrolled: 1-line block ×4, first 2 shown]
	v_and_b32_e32 v14, 0xff, v14
	v_and_b32_e32 v10, 0xff, v10
	v_perm_b32 v2, v14, v2, s2
	v_and_b32_e32 v13, 0xff, v13
	v_perm_b32 v9, v10, v11, s2
	v_and_b32_e32 v7, 0xff, v7
	v_lshl_or_b32 v2, v13, 16, v2
	v_lshl_or_b32 v7, v7, 16, v9
	;; [unrolled: 1-line block ×6, first 2 shown]
	s_or_b64 s[6:7], s[6:7], exec
.LBB46_12:
	s_or_b64 exec, exec, s[0:1]
	s_and_b64 exec, exec, s[6:7]
	s_cbranch_execz .LBB46_14
; %bb.13:
	s_load_dwordx2 s[0:1], s[4:5], 0x8
	s_ashr_i32 s2, s8, 31
	v_lshlrev_b32_e32 v7, 7, v4
	v_alignbit_b32 v4, v8, v4, 25
	v_mul_lo_u32 v10, v7, s2
	s_waitcnt lgkmcnt(0)
	v_pk_mov_b32 v[8:9], s[0:1], s[0:1] op_sel:[0,1]
	v_mul_lo_u32 v4, v4, s8
	v_mad_u64_u32 v[8:9], s[0:1], v7, s8, v[8:9]
	v_add3_u32 v4, v4, v9, v10
	v_ashrrev_i32_e32 v7, 31, v6
	v_add_co_u32_e32 v6, vcc, v8, v6
	v_addc_co_u32_e32 v7, vcc, v4, v7, vcc
	v_lshlrev_b32_e32 v4, 4, v5
	v_add_co_u32_e32 v4, vcc, v6, v4
	v_addc_co_u32_e32 v5, vcc, 0, v7, vcc
	global_store_dwordx4 v[4:5], v[0:3], off
.LBB46_14:
	s_endpgm
	.section	.rodata,"a",@progbits
	.p2align	6, 0x0
	.amdhsa_kernel _Z49per_token_group_quant_8bit_packed_register_kernelIN3c108BFloat16EaLi128ELi8ELi2EEvPKT_PvPjiiiiilfff
		.amdhsa_group_segment_fixed_size 0
		.amdhsa_private_segment_fixed_size 0
		.amdhsa_kernarg_size 68
		.amdhsa_user_sgpr_count 6
		.amdhsa_user_sgpr_private_segment_buffer 1
		.amdhsa_user_sgpr_dispatch_ptr 0
		.amdhsa_user_sgpr_queue_ptr 0
		.amdhsa_user_sgpr_kernarg_segment_ptr 1
		.amdhsa_user_sgpr_dispatch_id 0
		.amdhsa_user_sgpr_flat_scratch_init 0
		.amdhsa_user_sgpr_kernarg_preload_length 0
		.amdhsa_user_sgpr_kernarg_preload_offset 0
		.amdhsa_user_sgpr_private_segment_size 0
		.amdhsa_uses_dynamic_stack 0
		.amdhsa_system_sgpr_private_segment_wavefront_offset 0
		.amdhsa_system_sgpr_workgroup_id_x 1
		.amdhsa_system_sgpr_workgroup_id_y 1
		.amdhsa_system_sgpr_workgroup_id_z 0
		.amdhsa_system_sgpr_workgroup_info 0
		.amdhsa_system_vgpr_workitem_id 0
		.amdhsa_next_free_vgpr 28
		.amdhsa_next_free_sgpr 24
		.amdhsa_accum_offset 28
		.amdhsa_reserve_vcc 1
		.amdhsa_reserve_flat_scratch 0
		.amdhsa_float_round_mode_32 0
		.amdhsa_float_round_mode_16_64 0
		.amdhsa_float_denorm_mode_32 3
		.amdhsa_float_denorm_mode_16_64 3
		.amdhsa_dx10_clamp 1
		.amdhsa_ieee_mode 1
		.amdhsa_fp16_overflow 0
		.amdhsa_tg_split 0
		.amdhsa_exception_fp_ieee_invalid_op 0
		.amdhsa_exception_fp_denorm_src 0
		.amdhsa_exception_fp_ieee_div_zero 0
		.amdhsa_exception_fp_ieee_overflow 0
		.amdhsa_exception_fp_ieee_underflow 0
		.amdhsa_exception_fp_ieee_inexact 0
		.amdhsa_exception_int_div_zero 0
	.end_amdhsa_kernel
	.section	.text._Z49per_token_group_quant_8bit_packed_register_kernelIN3c108BFloat16EaLi128ELi8ELi2EEvPKT_PvPjiiiiilfff,"axG",@progbits,_Z49per_token_group_quant_8bit_packed_register_kernelIN3c108BFloat16EaLi128ELi8ELi2EEvPKT_PvPjiiiiilfff,comdat
.Lfunc_end46:
	.size	_Z49per_token_group_quant_8bit_packed_register_kernelIN3c108BFloat16EaLi128ELi8ELi2EEvPKT_PvPjiiiiilfff, .Lfunc_end46-_Z49per_token_group_quant_8bit_packed_register_kernelIN3c108BFloat16EaLi128ELi8ELi2EEvPKT_PvPjiiiiilfff
                                        ; -- End function
	.section	.AMDGPU.csdata,"",@progbits
; Kernel info:
; codeLenInByte = 1564
; NumSgprs: 28
; NumVgprs: 28
; NumAgprs: 0
; TotalNumVgprs: 28
; ScratchSize: 0
; MemoryBound: 0
; FloatMode: 240
; IeeeMode: 1
; LDSByteSize: 0 bytes/workgroup (compile time only)
; SGPRBlocks: 3
; VGPRBlocks: 3
; NumSGPRsForWavesPerEU: 28
; NumVGPRsForWavesPerEU: 28
; AccumOffset: 28
; Occupancy: 8
; WaveLimiterHint : 0
; COMPUTE_PGM_RSRC2:SCRATCH_EN: 0
; COMPUTE_PGM_RSRC2:USER_SGPR: 6
; COMPUTE_PGM_RSRC2:TRAP_HANDLER: 0
; COMPUTE_PGM_RSRC2:TGID_X_EN: 1
; COMPUTE_PGM_RSRC2:TGID_Y_EN: 1
; COMPUTE_PGM_RSRC2:TGID_Z_EN: 0
; COMPUTE_PGM_RSRC2:TIDIG_COMP_CNT: 0
; COMPUTE_PGM_RSRC3_GFX90A:ACCUM_OFFSET: 6
; COMPUTE_PGM_RSRC3_GFX90A:TG_SPLIT: 0
	.section	.text._Z49per_token_group_quant_8bit_packed_register_kernelIN3c108BFloat16EaLi128ELi4ELi4EEvPKT_PvPjiiiiilfff,"axG",@progbits,_Z49per_token_group_quant_8bit_packed_register_kernelIN3c108BFloat16EaLi128ELi4ELi4EEvPKT_PvPjiiiiilfff,comdat
	.protected	_Z49per_token_group_quant_8bit_packed_register_kernelIN3c108BFloat16EaLi128ELi4ELi4EEvPKT_PvPjiiiiilfff ; -- Begin function _Z49per_token_group_quant_8bit_packed_register_kernelIN3c108BFloat16EaLi128ELi4ELi4EEvPKT_PvPjiiiiilfff
	.globl	_Z49per_token_group_quant_8bit_packed_register_kernelIN3c108BFloat16EaLi128ELi4ELi4EEvPKT_PvPjiiiiilfff
	.p2align	8
	.type	_Z49per_token_group_quant_8bit_packed_register_kernelIN3c108BFloat16EaLi128ELi4ELi4EEvPKT_PvPjiiiiilfff,@function
_Z49per_token_group_quant_8bit_packed_register_kernelIN3c108BFloat16EaLi128ELi4ELi4EEvPKT_PvPjiiiiilfff: ; @_Z49per_token_group_quant_8bit_packed_register_kernelIN3c108BFloat16EaLi128ELi4ELi4EEvPKT_PvPjiiiiilfff
; %bb.0:
	s_load_dwordx4 s[8:11], s[4:5], 0x1c
	v_lshrrev_b32_e32 v1, 5, v0
	v_lshl_add_u32 v4, s7, 2, v1
	s_waitcnt lgkmcnt(0)
	v_cmp_gt_i32_e32 vcc, s11, v4
	s_and_saveexec_b64 s[0:1], vcc
	s_cbranch_execz .LBB47_14
; %bb.1:
	s_load_dwordx4 s[12:15], s[4:5], 0x38
	v_lshrrev_b32_e32 v1, 3, v0
	s_lshl_b32 s0, s6, 2
	v_and_or_b32 v2, v1, 3, s0
	v_cmp_gt_i32_e64 s[2:3], s9, v4
	v_cmp_gt_i32_e64 s[0:1], s8, v2
	v_and_b32_e32 v5, 7, v0
	s_and_b64 s[6:7], s[2:3], s[0:1]
	s_waitcnt lgkmcnt(0)
	v_mov_b32_e32 v0, s12
	v_mov_b32_e32 v7, 0
	v_ashrrev_i32_e32 v8, 31, v4
	v_lshlrev_b32_e32 v6, 7, v2
	v_mov_b32_e32 v9, 0
	v_mov_b32_e32 v11, 0
	;; [unrolled: 1-line block ×15, first 2 shown]
	s_and_saveexec_b64 s[16:17], s[6:7]
	s_cbranch_execz .LBB47_3
; %bb.2:
	s_load_dwordx2 s[18:19], s[4:5], 0x0
	v_alignbit_b32 v0, v8, v4, 24
	s_ashr_i32 s9, s8, 31
	v_lshlrev_b32_e32 v3, 8, v4
	v_mul_lo_u32 v9, v0, s8
	s_waitcnt lgkmcnt(0)
	v_pk_mov_b32 v[0:1], s[18:19], s[18:19] op_sel:[0,1]
	v_mul_lo_u32 v7, v3, s9
	v_mad_u64_u32 v[0:1], s[18:19], v3, s8, v[0:1]
	v_add3_u32 v1, v9, v1, v7
	v_ashrrev_i32_e32 v7, 31, v6
	v_lshlrev_b64 v[10:11], 1, v[6:7]
	v_add_co_u32_e32 v0, vcc, v0, v10
	v_addc_co_u32_e32 v1, vcc, v1, v11, vcc
	v_lshlrev_b32_e32 v3, 5, v5
	v_add_co_u32_e32 v0, vcc, v0, v3
	v_addc_co_u32_e32 v1, vcc, 0, v1, vcc
	global_load_dwordx4 v[10:13], v[0:1], off
	global_load_dwordx4 v[24:27], v[0:1], off offset:16
	s_waitcnt vmcnt(1)
	v_lshlrev_b32_e32 v23, 16, v10
	v_and_b32_e32 v22, 0xffff0000, v10
	v_lshlrev_b32_e32 v21, 16, v11
	v_and_b32_e32 v20, 0xffff0000, v11
	v_max3_f32 v0, s12, |v23|, |v22|
	v_lshlrev_b32_e32 v19, 16, v12
	v_and_b32_e32 v18, 0xffff0000, v12
	v_max3_f32 v0, v0, |v21|, |v20|
	;; [unrolled: 3-line block ×3, first 2 shown]
	s_waitcnt vmcnt(0)
	v_lshlrev_b32_e32 v15, 16, v24
	v_and_b32_e32 v14, 0xffff0000, v24
	v_max3_f32 v0, v0, |v17|, |v16|
	v_lshlrev_b32_e32 v13, 16, v25
	v_and_b32_e32 v12, 0xffff0000, v25
	v_max3_f32 v0, v0, |v15|, |v14|
	;; [unrolled: 3-line block ×3, first 2 shown]
	v_lshlrev_b32_e32 v7, 16, v27
	v_max3_f32 v0, v0, |v11|, |v10|
	v_and_b32_e32 v9, 0xffff0000, v27
	v_max3_f32 v0, v0, |v7|, |v9|
.LBB47_3:
	s_or_b64 exec, exec, s[16:17]
	v_mbcnt_lo_u32_b32 v1, -1, 0
	v_mbcnt_hi_u32_b32 v1, -1, v1
	v_and_b32_e32 v24, 0x78, v1
	v_xor_b32_e32 v3, 4, v1
	v_add_u32_e32 v24, 8, v24
	v_cmp_lt_i32_e32 vcc, v3, v24
	v_cndmask_b32_e32 v3, v1, v3, vcc
	v_lshlrev_b32_e32 v3, 2, v3
	ds_bpermute_b32 v3, v3, v0
	v_xor_b32_e32 v25, 2, v1
	v_max_f32_e32 v0, v0, v0
	v_cmp_lt_i32_e32 vcc, v25, v24
	s_waitcnt lgkmcnt(0)
	v_max_f32_e32 v3, v3, v3
	v_max_f32_e32 v0, v0, v3
	v_cndmask_b32_e32 v3, v1, v25, vcc
	v_lshlrev_b32_e32 v3, 2, v3
	ds_bpermute_b32 v3, v3, v0
	v_xor_b32_e32 v25, 1, v1
	v_cmp_lt_i32_e32 vcc, v25, v24
	v_cndmask_b32_e32 v1, v1, v25, vcc
	v_lshlrev_b32_e32 v1, 2, v1
	s_waitcnt lgkmcnt(0)
	v_max_f32_e32 v3, v3, v3
	v_max_f32_e32 v0, v0, v3
	ds_bpermute_b32 v1, v1, v0
	s_waitcnt lgkmcnt(0)
	v_max_f32_e32 v1, v1, v1
	v_max_f32_e32 v0, v0, v1
	v_div_scale_f32 v1, s[16:17], s14, s14, v0
	v_rcp_f32_e32 v3, v1
	v_div_scale_f32 v24, vcc, v0, s14, v0
	s_xor_b64 s[16:17], s[6:7], -1
	v_fma_f32 v25, -v1, v3, 1.0
	v_fmac_f32_e32 v3, v25, v3
	v_mul_f32_e32 v25, v24, v3
	v_fma_f32 v26, -v1, v25, v24
	v_fmac_f32_e32 v25, v26, v3
	v_fma_f32 v1, -v1, v25, v24
	v_div_fmas_f32 v1, v1, v3, v25
	v_div_fixup_f32 v0, v1, s14, v0
	v_max_f32_e32 v0, 0x2edbe6ff, v0
	v_lshrrev_b32_e32 v1, 23, v0
	v_and_b32_e32 v0, 0x7fffff, v0
	v_cmp_ne_u32_e32 vcc, 0, v0
	v_addc_co_u32_e32 v24, vcc, 0, v1, vcc
	v_cmp_eq_u32_e32 vcc, 0, v5
	s_and_saveexec_b64 s[18:19], vcc
	s_cbranch_execz .LBB47_8
; %bb.4:
	v_ashrrev_i32_e32 v0, 31, v2
	v_lshrrev_b32_e32 v0, 30, v0
	v_add_u32_e32 v0, v2, v0
	v_ashrrev_i32_e32 v3, 2, v0
	v_mad_u64_u32 v[0:1], s[20:21], v3, s11, v[4:5]
	v_mov_b32_e32 v25, v24
	s_and_saveexec_b64 s[20:21], s[16:17]
	s_cbranch_execz .LBB47_6
; %bb.5:
	s_load_dwordx2 s[22:23], s[4:5], 0x30
	v_ashrrev_i32_e32 v1, 31, v0
	s_andn2_b64 s[6:7], s[6:7], exec
	v_mov_b32_e32 v25, 0
	s_waitcnt lgkmcnt(0)
	v_cmp_gt_i64_e32 vcc, s[22:23], v[0:1]
	s_and_b64 s[22:23], vcc, exec
	s_or_b64 s[6:7], s[6:7], s[22:23]
.LBB47_6:
	s_or_b64 exec, exec, s[20:21]
	s_and_b64 exec, exec, s[6:7]
	s_cbranch_execz .LBB47_8
; %bb.7:
	s_load_dwordx2 s[6:7], s[4:5], 0x10
	v_lshlrev_b32_e32 v1, 2, v3
	v_sub_u32_e32 v1, v2, v1
	v_lshl_add_u32 v0, v0, 2, v1
	v_ashrrev_i32_e32 v1, 31, v0
	s_waitcnt lgkmcnt(0)
	v_mov_b32_e32 v2, s7
	v_add_co_u32_e32 v0, vcc, s6, v0
	v_addc_co_u32_e32 v1, vcc, v2, v1, vcc
	global_store_byte v[0:1], v25, off
.LBB47_8:
	s_or_b64 exec, exec, s[18:19]
	s_mov_b64 s[6:7], 0
                                        ; implicit-def: $sgpr9
	s_and_saveexec_b64 s[18:19], s[16:17]
	s_xor_b64 s[16:17], exec, s[18:19]
; %bb.9:
	s_xor_b64 s[2:3], s[2:3], -1
	v_cmp_gt_i32_e32 vcc, s10, v4
	s_and_b64 s[2:3], vcc, s[2:3]
	s_and_b64 s[0:1], s[0:1], s[2:3]
	s_mov_b32 s9, 0
	s_and_b64 s[6:7], s[0:1], exec
                                        ; implicit-def: $vgpr7
                                        ; implicit-def: $vgpr9
                                        ; implicit-def: $vgpr11
                                        ; implicit-def: $vgpr10
                                        ; implicit-def: $vgpr13
                                        ; implicit-def: $vgpr12
                                        ; implicit-def: $vgpr15
                                        ; implicit-def: $vgpr14
                                        ; implicit-def: $vgpr17
                                        ; implicit-def: $vgpr16
                                        ; implicit-def: $vgpr19
                                        ; implicit-def: $vgpr18
                                        ; implicit-def: $vgpr21
                                        ; implicit-def: $vgpr20
                                        ; implicit-def: $vgpr23
                                        ; implicit-def: $vgpr22
                                        ; implicit-def: $vgpr24
; %bb.10:
	s_or_saveexec_b64 s[0:1], s[16:17]
	v_mov_b32_e32 v3, s9
	v_mov_b32_e32 v2, s9
	;; [unrolled: 1-line block ×4, first 2 shown]
	s_xor_b64 exec, exec, s[0:1]
	s_cbranch_execz .LBB47_12
; %bb.11:
	v_lshlrev_b32_e32 v0, 23, v24
	v_and_b32_e32 v0, 0x7f800000, v0
	v_div_scale_f32 v1, s[2:3], v0, v0, 1.0
	v_rcp_f32_e32 v2, v1
	v_div_scale_f32 v3, vcc, 1.0, v0, 1.0
	s_mov_b32 s2, 0x6050400
	v_fma_f32 v24, -v1, v2, 1.0
	v_fmac_f32_e32 v2, v24, v2
	v_mul_f32_e32 v24, v3, v2
	v_fma_f32 v25, -v1, v24, v3
	v_fmac_f32_e32 v24, v25, v2
	v_fma_f32 v1, -v1, v24, v3
	v_div_fmas_f32 v1, v1, v2, v24
	v_div_fixup_f32 v3, v1, v0, 1.0
	v_mul_f32_e32 v0, v3, v23
	v_max_f32_e64 v23, s13, s13
	v_mul_f32_e32 v1, v3, v22
	v_max_f32_e64 v24, s14, s14
	v_max_f32_e32 v1, v1, v23
	v_mul_f32_e32 v2, v3, v21
	v_min_f32_e32 v1, v1, v24
	v_max_f32_e32 v0, v0, v23
	v_max_f32_e32 v2, v2, v23
	v_cvt_i32_f32_e32 v1, v1
	v_min_f32_e32 v0, v0, v24
	v_min_f32_e32 v2, v2, v24
	v_cvt_i32_f32_e32 v0, v0
	v_cvt_i32_f32_e32 v2, v2
	v_and_b32_e32 v1, 0xff, v1
	v_mul_f32_e32 v17, v3, v17
	v_perm_b32 v0, v1, v0, s2
	v_and_b32_e32 v1, 0xff, v2
	v_mul_f32_e32 v2, v3, v18
	v_lshl_or_b32 v0, v1, 16, v0
	v_mul_f32_e32 v1, v3, v19
	v_max_f32_e32 v2, v2, v23
	v_min_f32_e32 v2, v2, v24
	v_max_f32_e32 v1, v1, v23
	v_max_f32_e32 v17, v17, v23
	v_cvt_i32_f32_e32 v2, v2
	v_min_f32_e32 v1, v1, v24
	v_min_f32_e32 v17, v17, v24
	v_cvt_i32_f32_e32 v1, v1
	v_cvt_i32_f32_e32 v17, v17
	v_and_b32_e32 v2, 0xff, v2
	v_mul_f32_e32 v14, v3, v14
	v_perm_b32 v1, v2, v1, s2
	v_and_b32_e32 v2, 0xff, v17
	v_mul_f32_e32 v10, v3, v10
	v_lshl_or_b32 v1, v2, 16, v1
	v_mul_f32_e32 v2, v3, v15
	v_max_f32_e32 v14, v14, v23
	v_mul_f32_e32 v13, v3, v13
	v_mul_f32_e32 v11, v3, v11
	v_max_f32_e32 v10, v10, v23
	v_mul_f32_e32 v7, v3, v7
	v_min_f32_e32 v14, v14, v24
	v_max_f32_e32 v2, v2, v23
	v_max_f32_e32 v13, v13, v23
	v_min_f32_e32 v10, v10, v24
	v_max_f32_e32 v11, v11, v23
	v_max_f32_e32 v7, v7, v23
	v_mul_f32_e32 v20, v3, v20
	v_mul_f32_e32 v16, v3, v16
	v_cvt_i32_f32_e32 v14, v14
	v_min_f32_e32 v2, v2, v24
	v_min_f32_e32 v13, v13, v24
	v_mul_f32_e32 v12, v3, v12
	v_cvt_i32_f32_e32 v10, v10
	v_min_f32_e32 v11, v11, v24
	v_min_f32_e32 v7, v7, v24
	v_mul_f32_e32 v3, v3, v9
	v_max_f32_e32 v20, v20, v23
	v_max_f32_e32 v16, v16, v23
	v_cvt_i32_f32_e32 v2, v2
	v_cvt_i32_f32_e32 v13, v13
	v_max_f32_e32 v12, v12, v23
	v_cvt_i32_f32_e32 v11, v11
	v_cvt_i32_f32_e32 v7, v7
	v_max_f32_e32 v3, v3, v23
	v_min_f32_e32 v20, v20, v24
	v_min_f32_e32 v16, v16, v24
	;; [unrolled: 1-line block ×4, first 2 shown]
	v_cvt_i32_f32_e32 v20, v20
	v_cvt_i32_f32_e32 v16, v16
	;; [unrolled: 1-line block ×4, first 2 shown]
	v_and_b32_e32 v14, 0xff, v14
	v_and_b32_e32 v10, 0xff, v10
	v_perm_b32 v2, v14, v2, s2
	v_and_b32_e32 v13, 0xff, v13
	v_perm_b32 v9, v10, v11, s2
	v_and_b32_e32 v7, 0xff, v7
	v_lshl_or_b32 v2, v13, 16, v2
	v_lshl_or_b32 v7, v7, 16, v9
	;; [unrolled: 1-line block ×6, first 2 shown]
	s_or_b64 s[6:7], s[6:7], exec
.LBB47_12:
	s_or_b64 exec, exec, s[0:1]
	s_and_b64 exec, exec, s[6:7]
	s_cbranch_execz .LBB47_14
; %bb.13:
	s_load_dwordx2 s[0:1], s[4:5], 0x8
	s_ashr_i32 s2, s8, 31
	v_lshlrev_b32_e32 v7, 7, v4
	v_alignbit_b32 v4, v8, v4, 25
	v_mul_lo_u32 v10, v7, s2
	s_waitcnt lgkmcnt(0)
	v_pk_mov_b32 v[8:9], s[0:1], s[0:1] op_sel:[0,1]
	v_mul_lo_u32 v4, v4, s8
	v_mad_u64_u32 v[8:9], s[0:1], v7, s8, v[8:9]
	v_add3_u32 v4, v4, v9, v10
	v_ashrrev_i32_e32 v7, 31, v6
	v_add_co_u32_e32 v6, vcc, v8, v6
	v_addc_co_u32_e32 v7, vcc, v4, v7, vcc
	v_lshlrev_b32_e32 v4, 4, v5
	v_add_co_u32_e32 v4, vcc, v6, v4
	v_addc_co_u32_e32 v5, vcc, 0, v7, vcc
	global_store_dwordx4 v[4:5], v[0:3], off
.LBB47_14:
	s_endpgm
	.section	.rodata,"a",@progbits
	.p2align	6, 0x0
	.amdhsa_kernel _Z49per_token_group_quant_8bit_packed_register_kernelIN3c108BFloat16EaLi128ELi4ELi4EEvPKT_PvPjiiiiilfff
		.amdhsa_group_segment_fixed_size 0
		.amdhsa_private_segment_fixed_size 0
		.amdhsa_kernarg_size 68
		.amdhsa_user_sgpr_count 6
		.amdhsa_user_sgpr_private_segment_buffer 1
		.amdhsa_user_sgpr_dispatch_ptr 0
		.amdhsa_user_sgpr_queue_ptr 0
		.amdhsa_user_sgpr_kernarg_segment_ptr 1
		.amdhsa_user_sgpr_dispatch_id 0
		.amdhsa_user_sgpr_flat_scratch_init 0
		.amdhsa_user_sgpr_kernarg_preload_length 0
		.amdhsa_user_sgpr_kernarg_preload_offset 0
		.amdhsa_user_sgpr_private_segment_size 0
		.amdhsa_uses_dynamic_stack 0
		.amdhsa_system_sgpr_private_segment_wavefront_offset 0
		.amdhsa_system_sgpr_workgroup_id_x 1
		.amdhsa_system_sgpr_workgroup_id_y 1
		.amdhsa_system_sgpr_workgroup_id_z 0
		.amdhsa_system_sgpr_workgroup_info 0
		.amdhsa_system_vgpr_workitem_id 0
		.amdhsa_next_free_vgpr 28
		.amdhsa_next_free_sgpr 24
		.amdhsa_accum_offset 28
		.amdhsa_reserve_vcc 1
		.amdhsa_reserve_flat_scratch 0
		.amdhsa_float_round_mode_32 0
		.amdhsa_float_round_mode_16_64 0
		.amdhsa_float_denorm_mode_32 3
		.amdhsa_float_denorm_mode_16_64 3
		.amdhsa_dx10_clamp 1
		.amdhsa_ieee_mode 1
		.amdhsa_fp16_overflow 0
		.amdhsa_tg_split 0
		.amdhsa_exception_fp_ieee_invalid_op 0
		.amdhsa_exception_fp_denorm_src 0
		.amdhsa_exception_fp_ieee_div_zero 0
		.amdhsa_exception_fp_ieee_overflow 0
		.amdhsa_exception_fp_ieee_underflow 0
		.amdhsa_exception_fp_ieee_inexact 0
		.amdhsa_exception_int_div_zero 0
	.end_amdhsa_kernel
	.section	.text._Z49per_token_group_quant_8bit_packed_register_kernelIN3c108BFloat16EaLi128ELi4ELi4EEvPKT_PvPjiiiiilfff,"axG",@progbits,_Z49per_token_group_quant_8bit_packed_register_kernelIN3c108BFloat16EaLi128ELi4ELi4EEvPKT_PvPjiiiiilfff,comdat
.Lfunc_end47:
	.size	_Z49per_token_group_quant_8bit_packed_register_kernelIN3c108BFloat16EaLi128ELi4ELi4EEvPKT_PvPjiiiiilfff, .Lfunc_end47-_Z49per_token_group_quant_8bit_packed_register_kernelIN3c108BFloat16EaLi128ELi4ELi4EEvPKT_PvPjiiiiilfff
                                        ; -- End function
	.section	.AMDGPU.csdata,"",@progbits
; Kernel info:
; codeLenInByte = 1564
; NumSgprs: 28
; NumVgprs: 28
; NumAgprs: 0
; TotalNumVgprs: 28
; ScratchSize: 0
; MemoryBound: 0
; FloatMode: 240
; IeeeMode: 1
; LDSByteSize: 0 bytes/workgroup (compile time only)
; SGPRBlocks: 3
; VGPRBlocks: 3
; NumSGPRsForWavesPerEU: 28
; NumVGPRsForWavesPerEU: 28
; AccumOffset: 28
; Occupancy: 8
; WaveLimiterHint : 0
; COMPUTE_PGM_RSRC2:SCRATCH_EN: 0
; COMPUTE_PGM_RSRC2:USER_SGPR: 6
; COMPUTE_PGM_RSRC2:TRAP_HANDLER: 0
; COMPUTE_PGM_RSRC2:TGID_X_EN: 1
; COMPUTE_PGM_RSRC2:TGID_Y_EN: 1
; COMPUTE_PGM_RSRC2:TGID_Z_EN: 0
; COMPUTE_PGM_RSRC2:TIDIG_COMP_CNT: 0
; COMPUTE_PGM_RSRC3_GFX90A:ACCUM_OFFSET: 6
; COMPUTE_PGM_RSRC3_GFX90A:TG_SPLIT: 0
	.section	.text._Z49per_token_group_quant_8bit_packed_register_kernelIN3c108BFloat16ENS0_13Float8_e4m3fnELi128ELi16ELi1EEvPKT_PvPjiiiiilfff,"axG",@progbits,_Z49per_token_group_quant_8bit_packed_register_kernelIN3c108BFloat16ENS0_13Float8_e4m3fnELi128ELi16ELi1EEvPKT_PvPjiiiiilfff,comdat
	.protected	_Z49per_token_group_quant_8bit_packed_register_kernelIN3c108BFloat16ENS0_13Float8_e4m3fnELi128ELi16ELi1EEvPKT_PvPjiiiiilfff ; -- Begin function _Z49per_token_group_quant_8bit_packed_register_kernelIN3c108BFloat16ENS0_13Float8_e4m3fnELi128ELi16ELi1EEvPKT_PvPjiiiiilfff
	.globl	_Z49per_token_group_quant_8bit_packed_register_kernelIN3c108BFloat16ENS0_13Float8_e4m3fnELi128ELi16ELi1EEvPKT_PvPjiiiiilfff
	.p2align	8
	.type	_Z49per_token_group_quant_8bit_packed_register_kernelIN3c108BFloat16ENS0_13Float8_e4m3fnELi128ELi16ELi1EEvPKT_PvPjiiiiilfff,@function
_Z49per_token_group_quant_8bit_packed_register_kernelIN3c108BFloat16ENS0_13Float8_e4m3fnELi128ELi16ELi1EEvPKT_PvPjiiiiilfff: ; @_Z49per_token_group_quant_8bit_packed_register_kernelIN3c108BFloat16ENS0_13Float8_e4m3fnELi128ELi16ELi1EEvPKT_PvPjiiiiilfff
; %bb.0:
	s_load_dwordx4 s[8:11], s[4:5], 0x1c
	v_lshrrev_b32_e32 v1, 7, v0
	v_add_u32_e32 v12, s7, v1
	s_waitcnt lgkmcnt(0)
	v_cmp_gt_i32_e32 vcc, s11, v12
	s_and_saveexec_b64 s[0:1], vcc
	s_cbranch_execz .LBB48_110
; %bb.1:
	s_load_dwordx4 s[12:15], s[4:5], 0x38
	v_lshrrev_b32_e32 v1, 3, v0
	s_lshl_b32 s0, s6, 4
	v_and_or_b32 v10, v1, 15, s0
	v_cmp_gt_i32_e64 s[2:3], s9, v12
	v_cmp_gt_i32_e64 s[0:1], s8, v10
	v_and_b32_e32 v13, 7, v0
	s_and_b64 s[6:7], s[2:3], s[0:1]
	s_waitcnt lgkmcnt(0)
	v_mov_b32_e32 v8, s12
	v_ashrrev_i32_e32 v16, 31, v12
	v_lshlrev_b32_e32 v14, 7, v10
                                        ; implicit-def: $vgpr15
                                        ; implicit-def: $vgpr3
                                        ; implicit-def: $vgpr17
                                        ; implicit-def: $vgpr18
                                        ; implicit-def: $vgpr20
                                        ; implicit-def: $vgpr25
                                        ; implicit-def: $vgpr7
                                        ; implicit-def: $vgpr28
                                        ; implicit-def: $vgpr24
                                        ; implicit-def: $vgpr19
	s_and_saveexec_b64 s[16:17], s[6:7]
	s_cbranch_execz .LBB48_3
; %bb.2:
	s_load_dwordx2 s[18:19], s[4:5], 0x0
	v_alignbit_b32 v0, v16, v12, 24
	s_ashr_i32 s9, s8, 31
	v_lshlrev_b32_e32 v2, 8, v12
	v_mul_lo_u32 v4, v0, s8
	s_waitcnt lgkmcnt(0)
	v_pk_mov_b32 v[0:1], s[18:19], s[18:19] op_sel:[0,1]
	v_mul_lo_u32 v3, v2, s9
	v_mad_u64_u32 v[0:1], s[18:19], v2, s8, v[0:1]
	v_ashrrev_i32_e32 v15, 31, v14
	v_add3_u32 v1, v4, v1, v3
	v_lshlrev_b64 v[2:3], 1, v[14:15]
	v_add_co_u32_e32 v0, vcc, v0, v2
	v_addc_co_u32_e32 v1, vcc, v1, v3, vcc
	v_lshlrev_b32_e32 v2, 5, v13
	v_add_co_u32_e32 v8, vcc, v0, v2
	v_addc_co_u32_e32 v9, vcc, 0, v1, vcc
	global_load_dwordx4 v[4:7], v[8:9], off
	global_load_dwordx4 v[0:3], v[8:9], off offset:16
	s_waitcnt vmcnt(1)
	v_lshlrev_b32_e32 v8, 16, v4
	v_and_b32_e32 v9, 0xffff0000, v4
	v_lshlrev_b32_e32 v11, 16, v5
	v_and_b32_e32 v21, 0xffff0000, v5
	v_max3_f32 v8, s12, |v8|, |v9|
	v_lshlrev_b32_e32 v22, 16, v6
	v_and_b32_e32 v23, 0xffff0000, v6
	v_max3_f32 v8, v8, |v11|, |v21|
	v_lshlrev_b32_e32 v26, 16, v7
	v_and_b32_e32 v27, 0xffff0000, v7
	v_max3_f32 v8, v8, |v22|, |v23|
	s_waitcnt vmcnt(0)
	v_lshlrev_b32_e32 v29, 16, v0
	v_and_b32_e32 v30, 0xffff0000, v0
	v_max3_f32 v8, v8, |v26|, |v27|
	v_lshlrev_b32_e32 v31, 16, v1
	v_and_b32_e32 v32, 0xffff0000, v1
	v_max3_f32 v8, v8, |v29|, |v30|
	v_lshlrev_b32_e32 v33, 16, v2
	v_and_b32_e32 v34, 0xffff0000, v2
	v_max3_f32 v8, v8, |v31|, |v32|
	v_lshlrev_b32_e32 v35, 16, v3
	v_max3_f32 v8, v8, |v33|, |v34|
	v_and_b32_e32 v9, 0xffff0000, v3
	v_lshrrev_b32_e32 v19, 16, v4
	v_lshrrev_b32_e32 v24, 16, v5
	;; [unrolled: 1-line block ×8, first 2 shown]
	v_max3_f32 v8, v8, |v35|, |v9|
.LBB48_3:
	s_or_b64 exec, exec, s[16:17]
	v_mbcnt_lo_u32_b32 v9, -1, 0
	v_mbcnt_hi_u32_b32 v9, -1, v9
	v_and_b32_e32 v21, 0x78, v9
	v_xor_b32_e32 v11, 4, v9
	v_add_u32_e32 v21, 8, v21
	v_cmp_lt_i32_e32 vcc, v11, v21
	v_cndmask_b32_e32 v11, v9, v11, vcc
	v_lshlrev_b32_e32 v11, 2, v11
	ds_bpermute_b32 v11, v11, v8
	v_xor_b32_e32 v22, 2, v9
	v_max_f32_e32 v8, v8, v8
	v_cmp_lt_i32_e32 vcc, v22, v21
	s_waitcnt lgkmcnt(0)
	v_max_f32_e32 v11, v11, v11
	v_max_f32_e32 v8, v8, v11
	v_cndmask_b32_e32 v11, v9, v22, vcc
	v_lshlrev_b32_e32 v11, 2, v11
	ds_bpermute_b32 v11, v11, v8
	v_xor_b32_e32 v22, 1, v9
	v_cmp_lt_i32_e32 vcc, v22, v21
	v_cndmask_b32_e32 v9, v9, v22, vcc
	v_lshlrev_b32_e32 v9, 2, v9
	s_waitcnt lgkmcnt(0)
	v_max_f32_e32 v11, v11, v11
	v_max_f32_e32 v8, v8, v11
	ds_bpermute_b32 v9, v9, v8
	s_waitcnt lgkmcnt(0)
	v_max_f32_e32 v9, v9, v9
	v_max_f32_e32 v8, v8, v9
	v_div_scale_f32 v9, s[16:17], s14, s14, v8
	v_rcp_f32_e32 v11, v9
	v_div_scale_f32 v21, vcc, v8, s14, v8
	s_xor_b64 s[16:17], s[6:7], -1
	v_fma_f32 v22, -v9, v11, 1.0
	v_fmac_f32_e32 v11, v22, v11
	v_mul_f32_e32 v22, v21, v11
	v_fma_f32 v23, -v9, v22, v21
	v_fmac_f32_e32 v22, v23, v11
	v_fma_f32 v9, -v9, v22, v21
	v_div_fmas_f32 v9, v9, v11, v22
	v_div_fixup_f32 v8, v9, s14, v8
	v_max_f32_e32 v8, 0x2edbe6ff, v8
	v_lshrrev_b32_e32 v9, 23, v8
	v_and_b32_e32 v8, 0x7fffff, v8
	v_cmp_ne_u32_e32 vcc, 0, v8
	v_addc_co_u32_e32 v21, vcc, 0, v9, vcc
	v_cmp_eq_u32_e32 vcc, 0, v13
	s_and_saveexec_b64 s[18:19], vcc
	s_cbranch_execz .LBB48_8
; %bb.4:
	v_ashrrev_i32_e32 v8, 31, v10
	v_lshrrev_b32_e32 v8, 30, v8
	v_add_u32_e32 v8, v10, v8
	v_ashrrev_i32_e32 v11, 2, v8
	v_mad_u64_u32 v[8:9], s[20:21], v11, s11, v[12:13]
	v_mov_b32_e32 v22, v21
	s_and_saveexec_b64 s[20:21], s[16:17]
	s_cbranch_execz .LBB48_6
; %bb.5:
	s_load_dwordx2 s[22:23], s[4:5], 0x30
	v_ashrrev_i32_e32 v9, 31, v8
	s_andn2_b64 s[6:7], s[6:7], exec
	v_mov_b32_e32 v22, 0
	s_waitcnt lgkmcnt(0)
	v_cmp_gt_i64_e32 vcc, s[22:23], v[8:9]
	s_and_b64 s[22:23], vcc, exec
	s_or_b64 s[6:7], s[6:7], s[22:23]
.LBB48_6:
	s_or_b64 exec, exec, s[20:21]
	s_and_b64 exec, exec, s[6:7]
	s_cbranch_execz .LBB48_8
; %bb.7:
	s_load_dwordx2 s[6:7], s[4:5], 0x10
	v_lshlrev_b32_e32 v9, 2, v11
	v_sub_u32_e32 v9, v10, v9
	v_lshl_add_u32 v8, v8, 2, v9
	v_ashrrev_i32_e32 v9, 31, v8
	s_waitcnt lgkmcnt(0)
	v_mov_b32_e32 v10, s7
	v_add_co_u32_e32 v8, vcc, s6, v8
	v_addc_co_u32_e32 v9, vcc, v10, v9, vcc
	global_store_byte v[8:9], v22, off
.LBB48_8:
	s_or_b64 exec, exec, s[18:19]
	s_mov_b64 s[6:7], 0
                                        ; implicit-def: $sgpr9
	s_and_saveexec_b64 s[18:19], s[16:17]
	s_xor_b64 s[16:17], exec, s[18:19]
; %bb.9:
	s_xor_b64 s[2:3], s[2:3], -1
	v_cmp_gt_i32_e32 vcc, s10, v12
	s_and_b64 s[2:3], vcc, s[2:3]
	s_and_b64 s[0:1], s[0:1], s[2:3]
	s_mov_b32 s9, 0
	s_and_b64 s[6:7], s[0:1], exec
                                        ; implicit-def: $vgpr15
                                        ; implicit-def: $vgpr3
                                        ; implicit-def: $vgpr17
                                        ; implicit-def: $vgpr18
                                        ; implicit-def: $vgpr20
                                        ; implicit-def: $vgpr25
                                        ; implicit-def: $vgpr7
                                        ; implicit-def: $vgpr28
                                        ; implicit-def: $vgpr24
                                        ; implicit-def: $vgpr19
                                        ; implicit-def: $vgpr21
; %bb.10:
	s_or_saveexec_b64 s[0:1], s[16:17]
	v_mov_b32_e32 v11, s9
	v_mov_b32_e32 v10, s9
	v_mov_b32_e32 v9, s9
	v_mov_b32_e32 v8, s9
	s_xor_b64 exec, exec, s[0:1]
	s_cbranch_execz .LBB48_108
; %bb.11:
	v_lshlrev_b32_e32 v8, 23, v21
	v_and_b32_e32 v8, 0x7f800000, v8
	v_div_scale_f32 v9, s[2:3], v8, v8, 1.0
	v_rcp_f32_e32 v10, v9
	v_div_scale_f32 v11, vcc, 1.0, v8, 1.0
	v_lshlrev_b32_e32 v4, 16, v4
	v_fma_f32 v21, -v9, v10, 1.0
	v_fmac_f32_e32 v10, v21, v10
	v_mul_f32_e32 v21, v11, v10
	v_fma_f32 v22, -v9, v21, v11
	v_fmac_f32_e32 v21, v22, v10
	v_fma_f32 v9, -v9, v21, v11
	v_div_fmas_f32 v9, v9, v10, v21
	v_div_fixup_f32 v9, v9, v8, 1.0
	v_mul_f32_e32 v4, v9, v4
	v_max_f32_e64 v10, s13, s13
	v_max_f32_e32 v4, v4, v10
	v_max_f32_e64 v21, s14, s14
	v_min_f32_e32 v4, v4, v21
	v_and_b32_e32 v22, 0x7fffffff, v4
	s_mov_b32 s9, 0x43f00000
	v_cmp_gt_u32_e32 vcc, s9, v22
	v_mov_b32_e32 v8, 0x7f
	v_mov_b32_e32 v11, 0x7f
	s_and_saveexec_b64 s[2:3], vcc
	s_cbranch_execz .LBB48_17
; %bb.12:
	s_mov_b32 s10, 0x3c7fffff
	v_cmp_lt_u32_e32 vcc, s10, v22
                                        ; implicit-def: $vgpr11
	s_and_saveexec_b64 s[10:11], vcc
	s_xor_b64 s[10:11], exec, s[10:11]
; %bb.13:
	v_bfe_u32 v11, v4, 20, 1
	s_mov_b32 s12, 0x407ffff
	v_add3_u32 v11, v4, v11, s12
	v_lshrrev_b32_e32 v11, 20, v11
; %bb.14:
	s_andn2_saveexec_b64 s[10:11], s[10:11]
; %bb.15:
	s_mov_b32 s12, 0x46800000
	v_add_f32_e64 v11, |v4|, s12
; %bb.16:
	s_or_b64 exec, exec, s[10:11]
.LBB48_17:
	s_or_b64 exec, exec, s[2:3]
	v_lshlrev_b32_e32 v19, 16, v19
	v_mul_f32_e32 v19, v9, v19
	v_max_f32_e32 v19, v19, v10
	v_min_f32_e32 v19, v19, v21
	v_and_b32_e32 v22, 0x7fffffff, v19
	v_cmp_gt_u32_e32 vcc, s9, v22
	s_and_saveexec_b64 s[2:3], vcc
	s_cbranch_execz .LBB48_23
; %bb.18:
	s_mov_b32 s9, 0x3c7fffff
	v_cmp_lt_u32_e32 vcc, s9, v22
                                        ; implicit-def: $vgpr8
	s_and_saveexec_b64 s[10:11], vcc
	s_xor_b64 s[10:11], exec, s[10:11]
; %bb.19:
	v_bfe_u32 v8, v19, 20, 1
	s_mov_b32 s9, 0x407ffff
	v_add3_u32 v8, v19, v8, s9
	v_lshrrev_b32_e32 v8, 20, v8
; %bb.20:
	s_andn2_saveexec_b64 s[10:11], s[10:11]
; %bb.21:
	s_mov_b32 s9, 0x46800000
	v_add_f32_e64 v8, |v19|, s9
; %bb.22:
	s_or_b64 exec, exec, s[10:11]
.LBB48_23:
	s_or_b64 exec, exec, s[2:3]
	v_lshlrev_b32_e32 v5, 16, v5
	v_mul_f32_e32 v5, v9, v5
	v_max_f32_e32 v5, v5, v10
	v_min_f32_e32 v5, v5, v21
	v_and_b32_e32 v26, 0x7fffffff, v5
	s_mov_b32 s9, 0x43f00000
	v_cmp_gt_u32_e32 vcc, s9, v26
	v_mov_b32_e32 v22, 0x7f
	v_mov_b32_e32 v23, 0x7f
	s_and_saveexec_b64 s[2:3], vcc
	s_cbranch_execz .LBB48_29
; %bb.24:
	s_mov_b32 s10, 0x3c7fffff
	v_cmp_lt_u32_e32 vcc, s10, v26
                                        ; implicit-def: $vgpr23
	s_and_saveexec_b64 s[10:11], vcc
	s_xor_b64 s[10:11], exec, s[10:11]
; %bb.25:
	v_bfe_u32 v23, v5, 20, 1
	s_mov_b32 s12, 0x407ffff
	v_add3_u32 v23, v5, v23, s12
	v_lshrrev_b32_e32 v23, 20, v23
; %bb.26:
	s_andn2_saveexec_b64 s[10:11], s[10:11]
; %bb.27:
	s_mov_b32 s12, 0x46800000
	v_add_f32_e64 v23, |v5|, s12
; %bb.28:
	s_or_b64 exec, exec, s[10:11]
.LBB48_29:
	s_or_b64 exec, exec, s[2:3]
	v_lshlrev_b32_e32 v24, 16, v24
	v_mul_f32_e32 v24, v9, v24
	v_max_f32_e32 v24, v24, v10
	v_min_f32_e32 v24, v24, v21
	v_and_b32_e32 v26, 0x7fffffff, v24
	v_cmp_gt_u32_e32 vcc, s9, v26
	s_and_saveexec_b64 s[2:3], vcc
	s_cbranch_execz .LBB48_35
; %bb.30:
	s_mov_b32 s9, 0x3c7fffff
	v_cmp_lt_u32_e32 vcc, s9, v26
                                        ; implicit-def: $vgpr22
	s_and_saveexec_b64 s[10:11], vcc
	s_xor_b64 s[10:11], exec, s[10:11]
; %bb.31:
	v_bfe_u32 v22, v24, 20, 1
	s_mov_b32 s9, 0x407ffff
	v_add3_u32 v22, v24, v22, s9
	v_lshrrev_b32_e32 v22, 20, v22
; %bb.32:
	s_andn2_saveexec_b64 s[10:11], s[10:11]
; %bb.33:
	s_mov_b32 s9, 0x46800000
	v_add_f32_e64 v22, |v24|, s9
; %bb.34:
	s_or_b64 exec, exec, s[10:11]
.LBB48_35:
	s_or_b64 exec, exec, s[2:3]
	v_lshlrev_b32_e32 v6, 16, v6
	v_mul_f32_e32 v6, v9, v6
	v_max_f32_e32 v6, v6, v10
	v_min_f32_e32 v6, v6, v21
	v_and_b32_e32 v29, 0x7fffffff, v6
	s_mov_b32 s9, 0x43f00000
	v_cmp_gt_u32_e32 vcc, s9, v29
	v_mov_b32_e32 v26, 0x7f
	v_mov_b32_e32 v27, 0x7f
	s_and_saveexec_b64 s[2:3], vcc
	s_cbranch_execz .LBB48_41
; %bb.36:
	s_mov_b32 s10, 0x3c7fffff
	v_cmp_lt_u32_e32 vcc, s10, v29
                                        ; implicit-def: $vgpr27
	s_and_saveexec_b64 s[10:11], vcc
	s_xor_b64 s[10:11], exec, s[10:11]
; %bb.37:
	v_bfe_u32 v27, v6, 20, 1
	s_mov_b32 s12, 0x407ffff
	v_add3_u32 v27, v6, v27, s12
	v_lshrrev_b32_e32 v27, 20, v27
; %bb.38:
	s_andn2_saveexec_b64 s[10:11], s[10:11]
; %bb.39:
	s_mov_b32 s12, 0x46800000
	v_add_f32_e64 v27, |v6|, s12
; %bb.40:
	s_or_b64 exec, exec, s[10:11]
.LBB48_41:
	s_or_b64 exec, exec, s[2:3]
	v_lshlrev_b32_e32 v28, 16, v28
	v_mul_f32_e32 v28, v9, v28
	v_max_f32_e32 v28, v28, v10
	v_min_f32_e32 v28, v28, v21
	v_and_b32_e32 v29, 0x7fffffff, v28
	v_cmp_gt_u32_e32 vcc, s9, v29
	s_and_saveexec_b64 s[2:3], vcc
	s_cbranch_execz .LBB48_47
; %bb.42:
	s_mov_b32 s9, 0x3c7fffff
	v_cmp_lt_u32_e32 vcc, s9, v29
                                        ; implicit-def: $vgpr26
	s_and_saveexec_b64 s[10:11], vcc
	s_xor_b64 s[10:11], exec, s[10:11]
; %bb.43:
	v_bfe_u32 v26, v28, 20, 1
	s_mov_b32 s9, 0x407ffff
	v_add3_u32 v26, v28, v26, s9
	v_lshrrev_b32_e32 v26, 20, v26
; %bb.44:
	s_andn2_saveexec_b64 s[10:11], s[10:11]
; %bb.45:
	s_mov_b32 s9, 0x46800000
	v_add_f32_e64 v26, |v28|, s9
; %bb.46:
	s_or_b64 exec, exec, s[10:11]
.LBB48_47:
	s_or_b64 exec, exec, s[2:3]
	v_lshlrev_b32_e32 v7, 16, v7
	v_mul_f32_e32 v7, v9, v7
	v_max_f32_e32 v7, v7, v10
	v_min_f32_e32 v7, v7, v21
	v_and_b32_e32 v31, 0x7fffffff, v7
	s_mov_b32 s9, 0x43f00000
	v_cmp_gt_u32_e32 vcc, s9, v31
	v_mov_b32_e32 v29, 0x7f
	v_mov_b32_e32 v30, 0x7f
	s_and_saveexec_b64 s[2:3], vcc
	s_cbranch_execz .LBB48_53
; %bb.48:
	s_mov_b32 s10, 0x3c7fffff
	v_cmp_lt_u32_e32 vcc, s10, v31
                                        ; implicit-def: $vgpr30
	s_and_saveexec_b64 s[10:11], vcc
	s_xor_b64 s[10:11], exec, s[10:11]
; %bb.49:
	v_bfe_u32 v30, v7, 20, 1
	s_mov_b32 s12, 0x407ffff
	v_add3_u32 v30, v7, v30, s12
	v_lshrrev_b32_e32 v30, 20, v30
; %bb.50:
	s_andn2_saveexec_b64 s[10:11], s[10:11]
; %bb.51:
	s_mov_b32 s12, 0x46800000
	v_add_f32_e64 v30, |v7|, s12
; %bb.52:
	s_or_b64 exec, exec, s[10:11]
.LBB48_53:
	s_or_b64 exec, exec, s[2:3]
	v_lshlrev_b32_e32 v25, 16, v25
	v_mul_f32_e32 v25, v9, v25
	v_max_f32_e32 v25, v25, v10
	v_min_f32_e32 v25, v25, v21
	v_and_b32_e32 v31, 0x7fffffff, v25
	v_cmp_gt_u32_e32 vcc, s9, v31
	s_and_saveexec_b64 s[2:3], vcc
	s_cbranch_execz .LBB48_59
; %bb.54:
	s_mov_b32 s9, 0x3c7fffff
	v_cmp_lt_u32_e32 vcc, s9, v31
                                        ; implicit-def: $vgpr29
	s_and_saveexec_b64 s[10:11], vcc
	s_xor_b64 s[10:11], exec, s[10:11]
; %bb.55:
	v_bfe_u32 v29, v25, 20, 1
	s_mov_b32 s9, 0x407ffff
	v_add3_u32 v29, v25, v29, s9
	v_lshrrev_b32_e32 v29, 20, v29
; %bb.56:
	s_andn2_saveexec_b64 s[10:11], s[10:11]
; %bb.57:
	s_mov_b32 s9, 0x46800000
	v_add_f32_e64 v29, |v25|, s9
; %bb.58:
	s_or_b64 exec, exec, s[10:11]
.LBB48_59:
	s_or_b64 exec, exec, s[2:3]
	v_lshlrev_b32_e32 v0, 16, v0
	v_mul_f32_e32 v0, v9, v0
	v_max_f32_e32 v0, v0, v10
	v_min_f32_e32 v0, v0, v21
	v_and_b32_e32 v33, 0x7fffffff, v0
	s_mov_b32 s9, 0x43f00000
	v_cmp_gt_u32_e32 vcc, s9, v33
	v_mov_b32_e32 v31, 0x7f
	v_mov_b32_e32 v32, 0x7f
	s_and_saveexec_b64 s[2:3], vcc
	s_cbranch_execz .LBB48_65
; %bb.60:
	s_mov_b32 s10, 0x3c7fffff
	v_cmp_lt_u32_e32 vcc, s10, v33
                                        ; implicit-def: $vgpr32
	s_and_saveexec_b64 s[10:11], vcc
	s_xor_b64 s[10:11], exec, s[10:11]
; %bb.61:
	v_bfe_u32 v32, v0, 20, 1
	s_mov_b32 s12, 0x407ffff
	v_add3_u32 v32, v0, v32, s12
	v_lshrrev_b32_e32 v32, 20, v32
; %bb.62:
	s_andn2_saveexec_b64 s[10:11], s[10:11]
; %bb.63:
	s_mov_b32 s12, 0x46800000
	v_add_f32_e64 v32, |v0|, s12
; %bb.64:
	s_or_b64 exec, exec, s[10:11]
.LBB48_65:
	s_or_b64 exec, exec, s[2:3]
	v_lshlrev_b32_e32 v20, 16, v20
	v_mul_f32_e32 v20, v9, v20
	v_max_f32_e32 v20, v20, v10
	v_min_f32_e32 v20, v20, v21
	v_and_b32_e32 v33, 0x7fffffff, v20
	v_cmp_gt_u32_e32 vcc, s9, v33
	s_and_saveexec_b64 s[2:3], vcc
	s_cbranch_execz .LBB48_71
; %bb.66:
	s_mov_b32 s9, 0x3c7fffff
	v_cmp_lt_u32_e32 vcc, s9, v33
                                        ; implicit-def: $vgpr31
	s_and_saveexec_b64 s[10:11], vcc
	s_xor_b64 s[10:11], exec, s[10:11]
; %bb.67:
	v_bfe_u32 v31, v20, 20, 1
	s_mov_b32 s9, 0x407ffff
	v_add3_u32 v31, v20, v31, s9
	v_lshrrev_b32_e32 v31, 20, v31
; %bb.68:
	s_andn2_saveexec_b64 s[10:11], s[10:11]
; %bb.69:
	s_mov_b32 s9, 0x46800000
	v_add_f32_e64 v31, |v20|, s9
; %bb.70:
	s_or_b64 exec, exec, s[10:11]
.LBB48_71:
	s_or_b64 exec, exec, s[2:3]
	v_lshlrev_b32_e32 v1, 16, v1
	v_mul_f32_e32 v1, v9, v1
	v_max_f32_e32 v1, v1, v10
	v_min_f32_e32 v1, v1, v21
	v_and_b32_e32 v35, 0x7fffffff, v1
	s_mov_b32 s9, 0x43f00000
	v_cmp_gt_u32_e32 vcc, s9, v35
	v_mov_b32_e32 v33, 0x7f
	v_mov_b32_e32 v34, 0x7f
	s_and_saveexec_b64 s[2:3], vcc
	s_cbranch_execz .LBB48_77
; %bb.72:
	s_mov_b32 s10, 0x3c7fffff
	v_cmp_lt_u32_e32 vcc, s10, v35
                                        ; implicit-def: $vgpr34
	s_and_saveexec_b64 s[10:11], vcc
	s_xor_b64 s[10:11], exec, s[10:11]
; %bb.73:
	v_bfe_u32 v34, v1, 20, 1
	s_mov_b32 s12, 0x407ffff
	v_add3_u32 v34, v1, v34, s12
	v_lshrrev_b32_e32 v34, 20, v34
; %bb.74:
	s_andn2_saveexec_b64 s[10:11], s[10:11]
; %bb.75:
	s_mov_b32 s12, 0x46800000
	v_add_f32_e64 v34, |v1|, s12
; %bb.76:
	s_or_b64 exec, exec, s[10:11]
.LBB48_77:
	s_or_b64 exec, exec, s[2:3]
	v_lshlrev_b32_e32 v18, 16, v18
	v_mul_f32_e32 v18, v9, v18
	v_max_f32_e32 v18, v18, v10
	v_min_f32_e32 v18, v18, v21
	v_and_b32_e32 v35, 0x7fffffff, v18
	v_cmp_gt_u32_e32 vcc, s9, v35
	s_and_saveexec_b64 s[2:3], vcc
	s_cbranch_execz .LBB48_83
; %bb.78:
	s_mov_b32 s9, 0x3c7fffff
	v_cmp_lt_u32_e32 vcc, s9, v35
                                        ; implicit-def: $vgpr33
	s_and_saveexec_b64 s[10:11], vcc
	s_xor_b64 s[10:11], exec, s[10:11]
; %bb.79:
	v_bfe_u32 v33, v18, 20, 1
	s_mov_b32 s9, 0x407ffff
	v_add3_u32 v33, v18, v33, s9
	v_lshrrev_b32_e32 v33, 20, v33
; %bb.80:
	s_andn2_saveexec_b64 s[10:11], s[10:11]
; %bb.81:
	s_mov_b32 s9, 0x46800000
	v_add_f32_e64 v33, |v18|, s9
; %bb.82:
	s_or_b64 exec, exec, s[10:11]
.LBB48_83:
	s_or_b64 exec, exec, s[2:3]
	v_lshlrev_b32_e32 v2, 16, v2
	v_mul_f32_e32 v2, v9, v2
	v_max_f32_e32 v2, v2, v10
	v_min_f32_e32 v2, v2, v21
	v_and_b32_e32 v37, 0x7fffffff, v2
	s_mov_b32 s9, 0x43f00000
	v_cmp_gt_u32_e32 vcc, s9, v37
	v_mov_b32_e32 v35, 0x7f
	v_mov_b32_e32 v36, 0x7f
	s_and_saveexec_b64 s[2:3], vcc
	s_cbranch_execz .LBB48_89
; %bb.84:
	s_mov_b32 s10, 0x3c7fffff
	v_cmp_lt_u32_e32 vcc, s10, v37
                                        ; implicit-def: $vgpr36
	s_and_saveexec_b64 s[10:11], vcc
	s_xor_b64 s[10:11], exec, s[10:11]
; %bb.85:
	v_bfe_u32 v36, v2, 20, 1
	s_mov_b32 s12, 0x407ffff
	v_add3_u32 v36, v2, v36, s12
	v_lshrrev_b32_e32 v36, 20, v36
; %bb.86:
	s_andn2_saveexec_b64 s[10:11], s[10:11]
; %bb.87:
	s_mov_b32 s12, 0x46800000
	v_add_f32_e64 v36, |v2|, s12
; %bb.88:
	s_or_b64 exec, exec, s[10:11]
.LBB48_89:
	s_or_b64 exec, exec, s[2:3]
	v_lshlrev_b32_e32 v17, 16, v17
	v_mul_f32_e32 v17, v9, v17
	v_max_f32_e32 v17, v17, v10
	v_min_f32_e32 v17, v17, v21
	v_and_b32_e32 v37, 0x7fffffff, v17
	v_cmp_gt_u32_e32 vcc, s9, v37
	s_and_saveexec_b64 s[2:3], vcc
	s_cbranch_execz .LBB48_95
; %bb.90:
	s_mov_b32 s9, 0x3c7fffff
	v_cmp_lt_u32_e32 vcc, s9, v37
                                        ; implicit-def: $vgpr35
	s_and_saveexec_b64 s[10:11], vcc
	s_xor_b64 s[10:11], exec, s[10:11]
; %bb.91:
	v_bfe_u32 v35, v17, 20, 1
	s_mov_b32 s9, 0x407ffff
	v_add3_u32 v35, v17, v35, s9
	v_lshrrev_b32_e32 v35, 20, v35
; %bb.92:
	s_andn2_saveexec_b64 s[10:11], s[10:11]
; %bb.93:
	s_mov_b32 s9, 0x46800000
	v_add_f32_e64 v35, |v17|, s9
; %bb.94:
	s_or_b64 exec, exec, s[10:11]
.LBB48_95:
	s_or_b64 exec, exec, s[2:3]
	v_lshlrev_b32_e32 v3, 16, v3
	v_mul_f32_e32 v3, v9, v3
	v_max_f32_e32 v3, v3, v10
	v_min_f32_e32 v37, v3, v21
	v_and_b32_e32 v39, 0x7fffffff, v37
	s_mov_b32 s9, 0x43f00000
	v_cmp_gt_u32_e32 vcc, s9, v39
	v_mov_b32_e32 v3, 0x7f
	v_mov_b32_e32 v38, 0x7f
	s_and_saveexec_b64 s[2:3], vcc
	s_cbranch_execz .LBB48_101
; %bb.96:
	s_mov_b32 s10, 0x3c7fffff
	v_cmp_lt_u32_e32 vcc, s10, v39
                                        ; implicit-def: $vgpr38
	s_and_saveexec_b64 s[10:11], vcc
	s_xor_b64 s[10:11], exec, s[10:11]
; %bb.97:
	v_bfe_u32 v38, v37, 20, 1
	s_mov_b32 s12, 0x407ffff
	v_add3_u32 v38, v37, v38, s12
	v_lshrrev_b32_e32 v38, 20, v38
; %bb.98:
	s_andn2_saveexec_b64 s[10:11], s[10:11]
; %bb.99:
	s_mov_b32 s12, 0x46800000
	v_add_f32_e64 v38, |v37|, s12
; %bb.100:
	s_or_b64 exec, exec, s[10:11]
.LBB48_101:
	s_or_b64 exec, exec, s[2:3]
	v_lshlrev_b32_e32 v15, 16, v15
	v_mul_f32_e32 v9, v9, v15
	v_max_f32_e32 v9, v9, v10
	v_min_f32_e32 v15, v9, v21
	v_and_b32_e32 v9, 0x7fffffff, v15
	v_cmp_gt_u32_e32 vcc, s9, v9
	s_and_saveexec_b64 s[2:3], vcc
	s_cbranch_execz .LBB48_107
; %bb.102:
	s_mov_b32 s9, 0x3c7fffff
	v_cmp_lt_u32_e32 vcc, s9, v9
                                        ; implicit-def: $vgpr3
	s_and_saveexec_b64 s[10:11], vcc
	s_xor_b64 s[10:11], exec, s[10:11]
; %bb.103:
	v_bfe_u32 v3, v15, 20, 1
	s_mov_b32 s9, 0x407ffff
	v_add3_u32 v3, v15, v3, s9
	v_lshrrev_b32_e32 v3, 20, v3
; %bb.104:
	s_andn2_saveexec_b64 s[10:11], s[10:11]
; %bb.105:
	s_mov_b32 s9, 0x46800000
	v_add_f32_e64 v3, |v15|, s9
; %bb.106:
	s_or_b64 exec, exec, s[10:11]
.LBB48_107:
	s_or_b64 exec, exec, s[2:3]
	s_movk_i32 s2, 0x80
	v_and_b32_sdwa v2, v2, s2 dst_sel:DWORD dst_unused:UNUSED_PAD src0_sel:BYTE_3 src1_sel:DWORD
	s_movk_i32 s3, 0xff
	v_and_b32_sdwa v9, v17, s2 dst_sel:DWORD dst_unused:UNUSED_PAD src0_sel:BYTE_3 src1_sel:DWORD
	v_and_or_b32 v2, v36, s3, v2
	v_and_or_b32 v9, v35, s3, v9
	v_lshl_or_b32 v2, v9, 8, v2
	v_and_b32_sdwa v9, v37, s2 dst_sel:DWORD dst_unused:UNUSED_PAD src0_sel:BYTE_3 src1_sel:DWORD
	v_and_or_b32 v9, v38, s3, v9
	v_lshl_or_b32 v2, v9, 16, v2
	v_and_b32_sdwa v0, v0, s2 dst_sel:DWORD dst_unused:UNUSED_PAD src0_sel:BYTE_3 src1_sel:DWORD
	v_and_b32_sdwa v9, v20, s2 dst_sel:DWORD dst_unused:UNUSED_PAD src0_sel:BYTE_3 src1_sel:DWORD
	v_and_or_b32 v0, v32, s3, v0
	v_and_or_b32 v9, v31, s3, v9
	v_and_b32_sdwa v1, v1, s2 dst_sel:DWORD dst_unused:UNUSED_PAD src0_sel:BYTE_3 src1_sel:DWORD
	v_lshl_or_b32 v0, v9, 8, v0
	v_and_or_b32 v1, v34, s3, v1
	v_lshl_or_b32 v0, v1, 16, v0
	v_lshlrev_b32_e32 v1, 24, v33
	v_and_b32_e32 v9, 0x80000000, v18
	v_or3_b32 v10, v9, v1, v0
	v_and_b32_sdwa v0, v6, s2 dst_sel:DWORD dst_unused:UNUSED_PAD src0_sel:BYTE_3 src1_sel:DWORD
	v_and_b32_sdwa v1, v28, s2 dst_sel:DWORD dst_unused:UNUSED_PAD src0_sel:BYTE_3 src1_sel:DWORD
	v_and_or_b32 v0, v27, s3, v0
	v_and_or_b32 v1, v26, s3, v1
	v_lshl_or_b32 v0, v1, 8, v0
	v_and_b32_sdwa v1, v7, s2 dst_sel:DWORD dst_unused:UNUSED_PAD src0_sel:BYTE_3 src1_sel:DWORD
	v_and_or_b32 v1, v30, s3, v1
	v_lshl_or_b32 v0, v1, 16, v0
	v_lshlrev_b32_e32 v1, 24, v29
	v_and_b32_e32 v6, 0x80000000, v25
	v_or3_b32 v9, v6, v1, v0
	v_and_b32_sdwa v0, v4, s2 dst_sel:DWORD dst_unused:UNUSED_PAD src0_sel:BYTE_3 src1_sel:DWORD
	v_and_b32_sdwa v1, v19, s2 dst_sel:DWORD dst_unused:UNUSED_PAD src0_sel:BYTE_3 src1_sel:DWORD
	v_and_or_b32 v0, v11, s3, v0
	v_and_or_b32 v1, v8, s3, v1
	v_lshl_or_b32 v0, v1, 8, v0
	v_and_b32_sdwa v1, v5, s2 dst_sel:DWORD dst_unused:UNUSED_PAD src0_sel:BYTE_3 src1_sel:DWORD
	v_and_or_b32 v1, v23, s3, v1
	v_lshl_or_b32 v0, v1, 16, v0
	v_lshlrev_b32_e32 v1, 24, v22
	v_and_b32_e32 v4, 0x80000000, v24
	v_or3_b32 v8, v4, v1, v0
	v_and_b32_e32 v0, 0x80000000, v15
	v_lshlrev_b32_e32 v1, 24, v3
	v_or3_b32 v11, v0, v1, v2
	s_or_b64 s[6:7], s[6:7], exec
.LBB48_108:
	s_or_b64 exec, exec, s[0:1]
	s_and_b64 exec, exec, s[6:7]
	s_cbranch_execz .LBB48_110
; %bb.109:
	s_load_dwordx2 s[0:1], s[4:5], 0x8
	v_alignbit_b32 v0, v16, v12, 25
	s_ashr_i32 s2, s8, 31
	v_lshlrev_b32_e32 v2, 7, v12
	v_mul_lo_u32 v4, v0, s8
	s_waitcnt lgkmcnt(0)
	v_pk_mov_b32 v[0:1], s[0:1], s[0:1] op_sel:[0,1]
	v_mul_lo_u32 v3, v2, s2
	v_mad_u64_u32 v[0:1], s[0:1], v2, s8, v[0:1]
	v_add3_u32 v1, v4, v1, v3
	v_ashrrev_i32_e32 v2, 31, v14
	v_add_co_u32_e32 v0, vcc, v0, v14
	v_addc_co_u32_e32 v1, vcc, v1, v2, vcc
	v_lshlrev_b32_e32 v2, 4, v13
	v_add_co_u32_e32 v0, vcc, v0, v2
	v_addc_co_u32_e32 v1, vcc, 0, v1, vcc
	global_store_dwordx4 v[0:1], v[8:11], off
.LBB48_110:
	s_endpgm
	.section	.rodata,"a",@progbits
	.p2align	6, 0x0
	.amdhsa_kernel _Z49per_token_group_quant_8bit_packed_register_kernelIN3c108BFloat16ENS0_13Float8_e4m3fnELi128ELi16ELi1EEvPKT_PvPjiiiiilfff
		.amdhsa_group_segment_fixed_size 0
		.amdhsa_private_segment_fixed_size 0
		.amdhsa_kernarg_size 68
		.amdhsa_user_sgpr_count 6
		.amdhsa_user_sgpr_private_segment_buffer 1
		.amdhsa_user_sgpr_dispatch_ptr 0
		.amdhsa_user_sgpr_queue_ptr 0
		.amdhsa_user_sgpr_kernarg_segment_ptr 1
		.amdhsa_user_sgpr_dispatch_id 0
		.amdhsa_user_sgpr_flat_scratch_init 0
		.amdhsa_user_sgpr_kernarg_preload_length 0
		.amdhsa_user_sgpr_kernarg_preload_offset 0
		.amdhsa_user_sgpr_private_segment_size 0
		.amdhsa_uses_dynamic_stack 0
		.amdhsa_system_sgpr_private_segment_wavefront_offset 0
		.amdhsa_system_sgpr_workgroup_id_x 1
		.amdhsa_system_sgpr_workgroup_id_y 1
		.amdhsa_system_sgpr_workgroup_id_z 0
		.amdhsa_system_sgpr_workgroup_info 0
		.amdhsa_system_vgpr_workitem_id 0
		.amdhsa_next_free_vgpr 40
		.amdhsa_next_free_sgpr 24
		.amdhsa_accum_offset 40
		.amdhsa_reserve_vcc 1
		.amdhsa_reserve_flat_scratch 0
		.amdhsa_float_round_mode_32 0
		.amdhsa_float_round_mode_16_64 0
		.amdhsa_float_denorm_mode_32 3
		.amdhsa_float_denorm_mode_16_64 3
		.amdhsa_dx10_clamp 1
		.amdhsa_ieee_mode 1
		.amdhsa_fp16_overflow 0
		.amdhsa_tg_split 0
		.amdhsa_exception_fp_ieee_invalid_op 0
		.amdhsa_exception_fp_denorm_src 0
		.amdhsa_exception_fp_ieee_div_zero 0
		.amdhsa_exception_fp_ieee_overflow 0
		.amdhsa_exception_fp_ieee_underflow 0
		.amdhsa_exception_fp_ieee_inexact 0
		.amdhsa_exception_int_div_zero 0
	.end_amdhsa_kernel
	.section	.text._Z49per_token_group_quant_8bit_packed_register_kernelIN3c108BFloat16ENS0_13Float8_e4m3fnELi128ELi16ELi1EEvPKT_PvPjiiiiilfff,"axG",@progbits,_Z49per_token_group_quant_8bit_packed_register_kernelIN3c108BFloat16ENS0_13Float8_e4m3fnELi128ELi16ELi1EEvPKT_PvPjiiiiilfff,comdat
.Lfunc_end48:
	.size	_Z49per_token_group_quant_8bit_packed_register_kernelIN3c108BFloat16ENS0_13Float8_e4m3fnELi128ELi16ELi1EEvPKT_PvPjiiiiilfff, .Lfunc_end48-_Z49per_token_group_quant_8bit_packed_register_kernelIN3c108BFloat16ENS0_13Float8_e4m3fnELi128ELi16ELi1EEvPKT_PvPjiiiiilfff
                                        ; -- End function
	.section	.AMDGPU.csdata,"",@progbits
; Kernel info:
; codeLenInByte = 3432
; NumSgprs: 28
; NumVgprs: 40
; NumAgprs: 0
; TotalNumVgprs: 40
; ScratchSize: 0
; MemoryBound: 0
; FloatMode: 240
; IeeeMode: 1
; LDSByteSize: 0 bytes/workgroup (compile time only)
; SGPRBlocks: 3
; VGPRBlocks: 4
; NumSGPRsForWavesPerEU: 28
; NumVGPRsForWavesPerEU: 40
; AccumOffset: 40
; Occupancy: 8
; WaveLimiterHint : 0
; COMPUTE_PGM_RSRC2:SCRATCH_EN: 0
; COMPUTE_PGM_RSRC2:USER_SGPR: 6
; COMPUTE_PGM_RSRC2:TRAP_HANDLER: 0
; COMPUTE_PGM_RSRC2:TGID_X_EN: 1
; COMPUTE_PGM_RSRC2:TGID_Y_EN: 1
; COMPUTE_PGM_RSRC2:TGID_Z_EN: 0
; COMPUTE_PGM_RSRC2:TIDIG_COMP_CNT: 0
; COMPUTE_PGM_RSRC3_GFX90A:ACCUM_OFFSET: 9
; COMPUTE_PGM_RSRC3_GFX90A:TG_SPLIT: 0
	.section	.text._Z49per_token_group_quant_8bit_packed_register_kernelIN3c108BFloat16ENS0_13Float8_e4m3fnELi128ELi8ELi2EEvPKT_PvPjiiiiilfff,"axG",@progbits,_Z49per_token_group_quant_8bit_packed_register_kernelIN3c108BFloat16ENS0_13Float8_e4m3fnELi128ELi8ELi2EEvPKT_PvPjiiiiilfff,comdat
	.protected	_Z49per_token_group_quant_8bit_packed_register_kernelIN3c108BFloat16ENS0_13Float8_e4m3fnELi128ELi8ELi2EEvPKT_PvPjiiiiilfff ; -- Begin function _Z49per_token_group_quant_8bit_packed_register_kernelIN3c108BFloat16ENS0_13Float8_e4m3fnELi128ELi8ELi2EEvPKT_PvPjiiiiilfff
	.globl	_Z49per_token_group_quant_8bit_packed_register_kernelIN3c108BFloat16ENS0_13Float8_e4m3fnELi128ELi8ELi2EEvPKT_PvPjiiiiilfff
	.p2align	8
	.type	_Z49per_token_group_quant_8bit_packed_register_kernelIN3c108BFloat16ENS0_13Float8_e4m3fnELi128ELi8ELi2EEvPKT_PvPjiiiiilfff,@function
_Z49per_token_group_quant_8bit_packed_register_kernelIN3c108BFloat16ENS0_13Float8_e4m3fnELi128ELi8ELi2EEvPKT_PvPjiiiiilfff: ; @_Z49per_token_group_quant_8bit_packed_register_kernelIN3c108BFloat16ENS0_13Float8_e4m3fnELi128ELi8ELi2EEvPKT_PvPjiiiiilfff
; %bb.0:
	s_load_dwordx4 s[8:11], s[4:5], 0x1c
	v_lshrrev_b32_e32 v1, 6, v0
	v_lshl_add_u32 v12, s7, 1, v1
	s_waitcnt lgkmcnt(0)
	v_cmp_gt_i32_e32 vcc, s11, v12
	s_and_saveexec_b64 s[0:1], vcc
	s_cbranch_execz .LBB49_110
; %bb.1:
	s_load_dwordx4 s[12:15], s[4:5], 0x38
	v_lshrrev_b32_e32 v1, 3, v0
	s_lshl_b32 s0, s6, 3
	v_and_or_b32 v10, v1, 7, s0
	v_cmp_gt_i32_e64 s[2:3], s9, v12
	v_cmp_gt_i32_e64 s[0:1], s8, v10
	v_and_b32_e32 v13, 7, v0
	s_and_b64 s[6:7], s[2:3], s[0:1]
	s_waitcnt lgkmcnt(0)
	v_mov_b32_e32 v8, s12
	v_ashrrev_i32_e32 v16, 31, v12
	v_lshlrev_b32_e32 v14, 7, v10
                                        ; implicit-def: $vgpr15
                                        ; implicit-def: $vgpr3
                                        ; implicit-def: $vgpr17
                                        ; implicit-def: $vgpr18
                                        ; implicit-def: $vgpr20
                                        ; implicit-def: $vgpr25
                                        ; implicit-def: $vgpr7
                                        ; implicit-def: $vgpr28
                                        ; implicit-def: $vgpr24
                                        ; implicit-def: $vgpr19
	s_and_saveexec_b64 s[16:17], s[6:7]
	s_cbranch_execz .LBB49_3
; %bb.2:
	s_load_dwordx2 s[18:19], s[4:5], 0x0
	v_alignbit_b32 v0, v16, v12, 24
	s_ashr_i32 s9, s8, 31
	v_lshlrev_b32_e32 v2, 8, v12
	v_mul_lo_u32 v4, v0, s8
	s_waitcnt lgkmcnt(0)
	v_pk_mov_b32 v[0:1], s[18:19], s[18:19] op_sel:[0,1]
	v_mul_lo_u32 v3, v2, s9
	v_mad_u64_u32 v[0:1], s[18:19], v2, s8, v[0:1]
	v_ashrrev_i32_e32 v15, 31, v14
	v_add3_u32 v1, v4, v1, v3
	v_lshlrev_b64 v[2:3], 1, v[14:15]
	v_add_co_u32_e32 v0, vcc, v0, v2
	v_addc_co_u32_e32 v1, vcc, v1, v3, vcc
	v_lshlrev_b32_e32 v2, 5, v13
	v_add_co_u32_e32 v8, vcc, v0, v2
	v_addc_co_u32_e32 v9, vcc, 0, v1, vcc
	global_load_dwordx4 v[4:7], v[8:9], off
	global_load_dwordx4 v[0:3], v[8:9], off offset:16
	s_waitcnt vmcnt(1)
	v_lshlrev_b32_e32 v8, 16, v4
	v_and_b32_e32 v9, 0xffff0000, v4
	v_lshlrev_b32_e32 v11, 16, v5
	v_and_b32_e32 v21, 0xffff0000, v5
	v_max3_f32 v8, s12, |v8|, |v9|
	v_lshlrev_b32_e32 v22, 16, v6
	v_and_b32_e32 v23, 0xffff0000, v6
	v_max3_f32 v8, v8, |v11|, |v21|
	v_lshlrev_b32_e32 v26, 16, v7
	v_and_b32_e32 v27, 0xffff0000, v7
	v_max3_f32 v8, v8, |v22|, |v23|
	s_waitcnt vmcnt(0)
	v_lshlrev_b32_e32 v29, 16, v0
	v_and_b32_e32 v30, 0xffff0000, v0
	v_max3_f32 v8, v8, |v26|, |v27|
	v_lshlrev_b32_e32 v31, 16, v1
	v_and_b32_e32 v32, 0xffff0000, v1
	v_max3_f32 v8, v8, |v29|, |v30|
	;; [unrolled: 3-line block ×3, first 2 shown]
	v_lshlrev_b32_e32 v35, 16, v3
	v_max3_f32 v8, v8, |v33|, |v34|
	v_and_b32_e32 v9, 0xffff0000, v3
	v_lshrrev_b32_e32 v19, 16, v4
	v_lshrrev_b32_e32 v24, 16, v5
	;; [unrolled: 1-line block ×8, first 2 shown]
	v_max3_f32 v8, v8, |v35|, |v9|
.LBB49_3:
	s_or_b64 exec, exec, s[16:17]
	v_mbcnt_lo_u32_b32 v9, -1, 0
	v_mbcnt_hi_u32_b32 v9, -1, v9
	v_and_b32_e32 v21, 0x78, v9
	v_xor_b32_e32 v11, 4, v9
	v_add_u32_e32 v21, 8, v21
	v_cmp_lt_i32_e32 vcc, v11, v21
	v_cndmask_b32_e32 v11, v9, v11, vcc
	v_lshlrev_b32_e32 v11, 2, v11
	ds_bpermute_b32 v11, v11, v8
	v_xor_b32_e32 v22, 2, v9
	v_max_f32_e32 v8, v8, v8
	v_cmp_lt_i32_e32 vcc, v22, v21
	s_waitcnt lgkmcnt(0)
	v_max_f32_e32 v11, v11, v11
	v_max_f32_e32 v8, v8, v11
	v_cndmask_b32_e32 v11, v9, v22, vcc
	v_lshlrev_b32_e32 v11, 2, v11
	ds_bpermute_b32 v11, v11, v8
	v_xor_b32_e32 v22, 1, v9
	v_cmp_lt_i32_e32 vcc, v22, v21
	v_cndmask_b32_e32 v9, v9, v22, vcc
	v_lshlrev_b32_e32 v9, 2, v9
	s_waitcnt lgkmcnt(0)
	v_max_f32_e32 v11, v11, v11
	v_max_f32_e32 v8, v8, v11
	ds_bpermute_b32 v9, v9, v8
	s_waitcnt lgkmcnt(0)
	v_max_f32_e32 v9, v9, v9
	v_max_f32_e32 v8, v8, v9
	v_div_scale_f32 v9, s[16:17], s14, s14, v8
	v_rcp_f32_e32 v11, v9
	v_div_scale_f32 v21, vcc, v8, s14, v8
	s_xor_b64 s[16:17], s[6:7], -1
	v_fma_f32 v22, -v9, v11, 1.0
	v_fmac_f32_e32 v11, v22, v11
	v_mul_f32_e32 v22, v21, v11
	v_fma_f32 v23, -v9, v22, v21
	v_fmac_f32_e32 v22, v23, v11
	v_fma_f32 v9, -v9, v22, v21
	v_div_fmas_f32 v9, v9, v11, v22
	v_div_fixup_f32 v8, v9, s14, v8
	v_max_f32_e32 v8, 0x2edbe6ff, v8
	v_lshrrev_b32_e32 v9, 23, v8
	v_and_b32_e32 v8, 0x7fffff, v8
	v_cmp_ne_u32_e32 vcc, 0, v8
	v_addc_co_u32_e32 v21, vcc, 0, v9, vcc
	v_cmp_eq_u32_e32 vcc, 0, v13
	s_and_saveexec_b64 s[18:19], vcc
	s_cbranch_execz .LBB49_8
; %bb.4:
	v_ashrrev_i32_e32 v8, 31, v10
	v_lshrrev_b32_e32 v8, 30, v8
	v_add_u32_e32 v8, v10, v8
	v_ashrrev_i32_e32 v11, 2, v8
	v_mad_u64_u32 v[8:9], s[20:21], v11, s11, v[12:13]
	v_mov_b32_e32 v22, v21
	s_and_saveexec_b64 s[20:21], s[16:17]
	s_cbranch_execz .LBB49_6
; %bb.5:
	s_load_dwordx2 s[22:23], s[4:5], 0x30
	v_ashrrev_i32_e32 v9, 31, v8
	s_andn2_b64 s[6:7], s[6:7], exec
	v_mov_b32_e32 v22, 0
	s_waitcnt lgkmcnt(0)
	v_cmp_gt_i64_e32 vcc, s[22:23], v[8:9]
	s_and_b64 s[22:23], vcc, exec
	s_or_b64 s[6:7], s[6:7], s[22:23]
.LBB49_6:
	s_or_b64 exec, exec, s[20:21]
	s_and_b64 exec, exec, s[6:7]
	s_cbranch_execz .LBB49_8
; %bb.7:
	s_load_dwordx2 s[6:7], s[4:5], 0x10
	v_lshlrev_b32_e32 v9, 2, v11
	v_sub_u32_e32 v9, v10, v9
	v_lshl_add_u32 v8, v8, 2, v9
	v_ashrrev_i32_e32 v9, 31, v8
	s_waitcnt lgkmcnt(0)
	v_mov_b32_e32 v10, s7
	v_add_co_u32_e32 v8, vcc, s6, v8
	v_addc_co_u32_e32 v9, vcc, v10, v9, vcc
	global_store_byte v[8:9], v22, off
.LBB49_8:
	s_or_b64 exec, exec, s[18:19]
	s_mov_b64 s[6:7], 0
                                        ; implicit-def: $sgpr9
	s_and_saveexec_b64 s[18:19], s[16:17]
	s_xor_b64 s[16:17], exec, s[18:19]
; %bb.9:
	s_xor_b64 s[2:3], s[2:3], -1
	v_cmp_gt_i32_e32 vcc, s10, v12
	s_and_b64 s[2:3], vcc, s[2:3]
	s_and_b64 s[0:1], s[0:1], s[2:3]
	s_mov_b32 s9, 0
	s_and_b64 s[6:7], s[0:1], exec
                                        ; implicit-def: $vgpr15
                                        ; implicit-def: $vgpr3
                                        ; implicit-def: $vgpr17
                                        ; implicit-def: $vgpr18
                                        ; implicit-def: $vgpr20
                                        ; implicit-def: $vgpr25
                                        ; implicit-def: $vgpr7
                                        ; implicit-def: $vgpr28
                                        ; implicit-def: $vgpr24
                                        ; implicit-def: $vgpr19
                                        ; implicit-def: $vgpr21
; %bb.10:
	s_or_saveexec_b64 s[0:1], s[16:17]
	v_mov_b32_e32 v11, s9
	v_mov_b32_e32 v10, s9
	;; [unrolled: 1-line block ×4, first 2 shown]
	s_xor_b64 exec, exec, s[0:1]
	s_cbranch_execz .LBB49_108
; %bb.11:
	v_lshlrev_b32_e32 v8, 23, v21
	v_and_b32_e32 v8, 0x7f800000, v8
	v_div_scale_f32 v9, s[2:3], v8, v8, 1.0
	v_rcp_f32_e32 v10, v9
	v_div_scale_f32 v11, vcc, 1.0, v8, 1.0
	v_lshlrev_b32_e32 v4, 16, v4
	v_fma_f32 v21, -v9, v10, 1.0
	v_fmac_f32_e32 v10, v21, v10
	v_mul_f32_e32 v21, v11, v10
	v_fma_f32 v22, -v9, v21, v11
	v_fmac_f32_e32 v21, v22, v10
	v_fma_f32 v9, -v9, v21, v11
	v_div_fmas_f32 v9, v9, v10, v21
	v_div_fixup_f32 v9, v9, v8, 1.0
	v_mul_f32_e32 v4, v9, v4
	v_max_f32_e64 v10, s13, s13
	v_max_f32_e32 v4, v4, v10
	v_max_f32_e64 v21, s14, s14
	v_min_f32_e32 v4, v4, v21
	v_and_b32_e32 v22, 0x7fffffff, v4
	s_mov_b32 s9, 0x43f00000
	v_cmp_gt_u32_e32 vcc, s9, v22
	v_mov_b32_e32 v8, 0x7f
	v_mov_b32_e32 v11, 0x7f
	s_and_saveexec_b64 s[2:3], vcc
	s_cbranch_execz .LBB49_17
; %bb.12:
	s_mov_b32 s10, 0x3c7fffff
	v_cmp_lt_u32_e32 vcc, s10, v22
                                        ; implicit-def: $vgpr11
	s_and_saveexec_b64 s[10:11], vcc
	s_xor_b64 s[10:11], exec, s[10:11]
; %bb.13:
	v_bfe_u32 v11, v4, 20, 1
	s_mov_b32 s12, 0x407ffff
	v_add3_u32 v11, v4, v11, s12
	v_lshrrev_b32_e32 v11, 20, v11
; %bb.14:
	s_andn2_saveexec_b64 s[10:11], s[10:11]
; %bb.15:
	s_mov_b32 s12, 0x46800000
	v_add_f32_e64 v11, |v4|, s12
; %bb.16:
	s_or_b64 exec, exec, s[10:11]
.LBB49_17:
	s_or_b64 exec, exec, s[2:3]
	v_lshlrev_b32_e32 v19, 16, v19
	v_mul_f32_e32 v19, v9, v19
	v_max_f32_e32 v19, v19, v10
	v_min_f32_e32 v19, v19, v21
	v_and_b32_e32 v22, 0x7fffffff, v19
	v_cmp_gt_u32_e32 vcc, s9, v22
	s_and_saveexec_b64 s[2:3], vcc
	s_cbranch_execz .LBB49_23
; %bb.18:
	s_mov_b32 s9, 0x3c7fffff
	v_cmp_lt_u32_e32 vcc, s9, v22
                                        ; implicit-def: $vgpr8
	s_and_saveexec_b64 s[10:11], vcc
	s_xor_b64 s[10:11], exec, s[10:11]
; %bb.19:
	v_bfe_u32 v8, v19, 20, 1
	s_mov_b32 s9, 0x407ffff
	v_add3_u32 v8, v19, v8, s9
	v_lshrrev_b32_e32 v8, 20, v8
; %bb.20:
	s_andn2_saveexec_b64 s[10:11], s[10:11]
; %bb.21:
	s_mov_b32 s9, 0x46800000
	v_add_f32_e64 v8, |v19|, s9
; %bb.22:
	s_or_b64 exec, exec, s[10:11]
.LBB49_23:
	s_or_b64 exec, exec, s[2:3]
	v_lshlrev_b32_e32 v5, 16, v5
	v_mul_f32_e32 v5, v9, v5
	v_max_f32_e32 v5, v5, v10
	v_min_f32_e32 v5, v5, v21
	v_and_b32_e32 v26, 0x7fffffff, v5
	s_mov_b32 s9, 0x43f00000
	v_cmp_gt_u32_e32 vcc, s9, v26
	v_mov_b32_e32 v22, 0x7f
	v_mov_b32_e32 v23, 0x7f
	s_and_saveexec_b64 s[2:3], vcc
	s_cbranch_execz .LBB49_29
; %bb.24:
	s_mov_b32 s10, 0x3c7fffff
	v_cmp_lt_u32_e32 vcc, s10, v26
                                        ; implicit-def: $vgpr23
	s_and_saveexec_b64 s[10:11], vcc
	s_xor_b64 s[10:11], exec, s[10:11]
; %bb.25:
	v_bfe_u32 v23, v5, 20, 1
	s_mov_b32 s12, 0x407ffff
	v_add3_u32 v23, v5, v23, s12
	v_lshrrev_b32_e32 v23, 20, v23
; %bb.26:
	s_andn2_saveexec_b64 s[10:11], s[10:11]
; %bb.27:
	s_mov_b32 s12, 0x46800000
	v_add_f32_e64 v23, |v5|, s12
; %bb.28:
	s_or_b64 exec, exec, s[10:11]
.LBB49_29:
	s_or_b64 exec, exec, s[2:3]
	v_lshlrev_b32_e32 v24, 16, v24
	v_mul_f32_e32 v24, v9, v24
	v_max_f32_e32 v24, v24, v10
	v_min_f32_e32 v24, v24, v21
	v_and_b32_e32 v26, 0x7fffffff, v24
	v_cmp_gt_u32_e32 vcc, s9, v26
	s_and_saveexec_b64 s[2:3], vcc
	s_cbranch_execz .LBB49_35
; %bb.30:
	s_mov_b32 s9, 0x3c7fffff
	v_cmp_lt_u32_e32 vcc, s9, v26
                                        ; implicit-def: $vgpr22
	s_and_saveexec_b64 s[10:11], vcc
	s_xor_b64 s[10:11], exec, s[10:11]
; %bb.31:
	v_bfe_u32 v22, v24, 20, 1
	s_mov_b32 s9, 0x407ffff
	v_add3_u32 v22, v24, v22, s9
	v_lshrrev_b32_e32 v22, 20, v22
; %bb.32:
	s_andn2_saveexec_b64 s[10:11], s[10:11]
; %bb.33:
	s_mov_b32 s9, 0x46800000
	v_add_f32_e64 v22, |v24|, s9
; %bb.34:
	s_or_b64 exec, exec, s[10:11]
.LBB49_35:
	s_or_b64 exec, exec, s[2:3]
	v_lshlrev_b32_e32 v6, 16, v6
	v_mul_f32_e32 v6, v9, v6
	v_max_f32_e32 v6, v6, v10
	v_min_f32_e32 v6, v6, v21
	v_and_b32_e32 v29, 0x7fffffff, v6
	s_mov_b32 s9, 0x43f00000
	v_cmp_gt_u32_e32 vcc, s9, v29
	v_mov_b32_e32 v26, 0x7f
	v_mov_b32_e32 v27, 0x7f
	s_and_saveexec_b64 s[2:3], vcc
	s_cbranch_execz .LBB49_41
; %bb.36:
	s_mov_b32 s10, 0x3c7fffff
	v_cmp_lt_u32_e32 vcc, s10, v29
                                        ; implicit-def: $vgpr27
	s_and_saveexec_b64 s[10:11], vcc
	s_xor_b64 s[10:11], exec, s[10:11]
; %bb.37:
	v_bfe_u32 v27, v6, 20, 1
	s_mov_b32 s12, 0x407ffff
	v_add3_u32 v27, v6, v27, s12
	v_lshrrev_b32_e32 v27, 20, v27
; %bb.38:
	s_andn2_saveexec_b64 s[10:11], s[10:11]
; %bb.39:
	s_mov_b32 s12, 0x46800000
	v_add_f32_e64 v27, |v6|, s12
; %bb.40:
	s_or_b64 exec, exec, s[10:11]
.LBB49_41:
	s_or_b64 exec, exec, s[2:3]
	v_lshlrev_b32_e32 v28, 16, v28
	v_mul_f32_e32 v28, v9, v28
	v_max_f32_e32 v28, v28, v10
	v_min_f32_e32 v28, v28, v21
	v_and_b32_e32 v29, 0x7fffffff, v28
	v_cmp_gt_u32_e32 vcc, s9, v29
	s_and_saveexec_b64 s[2:3], vcc
	s_cbranch_execz .LBB49_47
; %bb.42:
	s_mov_b32 s9, 0x3c7fffff
	v_cmp_lt_u32_e32 vcc, s9, v29
                                        ; implicit-def: $vgpr26
	s_and_saveexec_b64 s[10:11], vcc
	s_xor_b64 s[10:11], exec, s[10:11]
; %bb.43:
	v_bfe_u32 v26, v28, 20, 1
	s_mov_b32 s9, 0x407ffff
	v_add3_u32 v26, v28, v26, s9
	v_lshrrev_b32_e32 v26, 20, v26
; %bb.44:
	s_andn2_saveexec_b64 s[10:11], s[10:11]
; %bb.45:
	s_mov_b32 s9, 0x46800000
	v_add_f32_e64 v26, |v28|, s9
; %bb.46:
	s_or_b64 exec, exec, s[10:11]
.LBB49_47:
	s_or_b64 exec, exec, s[2:3]
	v_lshlrev_b32_e32 v7, 16, v7
	v_mul_f32_e32 v7, v9, v7
	v_max_f32_e32 v7, v7, v10
	v_min_f32_e32 v7, v7, v21
	v_and_b32_e32 v31, 0x7fffffff, v7
	s_mov_b32 s9, 0x43f00000
	v_cmp_gt_u32_e32 vcc, s9, v31
	v_mov_b32_e32 v29, 0x7f
	v_mov_b32_e32 v30, 0x7f
	s_and_saveexec_b64 s[2:3], vcc
	s_cbranch_execz .LBB49_53
; %bb.48:
	s_mov_b32 s10, 0x3c7fffff
	v_cmp_lt_u32_e32 vcc, s10, v31
                                        ; implicit-def: $vgpr30
	s_and_saveexec_b64 s[10:11], vcc
	s_xor_b64 s[10:11], exec, s[10:11]
; %bb.49:
	v_bfe_u32 v30, v7, 20, 1
	s_mov_b32 s12, 0x407ffff
	v_add3_u32 v30, v7, v30, s12
	v_lshrrev_b32_e32 v30, 20, v30
; %bb.50:
	s_andn2_saveexec_b64 s[10:11], s[10:11]
; %bb.51:
	s_mov_b32 s12, 0x46800000
	v_add_f32_e64 v30, |v7|, s12
; %bb.52:
	s_or_b64 exec, exec, s[10:11]
.LBB49_53:
	s_or_b64 exec, exec, s[2:3]
	v_lshlrev_b32_e32 v25, 16, v25
	v_mul_f32_e32 v25, v9, v25
	v_max_f32_e32 v25, v25, v10
	v_min_f32_e32 v25, v25, v21
	v_and_b32_e32 v31, 0x7fffffff, v25
	v_cmp_gt_u32_e32 vcc, s9, v31
	s_and_saveexec_b64 s[2:3], vcc
	s_cbranch_execz .LBB49_59
; %bb.54:
	s_mov_b32 s9, 0x3c7fffff
	v_cmp_lt_u32_e32 vcc, s9, v31
                                        ; implicit-def: $vgpr29
	s_and_saveexec_b64 s[10:11], vcc
	s_xor_b64 s[10:11], exec, s[10:11]
; %bb.55:
	v_bfe_u32 v29, v25, 20, 1
	s_mov_b32 s9, 0x407ffff
	v_add3_u32 v29, v25, v29, s9
	v_lshrrev_b32_e32 v29, 20, v29
; %bb.56:
	s_andn2_saveexec_b64 s[10:11], s[10:11]
; %bb.57:
	s_mov_b32 s9, 0x46800000
	v_add_f32_e64 v29, |v25|, s9
; %bb.58:
	s_or_b64 exec, exec, s[10:11]
.LBB49_59:
	s_or_b64 exec, exec, s[2:3]
	v_lshlrev_b32_e32 v0, 16, v0
	v_mul_f32_e32 v0, v9, v0
	v_max_f32_e32 v0, v0, v10
	v_min_f32_e32 v0, v0, v21
	v_and_b32_e32 v33, 0x7fffffff, v0
	s_mov_b32 s9, 0x43f00000
	v_cmp_gt_u32_e32 vcc, s9, v33
	v_mov_b32_e32 v31, 0x7f
	v_mov_b32_e32 v32, 0x7f
	s_and_saveexec_b64 s[2:3], vcc
	s_cbranch_execz .LBB49_65
; %bb.60:
	s_mov_b32 s10, 0x3c7fffff
	v_cmp_lt_u32_e32 vcc, s10, v33
                                        ; implicit-def: $vgpr32
	s_and_saveexec_b64 s[10:11], vcc
	s_xor_b64 s[10:11], exec, s[10:11]
; %bb.61:
	v_bfe_u32 v32, v0, 20, 1
	s_mov_b32 s12, 0x407ffff
	v_add3_u32 v32, v0, v32, s12
	v_lshrrev_b32_e32 v32, 20, v32
; %bb.62:
	s_andn2_saveexec_b64 s[10:11], s[10:11]
; %bb.63:
	s_mov_b32 s12, 0x46800000
	v_add_f32_e64 v32, |v0|, s12
; %bb.64:
	s_or_b64 exec, exec, s[10:11]
.LBB49_65:
	s_or_b64 exec, exec, s[2:3]
	v_lshlrev_b32_e32 v20, 16, v20
	v_mul_f32_e32 v20, v9, v20
	v_max_f32_e32 v20, v20, v10
	v_min_f32_e32 v20, v20, v21
	v_and_b32_e32 v33, 0x7fffffff, v20
	v_cmp_gt_u32_e32 vcc, s9, v33
	s_and_saveexec_b64 s[2:3], vcc
	s_cbranch_execz .LBB49_71
; %bb.66:
	s_mov_b32 s9, 0x3c7fffff
	v_cmp_lt_u32_e32 vcc, s9, v33
                                        ; implicit-def: $vgpr31
	s_and_saveexec_b64 s[10:11], vcc
	s_xor_b64 s[10:11], exec, s[10:11]
; %bb.67:
	v_bfe_u32 v31, v20, 20, 1
	s_mov_b32 s9, 0x407ffff
	v_add3_u32 v31, v20, v31, s9
	v_lshrrev_b32_e32 v31, 20, v31
; %bb.68:
	s_andn2_saveexec_b64 s[10:11], s[10:11]
; %bb.69:
	s_mov_b32 s9, 0x46800000
	v_add_f32_e64 v31, |v20|, s9
; %bb.70:
	s_or_b64 exec, exec, s[10:11]
.LBB49_71:
	s_or_b64 exec, exec, s[2:3]
	v_lshlrev_b32_e32 v1, 16, v1
	v_mul_f32_e32 v1, v9, v1
	v_max_f32_e32 v1, v1, v10
	v_min_f32_e32 v1, v1, v21
	v_and_b32_e32 v35, 0x7fffffff, v1
	s_mov_b32 s9, 0x43f00000
	v_cmp_gt_u32_e32 vcc, s9, v35
	v_mov_b32_e32 v33, 0x7f
	v_mov_b32_e32 v34, 0x7f
	s_and_saveexec_b64 s[2:3], vcc
	s_cbranch_execz .LBB49_77
; %bb.72:
	s_mov_b32 s10, 0x3c7fffff
	v_cmp_lt_u32_e32 vcc, s10, v35
                                        ; implicit-def: $vgpr34
	s_and_saveexec_b64 s[10:11], vcc
	s_xor_b64 s[10:11], exec, s[10:11]
; %bb.73:
	v_bfe_u32 v34, v1, 20, 1
	s_mov_b32 s12, 0x407ffff
	v_add3_u32 v34, v1, v34, s12
	v_lshrrev_b32_e32 v34, 20, v34
; %bb.74:
	s_andn2_saveexec_b64 s[10:11], s[10:11]
; %bb.75:
	s_mov_b32 s12, 0x46800000
	v_add_f32_e64 v34, |v1|, s12
; %bb.76:
	s_or_b64 exec, exec, s[10:11]
.LBB49_77:
	s_or_b64 exec, exec, s[2:3]
	v_lshlrev_b32_e32 v18, 16, v18
	v_mul_f32_e32 v18, v9, v18
	v_max_f32_e32 v18, v18, v10
	v_min_f32_e32 v18, v18, v21
	v_and_b32_e32 v35, 0x7fffffff, v18
	v_cmp_gt_u32_e32 vcc, s9, v35
	s_and_saveexec_b64 s[2:3], vcc
	s_cbranch_execz .LBB49_83
; %bb.78:
	s_mov_b32 s9, 0x3c7fffff
	v_cmp_lt_u32_e32 vcc, s9, v35
                                        ; implicit-def: $vgpr33
	s_and_saveexec_b64 s[10:11], vcc
	s_xor_b64 s[10:11], exec, s[10:11]
; %bb.79:
	v_bfe_u32 v33, v18, 20, 1
	s_mov_b32 s9, 0x407ffff
	v_add3_u32 v33, v18, v33, s9
	v_lshrrev_b32_e32 v33, 20, v33
; %bb.80:
	s_andn2_saveexec_b64 s[10:11], s[10:11]
; %bb.81:
	s_mov_b32 s9, 0x46800000
	v_add_f32_e64 v33, |v18|, s9
; %bb.82:
	s_or_b64 exec, exec, s[10:11]
.LBB49_83:
	s_or_b64 exec, exec, s[2:3]
	v_lshlrev_b32_e32 v2, 16, v2
	v_mul_f32_e32 v2, v9, v2
	v_max_f32_e32 v2, v2, v10
	v_min_f32_e32 v2, v2, v21
	v_and_b32_e32 v37, 0x7fffffff, v2
	s_mov_b32 s9, 0x43f00000
	v_cmp_gt_u32_e32 vcc, s9, v37
	v_mov_b32_e32 v35, 0x7f
	v_mov_b32_e32 v36, 0x7f
	s_and_saveexec_b64 s[2:3], vcc
	s_cbranch_execz .LBB49_89
; %bb.84:
	s_mov_b32 s10, 0x3c7fffff
	v_cmp_lt_u32_e32 vcc, s10, v37
                                        ; implicit-def: $vgpr36
	s_and_saveexec_b64 s[10:11], vcc
	s_xor_b64 s[10:11], exec, s[10:11]
; %bb.85:
	v_bfe_u32 v36, v2, 20, 1
	s_mov_b32 s12, 0x407ffff
	v_add3_u32 v36, v2, v36, s12
	v_lshrrev_b32_e32 v36, 20, v36
; %bb.86:
	s_andn2_saveexec_b64 s[10:11], s[10:11]
; %bb.87:
	s_mov_b32 s12, 0x46800000
	v_add_f32_e64 v36, |v2|, s12
; %bb.88:
	s_or_b64 exec, exec, s[10:11]
.LBB49_89:
	s_or_b64 exec, exec, s[2:3]
	v_lshlrev_b32_e32 v17, 16, v17
	v_mul_f32_e32 v17, v9, v17
	v_max_f32_e32 v17, v17, v10
	v_min_f32_e32 v17, v17, v21
	v_and_b32_e32 v37, 0x7fffffff, v17
	v_cmp_gt_u32_e32 vcc, s9, v37
	s_and_saveexec_b64 s[2:3], vcc
	s_cbranch_execz .LBB49_95
; %bb.90:
	s_mov_b32 s9, 0x3c7fffff
	v_cmp_lt_u32_e32 vcc, s9, v37
                                        ; implicit-def: $vgpr35
	s_and_saveexec_b64 s[10:11], vcc
	s_xor_b64 s[10:11], exec, s[10:11]
; %bb.91:
	v_bfe_u32 v35, v17, 20, 1
	s_mov_b32 s9, 0x407ffff
	v_add3_u32 v35, v17, v35, s9
	v_lshrrev_b32_e32 v35, 20, v35
; %bb.92:
	s_andn2_saveexec_b64 s[10:11], s[10:11]
; %bb.93:
	s_mov_b32 s9, 0x46800000
	v_add_f32_e64 v35, |v17|, s9
; %bb.94:
	s_or_b64 exec, exec, s[10:11]
.LBB49_95:
	s_or_b64 exec, exec, s[2:3]
	v_lshlrev_b32_e32 v3, 16, v3
	v_mul_f32_e32 v3, v9, v3
	v_max_f32_e32 v3, v3, v10
	v_min_f32_e32 v37, v3, v21
	v_and_b32_e32 v39, 0x7fffffff, v37
	s_mov_b32 s9, 0x43f00000
	v_cmp_gt_u32_e32 vcc, s9, v39
	v_mov_b32_e32 v3, 0x7f
	v_mov_b32_e32 v38, 0x7f
	s_and_saveexec_b64 s[2:3], vcc
	s_cbranch_execz .LBB49_101
; %bb.96:
	s_mov_b32 s10, 0x3c7fffff
	v_cmp_lt_u32_e32 vcc, s10, v39
                                        ; implicit-def: $vgpr38
	s_and_saveexec_b64 s[10:11], vcc
	s_xor_b64 s[10:11], exec, s[10:11]
; %bb.97:
	v_bfe_u32 v38, v37, 20, 1
	s_mov_b32 s12, 0x407ffff
	v_add3_u32 v38, v37, v38, s12
	v_lshrrev_b32_e32 v38, 20, v38
; %bb.98:
	s_andn2_saveexec_b64 s[10:11], s[10:11]
; %bb.99:
	s_mov_b32 s12, 0x46800000
	v_add_f32_e64 v38, |v37|, s12
; %bb.100:
	s_or_b64 exec, exec, s[10:11]
.LBB49_101:
	s_or_b64 exec, exec, s[2:3]
	v_lshlrev_b32_e32 v15, 16, v15
	v_mul_f32_e32 v9, v9, v15
	v_max_f32_e32 v9, v9, v10
	v_min_f32_e32 v15, v9, v21
	v_and_b32_e32 v9, 0x7fffffff, v15
	v_cmp_gt_u32_e32 vcc, s9, v9
	s_and_saveexec_b64 s[2:3], vcc
	s_cbranch_execz .LBB49_107
; %bb.102:
	s_mov_b32 s9, 0x3c7fffff
	v_cmp_lt_u32_e32 vcc, s9, v9
                                        ; implicit-def: $vgpr3
	s_and_saveexec_b64 s[10:11], vcc
	s_xor_b64 s[10:11], exec, s[10:11]
; %bb.103:
	v_bfe_u32 v3, v15, 20, 1
	s_mov_b32 s9, 0x407ffff
	v_add3_u32 v3, v15, v3, s9
	v_lshrrev_b32_e32 v3, 20, v3
; %bb.104:
	s_andn2_saveexec_b64 s[10:11], s[10:11]
; %bb.105:
	s_mov_b32 s9, 0x46800000
	v_add_f32_e64 v3, |v15|, s9
; %bb.106:
	s_or_b64 exec, exec, s[10:11]
.LBB49_107:
	s_or_b64 exec, exec, s[2:3]
	s_movk_i32 s2, 0x80
	v_and_b32_sdwa v2, v2, s2 dst_sel:DWORD dst_unused:UNUSED_PAD src0_sel:BYTE_3 src1_sel:DWORD
	s_movk_i32 s3, 0xff
	v_and_b32_sdwa v9, v17, s2 dst_sel:DWORD dst_unused:UNUSED_PAD src0_sel:BYTE_3 src1_sel:DWORD
	v_and_or_b32 v2, v36, s3, v2
	v_and_or_b32 v9, v35, s3, v9
	v_lshl_or_b32 v2, v9, 8, v2
	v_and_b32_sdwa v9, v37, s2 dst_sel:DWORD dst_unused:UNUSED_PAD src0_sel:BYTE_3 src1_sel:DWORD
	v_and_or_b32 v9, v38, s3, v9
	v_lshl_or_b32 v2, v9, 16, v2
	v_and_b32_sdwa v0, v0, s2 dst_sel:DWORD dst_unused:UNUSED_PAD src0_sel:BYTE_3 src1_sel:DWORD
	v_and_b32_sdwa v9, v20, s2 dst_sel:DWORD dst_unused:UNUSED_PAD src0_sel:BYTE_3 src1_sel:DWORD
	v_and_or_b32 v0, v32, s3, v0
	v_and_or_b32 v9, v31, s3, v9
	v_and_b32_sdwa v1, v1, s2 dst_sel:DWORD dst_unused:UNUSED_PAD src0_sel:BYTE_3 src1_sel:DWORD
	v_lshl_or_b32 v0, v9, 8, v0
	v_and_or_b32 v1, v34, s3, v1
	v_lshl_or_b32 v0, v1, 16, v0
	v_lshlrev_b32_e32 v1, 24, v33
	v_and_b32_e32 v9, 0x80000000, v18
	v_or3_b32 v10, v9, v1, v0
	v_and_b32_sdwa v0, v6, s2 dst_sel:DWORD dst_unused:UNUSED_PAD src0_sel:BYTE_3 src1_sel:DWORD
	v_and_b32_sdwa v1, v28, s2 dst_sel:DWORD dst_unused:UNUSED_PAD src0_sel:BYTE_3 src1_sel:DWORD
	v_and_or_b32 v0, v27, s3, v0
	v_and_or_b32 v1, v26, s3, v1
	v_lshl_or_b32 v0, v1, 8, v0
	v_and_b32_sdwa v1, v7, s2 dst_sel:DWORD dst_unused:UNUSED_PAD src0_sel:BYTE_3 src1_sel:DWORD
	v_and_or_b32 v1, v30, s3, v1
	v_lshl_or_b32 v0, v1, 16, v0
	v_lshlrev_b32_e32 v1, 24, v29
	v_and_b32_e32 v6, 0x80000000, v25
	v_or3_b32 v9, v6, v1, v0
	v_and_b32_sdwa v0, v4, s2 dst_sel:DWORD dst_unused:UNUSED_PAD src0_sel:BYTE_3 src1_sel:DWORD
	v_and_b32_sdwa v1, v19, s2 dst_sel:DWORD dst_unused:UNUSED_PAD src0_sel:BYTE_3 src1_sel:DWORD
	v_and_or_b32 v0, v11, s3, v0
	v_and_or_b32 v1, v8, s3, v1
	v_lshl_or_b32 v0, v1, 8, v0
	v_and_b32_sdwa v1, v5, s2 dst_sel:DWORD dst_unused:UNUSED_PAD src0_sel:BYTE_3 src1_sel:DWORD
	v_and_or_b32 v1, v23, s3, v1
	v_lshl_or_b32 v0, v1, 16, v0
	v_lshlrev_b32_e32 v1, 24, v22
	v_and_b32_e32 v4, 0x80000000, v24
	v_or3_b32 v8, v4, v1, v0
	v_and_b32_e32 v0, 0x80000000, v15
	v_lshlrev_b32_e32 v1, 24, v3
	v_or3_b32 v11, v0, v1, v2
	s_or_b64 s[6:7], s[6:7], exec
.LBB49_108:
	s_or_b64 exec, exec, s[0:1]
	s_and_b64 exec, exec, s[6:7]
	s_cbranch_execz .LBB49_110
; %bb.109:
	s_load_dwordx2 s[0:1], s[4:5], 0x8
	v_alignbit_b32 v0, v16, v12, 25
	s_ashr_i32 s2, s8, 31
	v_lshlrev_b32_e32 v2, 7, v12
	v_mul_lo_u32 v4, v0, s8
	s_waitcnt lgkmcnt(0)
	v_pk_mov_b32 v[0:1], s[0:1], s[0:1] op_sel:[0,1]
	v_mul_lo_u32 v3, v2, s2
	v_mad_u64_u32 v[0:1], s[0:1], v2, s8, v[0:1]
	v_add3_u32 v1, v4, v1, v3
	v_ashrrev_i32_e32 v2, 31, v14
	v_add_co_u32_e32 v0, vcc, v0, v14
	v_addc_co_u32_e32 v1, vcc, v1, v2, vcc
	v_lshlrev_b32_e32 v2, 4, v13
	v_add_co_u32_e32 v0, vcc, v0, v2
	v_addc_co_u32_e32 v1, vcc, 0, v1, vcc
	global_store_dwordx4 v[0:1], v[8:11], off
.LBB49_110:
	s_endpgm
	.section	.rodata,"a",@progbits
	.p2align	6, 0x0
	.amdhsa_kernel _Z49per_token_group_quant_8bit_packed_register_kernelIN3c108BFloat16ENS0_13Float8_e4m3fnELi128ELi8ELi2EEvPKT_PvPjiiiiilfff
		.amdhsa_group_segment_fixed_size 0
		.amdhsa_private_segment_fixed_size 0
		.amdhsa_kernarg_size 68
		.amdhsa_user_sgpr_count 6
		.amdhsa_user_sgpr_private_segment_buffer 1
		.amdhsa_user_sgpr_dispatch_ptr 0
		.amdhsa_user_sgpr_queue_ptr 0
		.amdhsa_user_sgpr_kernarg_segment_ptr 1
		.amdhsa_user_sgpr_dispatch_id 0
		.amdhsa_user_sgpr_flat_scratch_init 0
		.amdhsa_user_sgpr_kernarg_preload_length 0
		.amdhsa_user_sgpr_kernarg_preload_offset 0
		.amdhsa_user_sgpr_private_segment_size 0
		.amdhsa_uses_dynamic_stack 0
		.amdhsa_system_sgpr_private_segment_wavefront_offset 0
		.amdhsa_system_sgpr_workgroup_id_x 1
		.amdhsa_system_sgpr_workgroup_id_y 1
		.amdhsa_system_sgpr_workgroup_id_z 0
		.amdhsa_system_sgpr_workgroup_info 0
		.amdhsa_system_vgpr_workitem_id 0
		.amdhsa_next_free_vgpr 40
		.amdhsa_next_free_sgpr 24
		.amdhsa_accum_offset 40
		.amdhsa_reserve_vcc 1
		.amdhsa_reserve_flat_scratch 0
		.amdhsa_float_round_mode_32 0
		.amdhsa_float_round_mode_16_64 0
		.amdhsa_float_denorm_mode_32 3
		.amdhsa_float_denorm_mode_16_64 3
		.amdhsa_dx10_clamp 1
		.amdhsa_ieee_mode 1
		.amdhsa_fp16_overflow 0
		.amdhsa_tg_split 0
		.amdhsa_exception_fp_ieee_invalid_op 0
		.amdhsa_exception_fp_denorm_src 0
		.amdhsa_exception_fp_ieee_div_zero 0
		.amdhsa_exception_fp_ieee_overflow 0
		.amdhsa_exception_fp_ieee_underflow 0
		.amdhsa_exception_fp_ieee_inexact 0
		.amdhsa_exception_int_div_zero 0
	.end_amdhsa_kernel
	.section	.text._Z49per_token_group_quant_8bit_packed_register_kernelIN3c108BFloat16ENS0_13Float8_e4m3fnELi128ELi8ELi2EEvPKT_PvPjiiiiilfff,"axG",@progbits,_Z49per_token_group_quant_8bit_packed_register_kernelIN3c108BFloat16ENS0_13Float8_e4m3fnELi128ELi8ELi2EEvPKT_PvPjiiiiilfff,comdat
.Lfunc_end49:
	.size	_Z49per_token_group_quant_8bit_packed_register_kernelIN3c108BFloat16ENS0_13Float8_e4m3fnELi128ELi8ELi2EEvPKT_PvPjiiiiilfff, .Lfunc_end49-_Z49per_token_group_quant_8bit_packed_register_kernelIN3c108BFloat16ENS0_13Float8_e4m3fnELi128ELi8ELi2EEvPKT_PvPjiiiiilfff
                                        ; -- End function
	.section	.AMDGPU.csdata,"",@progbits
; Kernel info:
; codeLenInByte = 3436
; NumSgprs: 28
; NumVgprs: 40
; NumAgprs: 0
; TotalNumVgprs: 40
; ScratchSize: 0
; MemoryBound: 0
; FloatMode: 240
; IeeeMode: 1
; LDSByteSize: 0 bytes/workgroup (compile time only)
; SGPRBlocks: 3
; VGPRBlocks: 4
; NumSGPRsForWavesPerEU: 28
; NumVGPRsForWavesPerEU: 40
; AccumOffset: 40
; Occupancy: 8
; WaveLimiterHint : 0
; COMPUTE_PGM_RSRC2:SCRATCH_EN: 0
; COMPUTE_PGM_RSRC2:USER_SGPR: 6
; COMPUTE_PGM_RSRC2:TRAP_HANDLER: 0
; COMPUTE_PGM_RSRC2:TGID_X_EN: 1
; COMPUTE_PGM_RSRC2:TGID_Y_EN: 1
; COMPUTE_PGM_RSRC2:TGID_Z_EN: 0
; COMPUTE_PGM_RSRC2:TIDIG_COMP_CNT: 0
; COMPUTE_PGM_RSRC3_GFX90A:ACCUM_OFFSET: 9
; COMPUTE_PGM_RSRC3_GFX90A:TG_SPLIT: 0
	.section	.text._Z49per_token_group_quant_8bit_packed_register_kernelIN3c108BFloat16ENS0_13Float8_e4m3fnELi128ELi4ELi4EEvPKT_PvPjiiiiilfff,"axG",@progbits,_Z49per_token_group_quant_8bit_packed_register_kernelIN3c108BFloat16ENS0_13Float8_e4m3fnELi128ELi4ELi4EEvPKT_PvPjiiiiilfff,comdat
	.protected	_Z49per_token_group_quant_8bit_packed_register_kernelIN3c108BFloat16ENS0_13Float8_e4m3fnELi128ELi4ELi4EEvPKT_PvPjiiiiilfff ; -- Begin function _Z49per_token_group_quant_8bit_packed_register_kernelIN3c108BFloat16ENS0_13Float8_e4m3fnELi128ELi4ELi4EEvPKT_PvPjiiiiilfff
	.globl	_Z49per_token_group_quant_8bit_packed_register_kernelIN3c108BFloat16ENS0_13Float8_e4m3fnELi128ELi4ELi4EEvPKT_PvPjiiiiilfff
	.p2align	8
	.type	_Z49per_token_group_quant_8bit_packed_register_kernelIN3c108BFloat16ENS0_13Float8_e4m3fnELi128ELi4ELi4EEvPKT_PvPjiiiiilfff,@function
_Z49per_token_group_quant_8bit_packed_register_kernelIN3c108BFloat16ENS0_13Float8_e4m3fnELi128ELi4ELi4EEvPKT_PvPjiiiiilfff: ; @_Z49per_token_group_quant_8bit_packed_register_kernelIN3c108BFloat16ENS0_13Float8_e4m3fnELi128ELi4ELi4EEvPKT_PvPjiiiiilfff
; %bb.0:
	s_load_dwordx4 s[8:11], s[4:5], 0x1c
	v_lshrrev_b32_e32 v1, 5, v0
	v_lshl_add_u32 v12, s7, 2, v1
	s_waitcnt lgkmcnt(0)
	v_cmp_gt_i32_e32 vcc, s11, v12
	s_and_saveexec_b64 s[0:1], vcc
	s_cbranch_execz .LBB50_110
; %bb.1:
	s_load_dwordx4 s[12:15], s[4:5], 0x38
	v_lshrrev_b32_e32 v1, 3, v0
	s_lshl_b32 s0, s6, 2
	v_and_or_b32 v10, v1, 3, s0
	v_cmp_gt_i32_e64 s[2:3], s9, v12
	v_cmp_gt_i32_e64 s[0:1], s8, v10
	v_and_b32_e32 v13, 7, v0
	s_and_b64 s[6:7], s[2:3], s[0:1]
	s_waitcnt lgkmcnt(0)
	v_mov_b32_e32 v8, s12
	v_ashrrev_i32_e32 v16, 31, v12
	v_lshlrev_b32_e32 v14, 7, v10
                                        ; implicit-def: $vgpr15
                                        ; implicit-def: $vgpr3
                                        ; implicit-def: $vgpr17
                                        ; implicit-def: $vgpr18
                                        ; implicit-def: $vgpr20
                                        ; implicit-def: $vgpr25
                                        ; implicit-def: $vgpr7
                                        ; implicit-def: $vgpr28
                                        ; implicit-def: $vgpr24
                                        ; implicit-def: $vgpr19
	s_and_saveexec_b64 s[16:17], s[6:7]
	s_cbranch_execz .LBB50_3
; %bb.2:
	s_load_dwordx2 s[18:19], s[4:5], 0x0
	v_alignbit_b32 v0, v16, v12, 24
	s_ashr_i32 s9, s8, 31
	v_lshlrev_b32_e32 v2, 8, v12
	v_mul_lo_u32 v4, v0, s8
	s_waitcnt lgkmcnt(0)
	v_pk_mov_b32 v[0:1], s[18:19], s[18:19] op_sel:[0,1]
	v_mul_lo_u32 v3, v2, s9
	v_mad_u64_u32 v[0:1], s[18:19], v2, s8, v[0:1]
	v_ashrrev_i32_e32 v15, 31, v14
	v_add3_u32 v1, v4, v1, v3
	v_lshlrev_b64 v[2:3], 1, v[14:15]
	v_add_co_u32_e32 v0, vcc, v0, v2
	v_addc_co_u32_e32 v1, vcc, v1, v3, vcc
	v_lshlrev_b32_e32 v2, 5, v13
	v_add_co_u32_e32 v8, vcc, v0, v2
	v_addc_co_u32_e32 v9, vcc, 0, v1, vcc
	global_load_dwordx4 v[4:7], v[8:9], off
	global_load_dwordx4 v[0:3], v[8:9], off offset:16
	s_waitcnt vmcnt(1)
	v_lshlrev_b32_e32 v8, 16, v4
	v_and_b32_e32 v9, 0xffff0000, v4
	v_lshlrev_b32_e32 v11, 16, v5
	v_and_b32_e32 v21, 0xffff0000, v5
	v_max3_f32 v8, s12, |v8|, |v9|
	v_lshlrev_b32_e32 v22, 16, v6
	v_and_b32_e32 v23, 0xffff0000, v6
	v_max3_f32 v8, v8, |v11|, |v21|
	v_lshlrev_b32_e32 v26, 16, v7
	v_and_b32_e32 v27, 0xffff0000, v7
	v_max3_f32 v8, v8, |v22|, |v23|
	s_waitcnt vmcnt(0)
	v_lshlrev_b32_e32 v29, 16, v0
	v_and_b32_e32 v30, 0xffff0000, v0
	v_max3_f32 v8, v8, |v26|, |v27|
	v_lshlrev_b32_e32 v31, 16, v1
	v_and_b32_e32 v32, 0xffff0000, v1
	v_max3_f32 v8, v8, |v29|, |v30|
	;; [unrolled: 3-line block ×3, first 2 shown]
	v_lshlrev_b32_e32 v35, 16, v3
	v_max3_f32 v8, v8, |v33|, |v34|
	v_and_b32_e32 v9, 0xffff0000, v3
	v_lshrrev_b32_e32 v19, 16, v4
	v_lshrrev_b32_e32 v24, 16, v5
	;; [unrolled: 1-line block ×8, first 2 shown]
	v_max3_f32 v8, v8, |v35|, |v9|
.LBB50_3:
	s_or_b64 exec, exec, s[16:17]
	v_mbcnt_lo_u32_b32 v9, -1, 0
	v_mbcnt_hi_u32_b32 v9, -1, v9
	v_and_b32_e32 v21, 0x78, v9
	v_xor_b32_e32 v11, 4, v9
	v_add_u32_e32 v21, 8, v21
	v_cmp_lt_i32_e32 vcc, v11, v21
	v_cndmask_b32_e32 v11, v9, v11, vcc
	v_lshlrev_b32_e32 v11, 2, v11
	ds_bpermute_b32 v11, v11, v8
	v_xor_b32_e32 v22, 2, v9
	v_max_f32_e32 v8, v8, v8
	v_cmp_lt_i32_e32 vcc, v22, v21
	s_waitcnt lgkmcnt(0)
	v_max_f32_e32 v11, v11, v11
	v_max_f32_e32 v8, v8, v11
	v_cndmask_b32_e32 v11, v9, v22, vcc
	v_lshlrev_b32_e32 v11, 2, v11
	ds_bpermute_b32 v11, v11, v8
	v_xor_b32_e32 v22, 1, v9
	v_cmp_lt_i32_e32 vcc, v22, v21
	v_cndmask_b32_e32 v9, v9, v22, vcc
	v_lshlrev_b32_e32 v9, 2, v9
	s_waitcnt lgkmcnt(0)
	v_max_f32_e32 v11, v11, v11
	v_max_f32_e32 v8, v8, v11
	ds_bpermute_b32 v9, v9, v8
	s_waitcnt lgkmcnt(0)
	v_max_f32_e32 v9, v9, v9
	v_max_f32_e32 v8, v8, v9
	v_div_scale_f32 v9, s[16:17], s14, s14, v8
	v_rcp_f32_e32 v11, v9
	v_div_scale_f32 v21, vcc, v8, s14, v8
	s_xor_b64 s[16:17], s[6:7], -1
	v_fma_f32 v22, -v9, v11, 1.0
	v_fmac_f32_e32 v11, v22, v11
	v_mul_f32_e32 v22, v21, v11
	v_fma_f32 v23, -v9, v22, v21
	v_fmac_f32_e32 v22, v23, v11
	v_fma_f32 v9, -v9, v22, v21
	v_div_fmas_f32 v9, v9, v11, v22
	v_div_fixup_f32 v8, v9, s14, v8
	v_max_f32_e32 v8, 0x2edbe6ff, v8
	v_lshrrev_b32_e32 v9, 23, v8
	v_and_b32_e32 v8, 0x7fffff, v8
	v_cmp_ne_u32_e32 vcc, 0, v8
	v_addc_co_u32_e32 v21, vcc, 0, v9, vcc
	v_cmp_eq_u32_e32 vcc, 0, v13
	s_and_saveexec_b64 s[18:19], vcc
	s_cbranch_execz .LBB50_8
; %bb.4:
	v_ashrrev_i32_e32 v8, 31, v10
	v_lshrrev_b32_e32 v8, 30, v8
	v_add_u32_e32 v8, v10, v8
	v_ashrrev_i32_e32 v11, 2, v8
	v_mad_u64_u32 v[8:9], s[20:21], v11, s11, v[12:13]
	v_mov_b32_e32 v22, v21
	s_and_saveexec_b64 s[20:21], s[16:17]
	s_cbranch_execz .LBB50_6
; %bb.5:
	s_load_dwordx2 s[22:23], s[4:5], 0x30
	v_ashrrev_i32_e32 v9, 31, v8
	s_andn2_b64 s[6:7], s[6:7], exec
	v_mov_b32_e32 v22, 0
	s_waitcnt lgkmcnt(0)
	v_cmp_gt_i64_e32 vcc, s[22:23], v[8:9]
	s_and_b64 s[22:23], vcc, exec
	s_or_b64 s[6:7], s[6:7], s[22:23]
.LBB50_6:
	s_or_b64 exec, exec, s[20:21]
	s_and_b64 exec, exec, s[6:7]
	s_cbranch_execz .LBB50_8
; %bb.7:
	s_load_dwordx2 s[6:7], s[4:5], 0x10
	v_lshlrev_b32_e32 v9, 2, v11
	v_sub_u32_e32 v9, v10, v9
	v_lshl_add_u32 v8, v8, 2, v9
	v_ashrrev_i32_e32 v9, 31, v8
	s_waitcnt lgkmcnt(0)
	v_mov_b32_e32 v10, s7
	v_add_co_u32_e32 v8, vcc, s6, v8
	v_addc_co_u32_e32 v9, vcc, v10, v9, vcc
	global_store_byte v[8:9], v22, off
.LBB50_8:
	s_or_b64 exec, exec, s[18:19]
	s_mov_b64 s[6:7], 0
                                        ; implicit-def: $sgpr9
	s_and_saveexec_b64 s[18:19], s[16:17]
	s_xor_b64 s[16:17], exec, s[18:19]
; %bb.9:
	s_xor_b64 s[2:3], s[2:3], -1
	v_cmp_gt_i32_e32 vcc, s10, v12
	s_and_b64 s[2:3], vcc, s[2:3]
	s_and_b64 s[0:1], s[0:1], s[2:3]
	s_mov_b32 s9, 0
	s_and_b64 s[6:7], s[0:1], exec
                                        ; implicit-def: $vgpr15
                                        ; implicit-def: $vgpr3
                                        ; implicit-def: $vgpr17
                                        ; implicit-def: $vgpr18
                                        ; implicit-def: $vgpr20
                                        ; implicit-def: $vgpr25
                                        ; implicit-def: $vgpr7
                                        ; implicit-def: $vgpr28
                                        ; implicit-def: $vgpr24
                                        ; implicit-def: $vgpr19
                                        ; implicit-def: $vgpr21
; %bb.10:
	s_or_saveexec_b64 s[0:1], s[16:17]
	v_mov_b32_e32 v11, s9
	v_mov_b32_e32 v10, s9
	;; [unrolled: 1-line block ×4, first 2 shown]
	s_xor_b64 exec, exec, s[0:1]
	s_cbranch_execz .LBB50_108
; %bb.11:
	v_lshlrev_b32_e32 v8, 23, v21
	v_and_b32_e32 v8, 0x7f800000, v8
	v_div_scale_f32 v9, s[2:3], v8, v8, 1.0
	v_rcp_f32_e32 v10, v9
	v_div_scale_f32 v11, vcc, 1.0, v8, 1.0
	v_lshlrev_b32_e32 v4, 16, v4
	v_fma_f32 v21, -v9, v10, 1.0
	v_fmac_f32_e32 v10, v21, v10
	v_mul_f32_e32 v21, v11, v10
	v_fma_f32 v22, -v9, v21, v11
	v_fmac_f32_e32 v21, v22, v10
	v_fma_f32 v9, -v9, v21, v11
	v_div_fmas_f32 v9, v9, v10, v21
	v_div_fixup_f32 v9, v9, v8, 1.0
	v_mul_f32_e32 v4, v9, v4
	v_max_f32_e64 v10, s13, s13
	v_max_f32_e32 v4, v4, v10
	v_max_f32_e64 v21, s14, s14
	v_min_f32_e32 v4, v4, v21
	v_and_b32_e32 v22, 0x7fffffff, v4
	s_mov_b32 s9, 0x43f00000
	v_cmp_gt_u32_e32 vcc, s9, v22
	v_mov_b32_e32 v8, 0x7f
	v_mov_b32_e32 v11, 0x7f
	s_and_saveexec_b64 s[2:3], vcc
	s_cbranch_execz .LBB50_17
; %bb.12:
	s_mov_b32 s10, 0x3c7fffff
	v_cmp_lt_u32_e32 vcc, s10, v22
                                        ; implicit-def: $vgpr11
	s_and_saveexec_b64 s[10:11], vcc
	s_xor_b64 s[10:11], exec, s[10:11]
; %bb.13:
	v_bfe_u32 v11, v4, 20, 1
	s_mov_b32 s12, 0x407ffff
	v_add3_u32 v11, v4, v11, s12
	v_lshrrev_b32_e32 v11, 20, v11
; %bb.14:
	s_andn2_saveexec_b64 s[10:11], s[10:11]
; %bb.15:
	s_mov_b32 s12, 0x46800000
	v_add_f32_e64 v11, |v4|, s12
; %bb.16:
	s_or_b64 exec, exec, s[10:11]
.LBB50_17:
	s_or_b64 exec, exec, s[2:3]
	v_lshlrev_b32_e32 v19, 16, v19
	v_mul_f32_e32 v19, v9, v19
	v_max_f32_e32 v19, v19, v10
	v_min_f32_e32 v19, v19, v21
	v_and_b32_e32 v22, 0x7fffffff, v19
	v_cmp_gt_u32_e32 vcc, s9, v22
	s_and_saveexec_b64 s[2:3], vcc
	s_cbranch_execz .LBB50_23
; %bb.18:
	s_mov_b32 s9, 0x3c7fffff
	v_cmp_lt_u32_e32 vcc, s9, v22
                                        ; implicit-def: $vgpr8
	s_and_saveexec_b64 s[10:11], vcc
	s_xor_b64 s[10:11], exec, s[10:11]
; %bb.19:
	v_bfe_u32 v8, v19, 20, 1
	s_mov_b32 s9, 0x407ffff
	v_add3_u32 v8, v19, v8, s9
	v_lshrrev_b32_e32 v8, 20, v8
; %bb.20:
	s_andn2_saveexec_b64 s[10:11], s[10:11]
; %bb.21:
	s_mov_b32 s9, 0x46800000
	v_add_f32_e64 v8, |v19|, s9
; %bb.22:
	s_or_b64 exec, exec, s[10:11]
.LBB50_23:
	s_or_b64 exec, exec, s[2:3]
	v_lshlrev_b32_e32 v5, 16, v5
	v_mul_f32_e32 v5, v9, v5
	v_max_f32_e32 v5, v5, v10
	v_min_f32_e32 v5, v5, v21
	v_and_b32_e32 v26, 0x7fffffff, v5
	s_mov_b32 s9, 0x43f00000
	v_cmp_gt_u32_e32 vcc, s9, v26
	v_mov_b32_e32 v22, 0x7f
	v_mov_b32_e32 v23, 0x7f
	s_and_saveexec_b64 s[2:3], vcc
	s_cbranch_execz .LBB50_29
; %bb.24:
	s_mov_b32 s10, 0x3c7fffff
	v_cmp_lt_u32_e32 vcc, s10, v26
                                        ; implicit-def: $vgpr23
	s_and_saveexec_b64 s[10:11], vcc
	s_xor_b64 s[10:11], exec, s[10:11]
; %bb.25:
	v_bfe_u32 v23, v5, 20, 1
	s_mov_b32 s12, 0x407ffff
	v_add3_u32 v23, v5, v23, s12
	v_lshrrev_b32_e32 v23, 20, v23
; %bb.26:
	s_andn2_saveexec_b64 s[10:11], s[10:11]
; %bb.27:
	s_mov_b32 s12, 0x46800000
	v_add_f32_e64 v23, |v5|, s12
; %bb.28:
	s_or_b64 exec, exec, s[10:11]
.LBB50_29:
	s_or_b64 exec, exec, s[2:3]
	v_lshlrev_b32_e32 v24, 16, v24
	v_mul_f32_e32 v24, v9, v24
	v_max_f32_e32 v24, v24, v10
	v_min_f32_e32 v24, v24, v21
	v_and_b32_e32 v26, 0x7fffffff, v24
	v_cmp_gt_u32_e32 vcc, s9, v26
	s_and_saveexec_b64 s[2:3], vcc
	s_cbranch_execz .LBB50_35
; %bb.30:
	s_mov_b32 s9, 0x3c7fffff
	v_cmp_lt_u32_e32 vcc, s9, v26
                                        ; implicit-def: $vgpr22
	s_and_saveexec_b64 s[10:11], vcc
	s_xor_b64 s[10:11], exec, s[10:11]
; %bb.31:
	v_bfe_u32 v22, v24, 20, 1
	s_mov_b32 s9, 0x407ffff
	v_add3_u32 v22, v24, v22, s9
	v_lshrrev_b32_e32 v22, 20, v22
; %bb.32:
	s_andn2_saveexec_b64 s[10:11], s[10:11]
; %bb.33:
	s_mov_b32 s9, 0x46800000
	v_add_f32_e64 v22, |v24|, s9
; %bb.34:
	s_or_b64 exec, exec, s[10:11]
.LBB50_35:
	s_or_b64 exec, exec, s[2:3]
	v_lshlrev_b32_e32 v6, 16, v6
	v_mul_f32_e32 v6, v9, v6
	v_max_f32_e32 v6, v6, v10
	v_min_f32_e32 v6, v6, v21
	v_and_b32_e32 v29, 0x7fffffff, v6
	s_mov_b32 s9, 0x43f00000
	v_cmp_gt_u32_e32 vcc, s9, v29
	v_mov_b32_e32 v26, 0x7f
	v_mov_b32_e32 v27, 0x7f
	s_and_saveexec_b64 s[2:3], vcc
	s_cbranch_execz .LBB50_41
; %bb.36:
	s_mov_b32 s10, 0x3c7fffff
	v_cmp_lt_u32_e32 vcc, s10, v29
                                        ; implicit-def: $vgpr27
	s_and_saveexec_b64 s[10:11], vcc
	s_xor_b64 s[10:11], exec, s[10:11]
; %bb.37:
	v_bfe_u32 v27, v6, 20, 1
	s_mov_b32 s12, 0x407ffff
	v_add3_u32 v27, v6, v27, s12
	v_lshrrev_b32_e32 v27, 20, v27
; %bb.38:
	s_andn2_saveexec_b64 s[10:11], s[10:11]
; %bb.39:
	s_mov_b32 s12, 0x46800000
	v_add_f32_e64 v27, |v6|, s12
; %bb.40:
	s_or_b64 exec, exec, s[10:11]
.LBB50_41:
	s_or_b64 exec, exec, s[2:3]
	v_lshlrev_b32_e32 v28, 16, v28
	v_mul_f32_e32 v28, v9, v28
	v_max_f32_e32 v28, v28, v10
	v_min_f32_e32 v28, v28, v21
	v_and_b32_e32 v29, 0x7fffffff, v28
	v_cmp_gt_u32_e32 vcc, s9, v29
	s_and_saveexec_b64 s[2:3], vcc
	s_cbranch_execz .LBB50_47
; %bb.42:
	s_mov_b32 s9, 0x3c7fffff
	v_cmp_lt_u32_e32 vcc, s9, v29
                                        ; implicit-def: $vgpr26
	s_and_saveexec_b64 s[10:11], vcc
	s_xor_b64 s[10:11], exec, s[10:11]
; %bb.43:
	v_bfe_u32 v26, v28, 20, 1
	s_mov_b32 s9, 0x407ffff
	v_add3_u32 v26, v28, v26, s9
	v_lshrrev_b32_e32 v26, 20, v26
; %bb.44:
	s_andn2_saveexec_b64 s[10:11], s[10:11]
; %bb.45:
	s_mov_b32 s9, 0x46800000
	v_add_f32_e64 v26, |v28|, s9
; %bb.46:
	s_or_b64 exec, exec, s[10:11]
.LBB50_47:
	s_or_b64 exec, exec, s[2:3]
	v_lshlrev_b32_e32 v7, 16, v7
	v_mul_f32_e32 v7, v9, v7
	v_max_f32_e32 v7, v7, v10
	v_min_f32_e32 v7, v7, v21
	v_and_b32_e32 v31, 0x7fffffff, v7
	s_mov_b32 s9, 0x43f00000
	v_cmp_gt_u32_e32 vcc, s9, v31
	v_mov_b32_e32 v29, 0x7f
	v_mov_b32_e32 v30, 0x7f
	s_and_saveexec_b64 s[2:3], vcc
	s_cbranch_execz .LBB50_53
; %bb.48:
	s_mov_b32 s10, 0x3c7fffff
	v_cmp_lt_u32_e32 vcc, s10, v31
                                        ; implicit-def: $vgpr30
	s_and_saveexec_b64 s[10:11], vcc
	s_xor_b64 s[10:11], exec, s[10:11]
; %bb.49:
	v_bfe_u32 v30, v7, 20, 1
	s_mov_b32 s12, 0x407ffff
	v_add3_u32 v30, v7, v30, s12
	v_lshrrev_b32_e32 v30, 20, v30
; %bb.50:
	s_andn2_saveexec_b64 s[10:11], s[10:11]
; %bb.51:
	s_mov_b32 s12, 0x46800000
	v_add_f32_e64 v30, |v7|, s12
; %bb.52:
	s_or_b64 exec, exec, s[10:11]
.LBB50_53:
	s_or_b64 exec, exec, s[2:3]
	v_lshlrev_b32_e32 v25, 16, v25
	v_mul_f32_e32 v25, v9, v25
	v_max_f32_e32 v25, v25, v10
	v_min_f32_e32 v25, v25, v21
	v_and_b32_e32 v31, 0x7fffffff, v25
	v_cmp_gt_u32_e32 vcc, s9, v31
	s_and_saveexec_b64 s[2:3], vcc
	s_cbranch_execz .LBB50_59
; %bb.54:
	s_mov_b32 s9, 0x3c7fffff
	v_cmp_lt_u32_e32 vcc, s9, v31
                                        ; implicit-def: $vgpr29
	s_and_saveexec_b64 s[10:11], vcc
	s_xor_b64 s[10:11], exec, s[10:11]
; %bb.55:
	v_bfe_u32 v29, v25, 20, 1
	s_mov_b32 s9, 0x407ffff
	v_add3_u32 v29, v25, v29, s9
	v_lshrrev_b32_e32 v29, 20, v29
; %bb.56:
	s_andn2_saveexec_b64 s[10:11], s[10:11]
; %bb.57:
	s_mov_b32 s9, 0x46800000
	v_add_f32_e64 v29, |v25|, s9
; %bb.58:
	s_or_b64 exec, exec, s[10:11]
.LBB50_59:
	s_or_b64 exec, exec, s[2:3]
	v_lshlrev_b32_e32 v0, 16, v0
	v_mul_f32_e32 v0, v9, v0
	v_max_f32_e32 v0, v0, v10
	v_min_f32_e32 v0, v0, v21
	v_and_b32_e32 v33, 0x7fffffff, v0
	s_mov_b32 s9, 0x43f00000
	v_cmp_gt_u32_e32 vcc, s9, v33
	v_mov_b32_e32 v31, 0x7f
	v_mov_b32_e32 v32, 0x7f
	s_and_saveexec_b64 s[2:3], vcc
	s_cbranch_execz .LBB50_65
; %bb.60:
	s_mov_b32 s10, 0x3c7fffff
	v_cmp_lt_u32_e32 vcc, s10, v33
                                        ; implicit-def: $vgpr32
	s_and_saveexec_b64 s[10:11], vcc
	s_xor_b64 s[10:11], exec, s[10:11]
; %bb.61:
	v_bfe_u32 v32, v0, 20, 1
	s_mov_b32 s12, 0x407ffff
	v_add3_u32 v32, v0, v32, s12
	v_lshrrev_b32_e32 v32, 20, v32
; %bb.62:
	s_andn2_saveexec_b64 s[10:11], s[10:11]
; %bb.63:
	s_mov_b32 s12, 0x46800000
	v_add_f32_e64 v32, |v0|, s12
; %bb.64:
	s_or_b64 exec, exec, s[10:11]
.LBB50_65:
	s_or_b64 exec, exec, s[2:3]
	v_lshlrev_b32_e32 v20, 16, v20
	v_mul_f32_e32 v20, v9, v20
	v_max_f32_e32 v20, v20, v10
	v_min_f32_e32 v20, v20, v21
	v_and_b32_e32 v33, 0x7fffffff, v20
	v_cmp_gt_u32_e32 vcc, s9, v33
	s_and_saveexec_b64 s[2:3], vcc
	s_cbranch_execz .LBB50_71
; %bb.66:
	s_mov_b32 s9, 0x3c7fffff
	v_cmp_lt_u32_e32 vcc, s9, v33
                                        ; implicit-def: $vgpr31
	s_and_saveexec_b64 s[10:11], vcc
	s_xor_b64 s[10:11], exec, s[10:11]
; %bb.67:
	v_bfe_u32 v31, v20, 20, 1
	s_mov_b32 s9, 0x407ffff
	v_add3_u32 v31, v20, v31, s9
	v_lshrrev_b32_e32 v31, 20, v31
; %bb.68:
	s_andn2_saveexec_b64 s[10:11], s[10:11]
; %bb.69:
	s_mov_b32 s9, 0x46800000
	v_add_f32_e64 v31, |v20|, s9
; %bb.70:
	s_or_b64 exec, exec, s[10:11]
.LBB50_71:
	s_or_b64 exec, exec, s[2:3]
	v_lshlrev_b32_e32 v1, 16, v1
	v_mul_f32_e32 v1, v9, v1
	v_max_f32_e32 v1, v1, v10
	v_min_f32_e32 v1, v1, v21
	v_and_b32_e32 v35, 0x7fffffff, v1
	s_mov_b32 s9, 0x43f00000
	v_cmp_gt_u32_e32 vcc, s9, v35
	v_mov_b32_e32 v33, 0x7f
	v_mov_b32_e32 v34, 0x7f
	s_and_saveexec_b64 s[2:3], vcc
	s_cbranch_execz .LBB50_77
; %bb.72:
	s_mov_b32 s10, 0x3c7fffff
	v_cmp_lt_u32_e32 vcc, s10, v35
                                        ; implicit-def: $vgpr34
	s_and_saveexec_b64 s[10:11], vcc
	s_xor_b64 s[10:11], exec, s[10:11]
; %bb.73:
	v_bfe_u32 v34, v1, 20, 1
	s_mov_b32 s12, 0x407ffff
	v_add3_u32 v34, v1, v34, s12
	v_lshrrev_b32_e32 v34, 20, v34
; %bb.74:
	s_andn2_saveexec_b64 s[10:11], s[10:11]
; %bb.75:
	s_mov_b32 s12, 0x46800000
	v_add_f32_e64 v34, |v1|, s12
; %bb.76:
	s_or_b64 exec, exec, s[10:11]
.LBB50_77:
	s_or_b64 exec, exec, s[2:3]
	v_lshlrev_b32_e32 v18, 16, v18
	v_mul_f32_e32 v18, v9, v18
	v_max_f32_e32 v18, v18, v10
	v_min_f32_e32 v18, v18, v21
	v_and_b32_e32 v35, 0x7fffffff, v18
	v_cmp_gt_u32_e32 vcc, s9, v35
	s_and_saveexec_b64 s[2:3], vcc
	s_cbranch_execz .LBB50_83
; %bb.78:
	s_mov_b32 s9, 0x3c7fffff
	v_cmp_lt_u32_e32 vcc, s9, v35
                                        ; implicit-def: $vgpr33
	s_and_saveexec_b64 s[10:11], vcc
	s_xor_b64 s[10:11], exec, s[10:11]
; %bb.79:
	v_bfe_u32 v33, v18, 20, 1
	s_mov_b32 s9, 0x407ffff
	v_add3_u32 v33, v18, v33, s9
	v_lshrrev_b32_e32 v33, 20, v33
; %bb.80:
	s_andn2_saveexec_b64 s[10:11], s[10:11]
; %bb.81:
	s_mov_b32 s9, 0x46800000
	v_add_f32_e64 v33, |v18|, s9
; %bb.82:
	s_or_b64 exec, exec, s[10:11]
.LBB50_83:
	s_or_b64 exec, exec, s[2:3]
	v_lshlrev_b32_e32 v2, 16, v2
	v_mul_f32_e32 v2, v9, v2
	v_max_f32_e32 v2, v2, v10
	v_min_f32_e32 v2, v2, v21
	v_and_b32_e32 v37, 0x7fffffff, v2
	s_mov_b32 s9, 0x43f00000
	v_cmp_gt_u32_e32 vcc, s9, v37
	v_mov_b32_e32 v35, 0x7f
	v_mov_b32_e32 v36, 0x7f
	s_and_saveexec_b64 s[2:3], vcc
	s_cbranch_execz .LBB50_89
; %bb.84:
	s_mov_b32 s10, 0x3c7fffff
	v_cmp_lt_u32_e32 vcc, s10, v37
                                        ; implicit-def: $vgpr36
	s_and_saveexec_b64 s[10:11], vcc
	s_xor_b64 s[10:11], exec, s[10:11]
; %bb.85:
	v_bfe_u32 v36, v2, 20, 1
	s_mov_b32 s12, 0x407ffff
	v_add3_u32 v36, v2, v36, s12
	v_lshrrev_b32_e32 v36, 20, v36
; %bb.86:
	s_andn2_saveexec_b64 s[10:11], s[10:11]
; %bb.87:
	s_mov_b32 s12, 0x46800000
	v_add_f32_e64 v36, |v2|, s12
; %bb.88:
	s_or_b64 exec, exec, s[10:11]
.LBB50_89:
	s_or_b64 exec, exec, s[2:3]
	v_lshlrev_b32_e32 v17, 16, v17
	v_mul_f32_e32 v17, v9, v17
	v_max_f32_e32 v17, v17, v10
	v_min_f32_e32 v17, v17, v21
	v_and_b32_e32 v37, 0x7fffffff, v17
	v_cmp_gt_u32_e32 vcc, s9, v37
	s_and_saveexec_b64 s[2:3], vcc
	s_cbranch_execz .LBB50_95
; %bb.90:
	s_mov_b32 s9, 0x3c7fffff
	v_cmp_lt_u32_e32 vcc, s9, v37
                                        ; implicit-def: $vgpr35
	s_and_saveexec_b64 s[10:11], vcc
	s_xor_b64 s[10:11], exec, s[10:11]
; %bb.91:
	v_bfe_u32 v35, v17, 20, 1
	s_mov_b32 s9, 0x407ffff
	v_add3_u32 v35, v17, v35, s9
	v_lshrrev_b32_e32 v35, 20, v35
; %bb.92:
	s_andn2_saveexec_b64 s[10:11], s[10:11]
; %bb.93:
	s_mov_b32 s9, 0x46800000
	v_add_f32_e64 v35, |v17|, s9
; %bb.94:
	s_or_b64 exec, exec, s[10:11]
.LBB50_95:
	s_or_b64 exec, exec, s[2:3]
	v_lshlrev_b32_e32 v3, 16, v3
	v_mul_f32_e32 v3, v9, v3
	v_max_f32_e32 v3, v3, v10
	v_min_f32_e32 v37, v3, v21
	v_and_b32_e32 v39, 0x7fffffff, v37
	s_mov_b32 s9, 0x43f00000
	v_cmp_gt_u32_e32 vcc, s9, v39
	v_mov_b32_e32 v3, 0x7f
	v_mov_b32_e32 v38, 0x7f
	s_and_saveexec_b64 s[2:3], vcc
	s_cbranch_execz .LBB50_101
; %bb.96:
	s_mov_b32 s10, 0x3c7fffff
	v_cmp_lt_u32_e32 vcc, s10, v39
                                        ; implicit-def: $vgpr38
	s_and_saveexec_b64 s[10:11], vcc
	s_xor_b64 s[10:11], exec, s[10:11]
; %bb.97:
	v_bfe_u32 v38, v37, 20, 1
	s_mov_b32 s12, 0x407ffff
	v_add3_u32 v38, v37, v38, s12
	v_lshrrev_b32_e32 v38, 20, v38
; %bb.98:
	s_andn2_saveexec_b64 s[10:11], s[10:11]
; %bb.99:
	s_mov_b32 s12, 0x46800000
	v_add_f32_e64 v38, |v37|, s12
; %bb.100:
	s_or_b64 exec, exec, s[10:11]
.LBB50_101:
	s_or_b64 exec, exec, s[2:3]
	v_lshlrev_b32_e32 v15, 16, v15
	v_mul_f32_e32 v9, v9, v15
	v_max_f32_e32 v9, v9, v10
	v_min_f32_e32 v15, v9, v21
	v_and_b32_e32 v9, 0x7fffffff, v15
	v_cmp_gt_u32_e32 vcc, s9, v9
	s_and_saveexec_b64 s[2:3], vcc
	s_cbranch_execz .LBB50_107
; %bb.102:
	s_mov_b32 s9, 0x3c7fffff
	v_cmp_lt_u32_e32 vcc, s9, v9
                                        ; implicit-def: $vgpr3
	s_and_saveexec_b64 s[10:11], vcc
	s_xor_b64 s[10:11], exec, s[10:11]
; %bb.103:
	v_bfe_u32 v3, v15, 20, 1
	s_mov_b32 s9, 0x407ffff
	v_add3_u32 v3, v15, v3, s9
	v_lshrrev_b32_e32 v3, 20, v3
; %bb.104:
	s_andn2_saveexec_b64 s[10:11], s[10:11]
; %bb.105:
	s_mov_b32 s9, 0x46800000
	v_add_f32_e64 v3, |v15|, s9
; %bb.106:
	s_or_b64 exec, exec, s[10:11]
.LBB50_107:
	s_or_b64 exec, exec, s[2:3]
	s_movk_i32 s2, 0x80
	v_and_b32_sdwa v2, v2, s2 dst_sel:DWORD dst_unused:UNUSED_PAD src0_sel:BYTE_3 src1_sel:DWORD
	s_movk_i32 s3, 0xff
	v_and_b32_sdwa v9, v17, s2 dst_sel:DWORD dst_unused:UNUSED_PAD src0_sel:BYTE_3 src1_sel:DWORD
	v_and_or_b32 v2, v36, s3, v2
	v_and_or_b32 v9, v35, s3, v9
	v_lshl_or_b32 v2, v9, 8, v2
	v_and_b32_sdwa v9, v37, s2 dst_sel:DWORD dst_unused:UNUSED_PAD src0_sel:BYTE_3 src1_sel:DWORD
	v_and_or_b32 v9, v38, s3, v9
	v_lshl_or_b32 v2, v9, 16, v2
	v_and_b32_sdwa v0, v0, s2 dst_sel:DWORD dst_unused:UNUSED_PAD src0_sel:BYTE_3 src1_sel:DWORD
	v_and_b32_sdwa v9, v20, s2 dst_sel:DWORD dst_unused:UNUSED_PAD src0_sel:BYTE_3 src1_sel:DWORD
	v_and_or_b32 v0, v32, s3, v0
	v_and_or_b32 v9, v31, s3, v9
	v_and_b32_sdwa v1, v1, s2 dst_sel:DWORD dst_unused:UNUSED_PAD src0_sel:BYTE_3 src1_sel:DWORD
	v_lshl_or_b32 v0, v9, 8, v0
	v_and_or_b32 v1, v34, s3, v1
	v_lshl_or_b32 v0, v1, 16, v0
	v_lshlrev_b32_e32 v1, 24, v33
	v_and_b32_e32 v9, 0x80000000, v18
	v_or3_b32 v10, v9, v1, v0
	v_and_b32_sdwa v0, v6, s2 dst_sel:DWORD dst_unused:UNUSED_PAD src0_sel:BYTE_3 src1_sel:DWORD
	v_and_b32_sdwa v1, v28, s2 dst_sel:DWORD dst_unused:UNUSED_PAD src0_sel:BYTE_3 src1_sel:DWORD
	v_and_or_b32 v0, v27, s3, v0
	v_and_or_b32 v1, v26, s3, v1
	v_lshl_or_b32 v0, v1, 8, v0
	v_and_b32_sdwa v1, v7, s2 dst_sel:DWORD dst_unused:UNUSED_PAD src0_sel:BYTE_3 src1_sel:DWORD
	v_and_or_b32 v1, v30, s3, v1
	v_lshl_or_b32 v0, v1, 16, v0
	v_lshlrev_b32_e32 v1, 24, v29
	v_and_b32_e32 v6, 0x80000000, v25
	v_or3_b32 v9, v6, v1, v0
	v_and_b32_sdwa v0, v4, s2 dst_sel:DWORD dst_unused:UNUSED_PAD src0_sel:BYTE_3 src1_sel:DWORD
	v_and_b32_sdwa v1, v19, s2 dst_sel:DWORD dst_unused:UNUSED_PAD src0_sel:BYTE_3 src1_sel:DWORD
	v_and_or_b32 v0, v11, s3, v0
	v_and_or_b32 v1, v8, s3, v1
	v_lshl_or_b32 v0, v1, 8, v0
	v_and_b32_sdwa v1, v5, s2 dst_sel:DWORD dst_unused:UNUSED_PAD src0_sel:BYTE_3 src1_sel:DWORD
	v_and_or_b32 v1, v23, s3, v1
	v_lshl_or_b32 v0, v1, 16, v0
	v_lshlrev_b32_e32 v1, 24, v22
	v_and_b32_e32 v4, 0x80000000, v24
	v_or3_b32 v8, v4, v1, v0
	v_and_b32_e32 v0, 0x80000000, v15
	v_lshlrev_b32_e32 v1, 24, v3
	v_or3_b32 v11, v0, v1, v2
	s_or_b64 s[6:7], s[6:7], exec
.LBB50_108:
	s_or_b64 exec, exec, s[0:1]
	s_and_b64 exec, exec, s[6:7]
	s_cbranch_execz .LBB50_110
; %bb.109:
	s_load_dwordx2 s[0:1], s[4:5], 0x8
	v_alignbit_b32 v0, v16, v12, 25
	s_ashr_i32 s2, s8, 31
	v_lshlrev_b32_e32 v2, 7, v12
	v_mul_lo_u32 v4, v0, s8
	s_waitcnt lgkmcnt(0)
	v_pk_mov_b32 v[0:1], s[0:1], s[0:1] op_sel:[0,1]
	v_mul_lo_u32 v3, v2, s2
	v_mad_u64_u32 v[0:1], s[0:1], v2, s8, v[0:1]
	v_add3_u32 v1, v4, v1, v3
	v_ashrrev_i32_e32 v2, 31, v14
	v_add_co_u32_e32 v0, vcc, v0, v14
	v_addc_co_u32_e32 v1, vcc, v1, v2, vcc
	v_lshlrev_b32_e32 v2, 4, v13
	v_add_co_u32_e32 v0, vcc, v0, v2
	v_addc_co_u32_e32 v1, vcc, 0, v1, vcc
	global_store_dwordx4 v[0:1], v[8:11], off
.LBB50_110:
	s_endpgm
	.section	.rodata,"a",@progbits
	.p2align	6, 0x0
	.amdhsa_kernel _Z49per_token_group_quant_8bit_packed_register_kernelIN3c108BFloat16ENS0_13Float8_e4m3fnELi128ELi4ELi4EEvPKT_PvPjiiiiilfff
		.amdhsa_group_segment_fixed_size 0
		.amdhsa_private_segment_fixed_size 0
		.amdhsa_kernarg_size 68
		.amdhsa_user_sgpr_count 6
		.amdhsa_user_sgpr_private_segment_buffer 1
		.amdhsa_user_sgpr_dispatch_ptr 0
		.amdhsa_user_sgpr_queue_ptr 0
		.amdhsa_user_sgpr_kernarg_segment_ptr 1
		.amdhsa_user_sgpr_dispatch_id 0
		.amdhsa_user_sgpr_flat_scratch_init 0
		.amdhsa_user_sgpr_kernarg_preload_length 0
		.amdhsa_user_sgpr_kernarg_preload_offset 0
		.amdhsa_user_sgpr_private_segment_size 0
		.amdhsa_uses_dynamic_stack 0
		.amdhsa_system_sgpr_private_segment_wavefront_offset 0
		.amdhsa_system_sgpr_workgroup_id_x 1
		.amdhsa_system_sgpr_workgroup_id_y 1
		.amdhsa_system_sgpr_workgroup_id_z 0
		.amdhsa_system_sgpr_workgroup_info 0
		.amdhsa_system_vgpr_workitem_id 0
		.amdhsa_next_free_vgpr 40
		.amdhsa_next_free_sgpr 24
		.amdhsa_accum_offset 40
		.amdhsa_reserve_vcc 1
		.amdhsa_reserve_flat_scratch 0
		.amdhsa_float_round_mode_32 0
		.amdhsa_float_round_mode_16_64 0
		.amdhsa_float_denorm_mode_32 3
		.amdhsa_float_denorm_mode_16_64 3
		.amdhsa_dx10_clamp 1
		.amdhsa_ieee_mode 1
		.amdhsa_fp16_overflow 0
		.amdhsa_tg_split 0
		.amdhsa_exception_fp_ieee_invalid_op 0
		.amdhsa_exception_fp_denorm_src 0
		.amdhsa_exception_fp_ieee_div_zero 0
		.amdhsa_exception_fp_ieee_overflow 0
		.amdhsa_exception_fp_ieee_underflow 0
		.amdhsa_exception_fp_ieee_inexact 0
		.amdhsa_exception_int_div_zero 0
	.end_amdhsa_kernel
	.section	.text._Z49per_token_group_quant_8bit_packed_register_kernelIN3c108BFloat16ENS0_13Float8_e4m3fnELi128ELi4ELi4EEvPKT_PvPjiiiiilfff,"axG",@progbits,_Z49per_token_group_quant_8bit_packed_register_kernelIN3c108BFloat16ENS0_13Float8_e4m3fnELi128ELi4ELi4EEvPKT_PvPjiiiiilfff,comdat
.Lfunc_end50:
	.size	_Z49per_token_group_quant_8bit_packed_register_kernelIN3c108BFloat16ENS0_13Float8_e4m3fnELi128ELi4ELi4EEvPKT_PvPjiiiiilfff, .Lfunc_end50-_Z49per_token_group_quant_8bit_packed_register_kernelIN3c108BFloat16ENS0_13Float8_e4m3fnELi128ELi4ELi4EEvPKT_PvPjiiiiilfff
                                        ; -- End function
	.section	.AMDGPU.csdata,"",@progbits
; Kernel info:
; codeLenInByte = 3436
; NumSgprs: 28
; NumVgprs: 40
; NumAgprs: 0
; TotalNumVgprs: 40
; ScratchSize: 0
; MemoryBound: 0
; FloatMode: 240
; IeeeMode: 1
; LDSByteSize: 0 bytes/workgroup (compile time only)
; SGPRBlocks: 3
; VGPRBlocks: 4
; NumSGPRsForWavesPerEU: 28
; NumVGPRsForWavesPerEU: 40
; AccumOffset: 40
; Occupancy: 8
; WaveLimiterHint : 0
; COMPUTE_PGM_RSRC2:SCRATCH_EN: 0
; COMPUTE_PGM_RSRC2:USER_SGPR: 6
; COMPUTE_PGM_RSRC2:TRAP_HANDLER: 0
; COMPUTE_PGM_RSRC2:TGID_X_EN: 1
; COMPUTE_PGM_RSRC2:TGID_Y_EN: 1
; COMPUTE_PGM_RSRC2:TGID_Z_EN: 0
; COMPUTE_PGM_RSRC2:TIDIG_COMP_CNT: 0
; COMPUTE_PGM_RSRC3_GFX90A:ACCUM_OFFSET: 9
; COMPUTE_PGM_RSRC3_GFX90A:TG_SPLIT: 0
	.section	.text._Z49per_token_group_quant_8bit_packed_register_kernelIN3c108BFloat16ENS0_15Float8_e4m3fnuzELi128ELi16ELi1EEvPKT_PvPjiiiiilfff,"axG",@progbits,_Z49per_token_group_quant_8bit_packed_register_kernelIN3c108BFloat16ENS0_15Float8_e4m3fnuzELi128ELi16ELi1EEvPKT_PvPjiiiiilfff,comdat
	.protected	_Z49per_token_group_quant_8bit_packed_register_kernelIN3c108BFloat16ENS0_15Float8_e4m3fnuzELi128ELi16ELi1EEvPKT_PvPjiiiiilfff ; -- Begin function _Z49per_token_group_quant_8bit_packed_register_kernelIN3c108BFloat16ENS0_15Float8_e4m3fnuzELi128ELi16ELi1EEvPKT_PvPjiiiiilfff
	.globl	_Z49per_token_group_quant_8bit_packed_register_kernelIN3c108BFloat16ENS0_15Float8_e4m3fnuzELi128ELi16ELi1EEvPKT_PvPjiiiiilfff
	.p2align	8
	.type	_Z49per_token_group_quant_8bit_packed_register_kernelIN3c108BFloat16ENS0_15Float8_e4m3fnuzELi128ELi16ELi1EEvPKT_PvPjiiiiilfff,@function
_Z49per_token_group_quant_8bit_packed_register_kernelIN3c108BFloat16ENS0_15Float8_e4m3fnuzELi128ELi16ELi1EEvPKT_PvPjiiiiilfff: ; @_Z49per_token_group_quant_8bit_packed_register_kernelIN3c108BFloat16ENS0_15Float8_e4m3fnuzELi128ELi16ELi1EEvPKT_PvPjiiiiilfff
; %bb.0:
	s_load_dwordx4 s[8:11], s[4:5], 0x1c
	v_lshrrev_b32_e32 v1, 7, v0
	v_add_u32_e32 v12, s7, v1
	s_waitcnt lgkmcnt(0)
	v_cmp_gt_i32_e32 vcc, s11, v12
	s_and_saveexec_b64 s[0:1], vcc
	s_cbranch_execz .LBB51_110
; %bb.1:
	s_load_dwordx4 s[12:15], s[4:5], 0x38
	v_lshrrev_b32_e32 v1, 3, v0
	s_lshl_b32 s0, s6, 4
	v_and_or_b32 v10, v1, 15, s0
	v_cmp_gt_i32_e64 s[2:3], s9, v12
	v_cmp_gt_i32_e64 s[0:1], s8, v10
	v_and_b32_e32 v13, 7, v0
	s_and_b64 s[6:7], s[2:3], s[0:1]
	s_waitcnt lgkmcnt(0)
	v_mov_b32_e32 v8, s12
	v_ashrrev_i32_e32 v16, 31, v12
	v_lshlrev_b32_e32 v14, 7, v10
                                        ; implicit-def: $vgpr15
                                        ; implicit-def: $vgpr3
                                        ; implicit-def: $vgpr17
                                        ; implicit-def: $vgpr18
                                        ; implicit-def: $vgpr20
                                        ; implicit-def: $vgpr22
                                        ; implicit-def: $vgpr7
                                        ; implicit-def: $vgpr23
                                        ; implicit-def: $vgpr21
                                        ; implicit-def: $vgpr19
	s_and_saveexec_b64 s[16:17], s[6:7]
	s_cbranch_execz .LBB51_3
; %bb.2:
	s_load_dwordx2 s[18:19], s[4:5], 0x0
	v_alignbit_b32 v0, v16, v12, 24
	s_ashr_i32 s9, s8, 31
	v_lshlrev_b32_e32 v2, 8, v12
	v_mul_lo_u32 v4, v0, s8
	s_waitcnt lgkmcnt(0)
	v_pk_mov_b32 v[0:1], s[18:19], s[18:19] op_sel:[0,1]
	v_mul_lo_u32 v3, v2, s9
	v_mad_u64_u32 v[0:1], s[18:19], v2, s8, v[0:1]
	v_ashrrev_i32_e32 v15, 31, v14
	v_add3_u32 v1, v4, v1, v3
	v_lshlrev_b64 v[2:3], 1, v[14:15]
	v_add_co_u32_e32 v0, vcc, v0, v2
	v_addc_co_u32_e32 v1, vcc, v1, v3, vcc
	v_lshlrev_b32_e32 v2, 5, v13
	v_add_co_u32_e32 v8, vcc, v0, v2
	v_addc_co_u32_e32 v9, vcc, 0, v1, vcc
	global_load_dwordx4 v[4:7], v[8:9], off
	global_load_dwordx4 v[0:3], v[8:9], off offset:16
	s_waitcnt vmcnt(1)
	v_lshlrev_b32_e32 v8, 16, v4
	v_and_b32_e32 v9, 0xffff0000, v4
	v_lshlrev_b32_e32 v11, 16, v5
	v_and_b32_e32 v24, 0xffff0000, v5
	v_max3_f32 v8, s12, |v8|, |v9|
	v_lshlrev_b32_e32 v25, 16, v6
	v_and_b32_e32 v26, 0xffff0000, v6
	v_max3_f32 v8, v8, |v11|, |v24|
	;; [unrolled: 3-line block ×3, first 2 shown]
	s_waitcnt vmcnt(0)
	v_lshlrev_b32_e32 v29, 16, v0
	v_and_b32_e32 v30, 0xffff0000, v0
	v_max3_f32 v8, v8, |v27|, |v28|
	v_lshlrev_b32_e32 v31, 16, v1
	v_and_b32_e32 v32, 0xffff0000, v1
	v_max3_f32 v8, v8, |v29|, |v30|
	;; [unrolled: 3-line block ×3, first 2 shown]
	v_lshlrev_b32_e32 v35, 16, v3
	v_max3_f32 v8, v8, |v33|, |v34|
	v_and_b32_e32 v9, 0xffff0000, v3
	v_lshrrev_b32_e32 v19, 16, v4
	v_lshrrev_b32_e32 v21, 16, v5
	;; [unrolled: 1-line block ×8, first 2 shown]
	v_max3_f32 v8, v8, |v35|, |v9|
.LBB51_3:
	s_or_b64 exec, exec, s[16:17]
	v_mbcnt_lo_u32_b32 v9, -1, 0
	v_mbcnt_hi_u32_b32 v9, -1, v9
	v_and_b32_e32 v24, 0x78, v9
	v_xor_b32_e32 v11, 4, v9
	v_add_u32_e32 v24, 8, v24
	v_cmp_lt_i32_e32 vcc, v11, v24
	v_cndmask_b32_e32 v11, v9, v11, vcc
	v_lshlrev_b32_e32 v11, 2, v11
	ds_bpermute_b32 v11, v11, v8
	v_xor_b32_e32 v25, 2, v9
	v_max_f32_e32 v8, v8, v8
	v_cmp_lt_i32_e32 vcc, v25, v24
	s_waitcnt lgkmcnt(0)
	v_max_f32_e32 v11, v11, v11
	v_max_f32_e32 v8, v8, v11
	v_cndmask_b32_e32 v11, v9, v25, vcc
	v_lshlrev_b32_e32 v11, 2, v11
	ds_bpermute_b32 v11, v11, v8
	v_xor_b32_e32 v25, 1, v9
	v_cmp_lt_i32_e32 vcc, v25, v24
	v_cndmask_b32_e32 v9, v9, v25, vcc
	v_lshlrev_b32_e32 v9, 2, v9
	s_waitcnt lgkmcnt(0)
	v_max_f32_e32 v11, v11, v11
	v_max_f32_e32 v8, v8, v11
	ds_bpermute_b32 v9, v9, v8
	s_waitcnt lgkmcnt(0)
	v_max_f32_e32 v9, v9, v9
	v_max_f32_e32 v8, v8, v9
	v_div_scale_f32 v9, s[16:17], s14, s14, v8
	v_rcp_f32_e32 v11, v9
	v_div_scale_f32 v24, vcc, v8, s14, v8
	s_xor_b64 s[16:17], s[6:7], -1
	v_fma_f32 v25, -v9, v11, 1.0
	v_fmac_f32_e32 v11, v25, v11
	v_mul_f32_e32 v25, v24, v11
	v_fma_f32 v26, -v9, v25, v24
	v_fmac_f32_e32 v25, v26, v11
	v_fma_f32 v9, -v9, v25, v24
	v_div_fmas_f32 v9, v9, v11, v25
	v_div_fixup_f32 v8, v9, s14, v8
	v_max_f32_e32 v8, 0x2edbe6ff, v8
	v_lshrrev_b32_e32 v9, 23, v8
	v_and_b32_e32 v8, 0x7fffff, v8
	v_cmp_ne_u32_e32 vcc, 0, v8
	v_addc_co_u32_e32 v24, vcc, 0, v9, vcc
	v_cmp_eq_u32_e32 vcc, 0, v13
	s_and_saveexec_b64 s[18:19], vcc
	s_cbranch_execz .LBB51_8
; %bb.4:
	v_ashrrev_i32_e32 v8, 31, v10
	v_lshrrev_b32_e32 v8, 30, v8
	v_add_u32_e32 v8, v10, v8
	v_ashrrev_i32_e32 v11, 2, v8
	v_mad_u64_u32 v[8:9], s[20:21], v11, s11, v[12:13]
	v_mov_b32_e32 v25, v24
	s_and_saveexec_b64 s[20:21], s[16:17]
	s_cbranch_execz .LBB51_6
; %bb.5:
	s_load_dwordx2 s[22:23], s[4:5], 0x30
	v_ashrrev_i32_e32 v9, 31, v8
	s_andn2_b64 s[6:7], s[6:7], exec
	v_mov_b32_e32 v25, 0
	s_waitcnt lgkmcnt(0)
	v_cmp_gt_i64_e32 vcc, s[22:23], v[8:9]
	s_and_b64 s[22:23], vcc, exec
	s_or_b64 s[6:7], s[6:7], s[22:23]
.LBB51_6:
	s_or_b64 exec, exec, s[20:21]
	s_and_b64 exec, exec, s[6:7]
	s_cbranch_execz .LBB51_8
; %bb.7:
	s_load_dwordx2 s[6:7], s[4:5], 0x10
	v_lshlrev_b32_e32 v9, 2, v11
	v_sub_u32_e32 v9, v10, v9
	v_lshl_add_u32 v8, v8, 2, v9
	v_ashrrev_i32_e32 v9, 31, v8
	s_waitcnt lgkmcnt(0)
	v_mov_b32_e32 v10, s7
	v_add_co_u32_e32 v8, vcc, s6, v8
	v_addc_co_u32_e32 v9, vcc, v10, v9, vcc
	global_store_byte v[8:9], v25, off
.LBB51_8:
	s_or_b64 exec, exec, s[18:19]
	s_mov_b64 s[6:7], 0
                                        ; implicit-def: $sgpr9
	s_and_saveexec_b64 s[18:19], s[16:17]
	s_xor_b64 s[16:17], exec, s[18:19]
; %bb.9:
	s_xor_b64 s[2:3], s[2:3], -1
	v_cmp_gt_i32_e32 vcc, s10, v12
	s_and_b64 s[2:3], vcc, s[2:3]
	s_and_b64 s[0:1], s[0:1], s[2:3]
	s_mov_b32 s9, 0
	s_and_b64 s[6:7], s[0:1], exec
                                        ; implicit-def: $vgpr15
                                        ; implicit-def: $vgpr3
                                        ; implicit-def: $vgpr17
                                        ; implicit-def: $vgpr18
                                        ; implicit-def: $vgpr20
                                        ; implicit-def: $vgpr22
                                        ; implicit-def: $vgpr7
                                        ; implicit-def: $vgpr23
                                        ; implicit-def: $vgpr21
                                        ; implicit-def: $vgpr19
                                        ; implicit-def: $vgpr24
; %bb.10:
	s_or_saveexec_b64 s[0:1], s[16:17]
	v_mov_b32_e32 v11, s9
	v_mov_b32_e32 v10, s9
	v_mov_b32_e32 v9, s9
	v_mov_b32_e32 v8, s9
	s_xor_b64 exec, exec, s[0:1]
	s_cbranch_execz .LBB51_108
; %bb.11:
	v_lshlrev_b32_e32 v8, 23, v24
	v_and_b32_e32 v8, 0x7f800000, v8
	v_div_scale_f32 v9, s[2:3], v8, v8, 1.0
	v_rcp_f32_e32 v10, v9
	v_div_scale_f32 v11, vcc, 1.0, v8, 1.0
	v_lshlrev_b32_e32 v4, 16, v4
	v_fma_f32 v24, -v9, v10, 1.0
	v_fmac_f32_e32 v10, v24, v10
	v_mul_f32_e32 v24, v11, v10
	v_fma_f32 v25, -v9, v24, v11
	v_fmac_f32_e32 v24, v25, v10
	v_fma_f32 v9, -v9, v24, v11
	v_div_fmas_f32 v9, v9, v10, v24
	v_div_fixup_f32 v9, v9, v8, 1.0
	v_mul_f32_e32 v4, v9, v4
	v_max_f32_e64 v10, s13, s13
	v_max_f32_e32 v4, v4, v10
	v_max_f32_e64 v11, s14, s14
	v_min_f32_e32 v24, v4, v11
	v_and_b32_e32 v25, 0x7fffffff, v24
	s_mov_b32 s9, 0x43800000
	v_cmp_gt_u32_e32 vcc, s9, v25
	v_mov_b32_e32 v4, 0x80
	v_mov_b32_e32 v8, 0x80
	s_and_saveexec_b64 s[2:3], vcc
	s_cbranch_execz .LBB51_17
; %bb.12:
	s_mov_b32 s10, 0x3bffffff
	v_cmp_lt_u32_e32 vcc, s10, v25
	s_mov_b64 s[10:11], 0
                                        ; implicit-def: $vgpr25
	s_and_saveexec_b64 s[12:13], vcc
	s_xor_b64 s[12:13], exec, s[12:13]
	s_cbranch_execnz .LBB51_111
; %bb.13:
	s_or_saveexec_b64 s[12:13], s[12:13]
                                        ; implicit-def: $sgpr14
	s_xor_b64 exec, exec, s[12:13]
	s_cbranch_execnz .LBB51_112
.LBB51_14:
	s_or_b64 exec, exec, s[12:13]
	v_mov_b32_e32 v8, s14
	s_and_saveexec_b64 s[12:13], s[10:11]
.LBB51_15:
	v_lshrrev_b32_e32 v8, 24, v24
	s_movk_i32 s10, 0x80
	v_and_or_b32 v8, v8, s10, v25
.LBB51_16:
	s_or_b64 exec, exec, s[12:13]
.LBB51_17:
	s_or_b64 exec, exec, s[2:3]
	v_lshlrev_b32_e32 v19, 16, v19
	v_mul_f32_e32 v19, v9, v19
	v_max_f32_e32 v19, v19, v10
	v_min_f32_e32 v19, v19, v11
	v_and_b32_e32 v24, 0x7fffffff, v19
	v_cmp_gt_u32_e32 vcc, s9, v24
	s_and_saveexec_b64 s[2:3], vcc
	s_cbranch_execz .LBB51_23
; %bb.18:
	s_mov_b32 s9, 0x3bffffff
	v_cmp_lt_u32_e32 vcc, s9, v24
	s_mov_b64 s[10:11], 0
                                        ; implicit-def: $vgpr24
	s_and_saveexec_b64 s[12:13], vcc
	s_xor_b64 s[12:13], exec, s[12:13]
	s_cbranch_execnz .LBB51_113
; %bb.19:
	s_or_saveexec_b64 s[12:13], s[12:13]
                                        ; implicit-def: $sgpr9
	s_xor_b64 exec, exec, s[12:13]
	s_cbranch_execnz .LBB51_114
.LBB51_20:
	s_or_b64 exec, exec, s[12:13]
	v_mov_b32_e32 v4, s9
	s_and_saveexec_b64 s[12:13], s[10:11]
.LBB51_21:
	v_lshrrev_b32_e32 v4, 24, v19
	s_movk_i32 s9, 0x80
	v_and_or_b32 v4, v4, s9, v24
.LBB51_22:
	s_or_b64 exec, exec, s[12:13]
.LBB51_23:
	s_or_b64 exec, exec, s[2:3]
	v_lshlrev_b32_e32 v5, 16, v5
	v_mul_f32_e32 v5, v9, v5
	v_max_f32_e32 v5, v5, v10
	v_min_f32_e32 v24, v5, v11
	v_and_b32_e32 v25, 0x7fffffff, v24
	s_mov_b32 s9, 0x43800000
	v_cmp_gt_u32_e32 vcc, s9, v25
	v_mov_b32_e32 v5, 0x80
	v_mov_b32_e32 v19, 0x80
	s_and_saveexec_b64 s[2:3], vcc
	s_cbranch_execz .LBB51_29
; %bb.24:
	s_mov_b32 s10, 0x3bffffff
	v_cmp_lt_u32_e32 vcc, s10, v25
	s_mov_b64 s[10:11], 0
                                        ; implicit-def: $vgpr25
	s_and_saveexec_b64 s[12:13], vcc
	s_xor_b64 s[12:13], exec, s[12:13]
	s_cbranch_execnz .LBB51_115
; %bb.25:
	s_or_saveexec_b64 s[12:13], s[12:13]
                                        ; implicit-def: $sgpr14
	s_xor_b64 exec, exec, s[12:13]
	s_cbranch_execnz .LBB51_116
.LBB51_26:
	s_or_b64 exec, exec, s[12:13]
	v_mov_b32_e32 v19, s14
	s_and_saveexec_b64 s[12:13], s[10:11]
.LBB51_27:
	v_lshrrev_b32_e32 v19, 24, v24
	s_movk_i32 s10, 0x80
	v_and_or_b32 v19, v19, s10, v25
.LBB51_28:
	s_or_b64 exec, exec, s[12:13]
.LBB51_29:
	s_or_b64 exec, exec, s[2:3]
	v_lshlrev_b32_e32 v21, 16, v21
	v_mul_f32_e32 v21, v9, v21
	v_max_f32_e32 v21, v21, v10
	v_min_f32_e32 v21, v21, v11
	v_and_b32_e32 v24, 0x7fffffff, v21
	v_cmp_gt_u32_e32 vcc, s9, v24
	s_and_saveexec_b64 s[2:3], vcc
	s_cbranch_execz .LBB51_35
; %bb.30:
	s_mov_b32 s9, 0x3bffffff
	v_cmp_lt_u32_e32 vcc, s9, v24
	s_mov_b64 s[10:11], 0
                                        ; implicit-def: $vgpr24
	s_and_saveexec_b64 s[12:13], vcc
	s_xor_b64 s[12:13], exec, s[12:13]
	s_cbranch_execnz .LBB51_117
; %bb.31:
	s_or_saveexec_b64 s[12:13], s[12:13]
                                        ; implicit-def: $sgpr9
	s_xor_b64 exec, exec, s[12:13]
	s_cbranch_execnz .LBB51_118
.LBB51_32:
	s_or_b64 exec, exec, s[12:13]
	v_mov_b32_e32 v5, s9
	s_and_saveexec_b64 s[12:13], s[10:11]
.LBB51_33:
	v_lshrrev_b32_e32 v5, 24, v21
	s_movk_i32 s9, 0x80
	v_and_or_b32 v5, v5, s9, v24
.LBB51_34:
	s_or_b64 exec, exec, s[12:13]
.LBB51_35:
	s_or_b64 exec, exec, s[2:3]
	v_lshlrev_b32_e32 v6, 16, v6
	v_mul_f32_e32 v6, v9, v6
	v_max_f32_e32 v6, v6, v10
	v_min_f32_e32 v24, v6, v11
	v_and_b32_e32 v25, 0x7fffffff, v24
	s_mov_b32 s9, 0x43800000
	v_cmp_gt_u32_e32 vcc, s9, v25
	v_mov_b32_e32 v21, 0x80
	v_mov_b32_e32 v6, 0x80
	s_and_saveexec_b64 s[2:3], vcc
	s_cbranch_execz .LBB51_41
; %bb.36:
	s_mov_b32 s10, 0x3bffffff
	v_cmp_lt_u32_e32 vcc, s10, v25
	s_mov_b64 s[10:11], 0
                                        ; implicit-def: $vgpr25
	s_and_saveexec_b64 s[12:13], vcc
	s_xor_b64 s[12:13], exec, s[12:13]
	s_cbranch_execnz .LBB51_119
; %bb.37:
	s_or_saveexec_b64 s[12:13], s[12:13]
                                        ; implicit-def: $sgpr14
	s_xor_b64 exec, exec, s[12:13]
	s_cbranch_execnz .LBB51_120
.LBB51_38:
	s_or_b64 exec, exec, s[12:13]
	v_mov_b32_e32 v6, s14
	s_and_saveexec_b64 s[12:13], s[10:11]
.LBB51_39:
	v_lshrrev_b32_e32 v6, 24, v24
	s_movk_i32 s10, 0x80
	v_and_or_b32 v6, v6, s10, v25
.LBB51_40:
	s_or_b64 exec, exec, s[12:13]
.LBB51_41:
	s_or_b64 exec, exec, s[2:3]
	v_lshlrev_b32_e32 v23, 16, v23
	v_mul_f32_e32 v23, v9, v23
	v_max_f32_e32 v23, v23, v10
	v_min_f32_e32 v23, v23, v11
	v_and_b32_e32 v24, 0x7fffffff, v23
	v_cmp_gt_u32_e32 vcc, s9, v24
	s_and_saveexec_b64 s[2:3], vcc
	s_cbranch_execz .LBB51_47
; %bb.42:
	s_mov_b32 s9, 0x3bffffff
	v_cmp_lt_u32_e32 vcc, s9, v24
	s_mov_b64 s[10:11], 0
                                        ; implicit-def: $vgpr24
	s_and_saveexec_b64 s[12:13], vcc
	s_xor_b64 s[12:13], exec, s[12:13]
	s_cbranch_execnz .LBB51_121
; %bb.43:
	s_or_saveexec_b64 s[12:13], s[12:13]
                                        ; implicit-def: $sgpr9
	s_xor_b64 exec, exec, s[12:13]
	s_cbranch_execnz .LBB51_122
.LBB51_44:
	s_or_b64 exec, exec, s[12:13]
	v_mov_b32_e32 v21, s9
	s_and_saveexec_b64 s[12:13], s[10:11]
.LBB51_45:
	v_lshrrev_b32_e32 v21, 24, v23
	s_movk_i32 s9, 0x80
	v_and_or_b32 v21, v21, s9, v24
.LBB51_46:
	s_or_b64 exec, exec, s[12:13]
.LBB51_47:
	s_or_b64 exec, exec, s[2:3]
	v_lshlrev_b32_e32 v7, 16, v7
	v_mul_f32_e32 v7, v9, v7
	v_max_f32_e32 v7, v7, v10
	v_min_f32_e32 v24, v7, v11
	v_and_b32_e32 v25, 0x7fffffff, v24
	s_mov_b32 s9, 0x43800000
	v_cmp_gt_u32_e32 vcc, s9, v25
	v_mov_b32_e32 v7, 0x80
	v_mov_b32_e32 v23, 0x80
	s_and_saveexec_b64 s[2:3], vcc
	s_cbranch_execz .LBB51_53
; %bb.48:
	s_mov_b32 s10, 0x3bffffff
	v_cmp_lt_u32_e32 vcc, s10, v25
	s_mov_b64 s[10:11], 0
                                        ; implicit-def: $vgpr25
	s_and_saveexec_b64 s[12:13], vcc
	s_xor_b64 s[12:13], exec, s[12:13]
	s_cbranch_execnz .LBB51_123
; %bb.49:
	s_or_saveexec_b64 s[12:13], s[12:13]
                                        ; implicit-def: $sgpr14
	s_xor_b64 exec, exec, s[12:13]
	s_cbranch_execnz .LBB51_124
.LBB51_50:
	s_or_b64 exec, exec, s[12:13]
	v_mov_b32_e32 v23, s14
	s_and_saveexec_b64 s[12:13], s[10:11]
.LBB51_51:
	v_lshrrev_b32_e32 v23, 24, v24
	s_movk_i32 s10, 0x80
	v_and_or_b32 v23, v23, s10, v25
.LBB51_52:
	s_or_b64 exec, exec, s[12:13]
.LBB51_53:
	s_or_b64 exec, exec, s[2:3]
	v_lshlrev_b32_e32 v22, 16, v22
	v_mul_f32_e32 v22, v9, v22
	v_max_f32_e32 v22, v22, v10
	v_min_f32_e32 v22, v22, v11
	v_and_b32_e32 v24, 0x7fffffff, v22
	v_cmp_gt_u32_e32 vcc, s9, v24
	s_and_saveexec_b64 s[2:3], vcc
	s_cbranch_execz .LBB51_59
; %bb.54:
	s_mov_b32 s9, 0x3bffffff
	v_cmp_lt_u32_e32 vcc, s9, v24
	s_mov_b64 s[10:11], 0
                                        ; implicit-def: $vgpr24
	s_and_saveexec_b64 s[12:13], vcc
	s_xor_b64 s[12:13], exec, s[12:13]
	s_cbranch_execnz .LBB51_125
; %bb.55:
	s_or_saveexec_b64 s[12:13], s[12:13]
                                        ; implicit-def: $sgpr9
	s_xor_b64 exec, exec, s[12:13]
	s_cbranch_execnz .LBB51_126
.LBB51_56:
	s_or_b64 exec, exec, s[12:13]
	v_mov_b32_e32 v7, s9
	s_and_saveexec_b64 s[12:13], s[10:11]
.LBB51_57:
	v_lshrrev_b32_e32 v7, 24, v22
	s_movk_i32 s9, 0x80
	v_and_or_b32 v7, v7, s9, v24
.LBB51_58:
	s_or_b64 exec, exec, s[12:13]
.LBB51_59:
	s_or_b64 exec, exec, s[2:3]
	v_lshlrev_b32_e32 v0, 16, v0
	v_mul_f32_e32 v0, v9, v0
	v_max_f32_e32 v0, v0, v10
	v_min_f32_e32 v24, v0, v11
	v_and_b32_e32 v25, 0x7fffffff, v24
	s_mov_b32 s9, 0x43800000
	v_cmp_gt_u32_e32 vcc, s9, v25
	v_mov_b32_e32 v22, 0x80
	v_mov_b32_e32 v0, 0x80
	s_and_saveexec_b64 s[2:3], vcc
	s_cbranch_execz .LBB51_65
; %bb.60:
	s_mov_b32 s10, 0x3bffffff
	v_cmp_lt_u32_e32 vcc, s10, v25
	s_mov_b64 s[10:11], 0
                                        ; implicit-def: $vgpr25
	s_and_saveexec_b64 s[12:13], vcc
	s_xor_b64 s[12:13], exec, s[12:13]
	s_cbranch_execnz .LBB51_127
; %bb.61:
	s_or_saveexec_b64 s[12:13], s[12:13]
                                        ; implicit-def: $sgpr14
	s_xor_b64 exec, exec, s[12:13]
	s_cbranch_execnz .LBB51_128
.LBB51_62:
	s_or_b64 exec, exec, s[12:13]
	v_mov_b32_e32 v0, s14
	s_and_saveexec_b64 s[12:13], s[10:11]
.LBB51_63:
	v_lshrrev_b32_e32 v0, 24, v24
	s_movk_i32 s10, 0x80
	v_and_or_b32 v0, v0, s10, v25
.LBB51_64:
	s_or_b64 exec, exec, s[12:13]
.LBB51_65:
	s_or_b64 exec, exec, s[2:3]
	v_lshlrev_b32_e32 v20, 16, v20
	v_mul_f32_e32 v20, v9, v20
	v_max_f32_e32 v20, v20, v10
	v_min_f32_e32 v20, v20, v11
	v_and_b32_e32 v24, 0x7fffffff, v20
	v_cmp_gt_u32_e32 vcc, s9, v24
	s_and_saveexec_b64 s[2:3], vcc
	s_cbranch_execz .LBB51_71
; %bb.66:
	s_mov_b32 s9, 0x3bffffff
	v_cmp_lt_u32_e32 vcc, s9, v24
	s_mov_b64 s[10:11], 0
                                        ; implicit-def: $vgpr24
	s_and_saveexec_b64 s[12:13], vcc
	s_xor_b64 s[12:13], exec, s[12:13]
	s_cbranch_execnz .LBB51_129
; %bb.67:
	s_or_saveexec_b64 s[12:13], s[12:13]
                                        ; implicit-def: $sgpr9
	s_xor_b64 exec, exec, s[12:13]
	s_cbranch_execnz .LBB51_130
.LBB51_68:
	s_or_b64 exec, exec, s[12:13]
	v_mov_b32_e32 v22, s9
	s_and_saveexec_b64 s[12:13], s[10:11]
.LBB51_69:
	v_lshrrev_b32_e32 v20, 24, v20
	s_movk_i32 s9, 0x80
	v_and_or_b32 v22, v20, s9, v24
.LBB51_70:
	s_or_b64 exec, exec, s[12:13]
.LBB51_71:
	s_or_b64 exec, exec, s[2:3]
	v_lshlrev_b32_e32 v1, 16, v1
	v_mul_f32_e32 v1, v9, v1
	v_max_f32_e32 v1, v1, v10
	v_min_f32_e32 v20, v1, v11
	v_and_b32_e32 v24, 0x7fffffff, v20
	s_mov_b32 s9, 0x43800000
	v_cmp_gt_u32_e32 vcc, s9, v24
	v_mov_b32_e32 v1, 0x800000
	s_and_saveexec_b64 s[2:3], vcc
	s_cbranch_execz .LBB51_77
; %bb.72:
	s_mov_b32 s10, 0x3bffffff
	v_cmp_lt_u32_e32 vcc, s10, v24
	s_mov_b64 s[10:11], 0
                                        ; implicit-def: $vgpr24
	s_and_saveexec_b64 s[12:13], vcc
	s_xor_b64 s[12:13], exec, s[12:13]
	s_cbranch_execnz .LBB51_131
; %bb.73:
	s_or_saveexec_b64 s[12:13], s[12:13]
                                        ; implicit-def: $sgpr14
	s_xor_b64 exec, exec, s[12:13]
	s_cbranch_execnz .LBB51_132
.LBB51_74:
	s_or_b64 exec, exec, s[12:13]
	v_mov_b32_e32 v1, s14
	s_and_saveexec_b64 s[12:13], s[10:11]
.LBB51_75:
	v_lshrrev_b32_e32 v1, 24, v20
	s_movk_i32 s10, 0x80
	v_and_or_b32 v1, v1, s10, v24
	v_lshlrev_b32_e32 v1, 16, v1
	v_and_b32_e32 v1, 0xff0000, v1
.LBB51_76:
	s_or_b64 exec, exec, s[12:13]
.LBB51_77:
	s_or_b64 exec, exec, s[2:3]
	v_lshlrev_b32_e32 v18, 16, v18
	v_mul_f32_e32 v18, v9, v18
	v_max_f32_e32 v18, v18, v10
	v_min_f32_e32 v20, v18, v11
	v_and_b32_e32 v24, 0x7fffffff, v20
	v_cmp_gt_u32_e32 vcc, s9, v24
	v_bfrev_b32_e32 v18, 1
	s_and_saveexec_b64 s[2:3], vcc
	s_cbranch_execz .LBB51_83
; %bb.78:
	s_mov_b32 s9, 0x3bffffff
	v_cmp_lt_u32_e32 vcc, s9, v24
	s_mov_b64 s[10:11], 0
                                        ; implicit-def: $vgpr24
	s_and_saveexec_b64 s[12:13], vcc
	s_xor_b64 s[12:13], exec, s[12:13]
	s_cbranch_execnz .LBB51_133
; %bb.79:
	s_or_saveexec_b64 s[12:13], s[12:13]
                                        ; implicit-def: $sgpr9
	s_xor_b64 exec, exec, s[12:13]
	s_cbranch_execnz .LBB51_134
.LBB51_80:
	s_or_b64 exec, exec, s[12:13]
	v_mov_b32_e32 v18, s9
	s_and_saveexec_b64 s[12:13], s[10:11]
.LBB51_81:
	v_lshlrev_b32_e32 v18, 24, v24
	s_brev_b32 s9, 1
	v_and_or_b32 v18, v20, s9, v18
.LBB51_82:
	s_or_b64 exec, exec, s[12:13]
.LBB51_83:
	s_or_b64 exec, exec, s[2:3]
	v_lshlrev_b32_e32 v2, 16, v2
	v_mul_f32_e32 v2, v9, v2
	v_max_f32_e32 v2, v2, v10
	v_min_f32_e32 v20, v2, v11
	v_and_b32_e32 v24, 0x7fffffff, v20
	s_mov_b32 s9, 0x43800000
	v_cmp_gt_u32_e32 vcc, s9, v24
	v_mov_b32_e32 v2, 0x80
	s_and_saveexec_b64 s[2:3], vcc
	s_cbranch_execz .LBB51_89
; %bb.84:
	s_mov_b32 s10, 0x3bffffff
	v_cmp_lt_u32_e32 vcc, s10, v24
	s_mov_b64 s[10:11], 0
                                        ; implicit-def: $vgpr24
	s_and_saveexec_b64 s[12:13], vcc
	s_xor_b64 s[12:13], exec, s[12:13]
	s_cbranch_execnz .LBB51_135
; %bb.85:
	s_or_saveexec_b64 s[12:13], s[12:13]
                                        ; implicit-def: $sgpr14
	s_xor_b64 exec, exec, s[12:13]
	s_cbranch_execnz .LBB51_136
.LBB51_86:
	s_or_b64 exec, exec, s[12:13]
	v_mov_b32_e32 v2, s14
	s_and_saveexec_b64 s[12:13], s[10:11]
.LBB51_87:
	v_lshrrev_b32_e32 v2, 24, v20
	s_movk_i32 s10, 0x80
	v_and_or_b32 v2, v2, s10, v24
.LBB51_88:
	s_or_b64 exec, exec, s[12:13]
.LBB51_89:
	s_or_b64 exec, exec, s[2:3]
	v_lshlrev_b32_e32 v17, 16, v17
	v_mul_f32_e32 v17, v9, v17
	v_max_f32_e32 v17, v17, v10
	v_min_f32_e32 v20, v17, v11
	v_and_b32_e32 v24, 0x7fffffff, v20
	v_cmp_gt_u32_e32 vcc, s9, v24
	v_mov_b32_e32 v17, 0x8000
	s_and_saveexec_b64 s[2:3], vcc
	s_cbranch_execz .LBB51_95
; %bb.90:
	s_mov_b32 s9, 0x3bffffff
	v_cmp_lt_u32_e32 vcc, s9, v24
	s_mov_b64 s[10:11], 0
                                        ; implicit-def: $vgpr24
	s_and_saveexec_b64 s[12:13], vcc
	s_xor_b64 s[12:13], exec, s[12:13]
	s_cbranch_execnz .LBB51_137
; %bb.91:
	s_or_saveexec_b64 s[12:13], s[12:13]
                                        ; implicit-def: $sgpr9
	s_xor_b64 exec, exec, s[12:13]
	s_cbranch_execnz .LBB51_138
.LBB51_92:
	s_or_b64 exec, exec, s[12:13]
	v_mov_b32_e32 v17, s9
	s_and_saveexec_b64 s[12:13], s[10:11]
.LBB51_93:
	v_lshrrev_b32_e32 v17, 24, v20
	s_movk_i32 s9, 0x80
	v_and_or_b32 v17, v17, s9, v24
	v_lshlrev_b32_e32 v17, 8, v17
.LBB51_94:
	s_or_b64 exec, exec, s[12:13]
.LBB51_95:
	s_or_b64 exec, exec, s[2:3]
	v_lshlrev_b32_e32 v3, 16, v3
	v_mul_f32_e32 v3, v9, v3
	v_max_f32_e32 v3, v3, v10
	v_min_f32_e32 v20, v3, v11
	v_and_b32_e32 v24, 0x7fffffff, v20
	s_mov_b32 s9, 0x43800000
	v_cmp_gt_u32_e32 vcc, s9, v24
	v_mov_b32_e32 v3, 0x800000
	s_and_saveexec_b64 s[2:3], vcc
	s_cbranch_execz .LBB51_101
; %bb.96:
	s_mov_b32 s10, 0x3bffffff
	v_cmp_lt_u32_e32 vcc, s10, v24
	s_mov_b64 s[10:11], 0
                                        ; implicit-def: $vgpr24
	s_and_saveexec_b64 s[12:13], vcc
	s_xor_b64 s[12:13], exec, s[12:13]
	s_cbranch_execnz .LBB51_139
; %bb.97:
	s_or_saveexec_b64 s[12:13], s[12:13]
                                        ; implicit-def: $sgpr14
	s_xor_b64 exec, exec, s[12:13]
	s_cbranch_execnz .LBB51_140
.LBB51_98:
	s_or_b64 exec, exec, s[12:13]
	v_mov_b32_e32 v3, s14
	s_and_saveexec_b64 s[12:13], s[10:11]
.LBB51_99:
	v_lshrrev_b32_e32 v3, 24, v20
	s_movk_i32 s10, 0x80
	v_and_or_b32 v3, v3, s10, v24
	v_lshlrev_b32_e32 v3, 16, v3
.LBB51_100:
	s_or_b64 exec, exec, s[12:13]
.LBB51_101:
	s_or_b64 exec, exec, s[2:3]
	v_lshlrev_b32_e32 v15, 16, v15
	v_mul_f32_e32 v9, v9, v15
	v_max_f32_e32 v9, v9, v10
	v_min_f32_e32 v9, v9, v11
	v_and_b32_e32 v10, 0x7fffffff, v9
	v_cmp_gt_u32_e32 vcc, s9, v10
	v_bfrev_b32_e32 v11, 1
	s_and_saveexec_b64 s[2:3], vcc
	s_cbranch_execz .LBB51_107
; %bb.102:
	s_mov_b32 s9, 0x3bffffff
	v_cmp_lt_u32_e32 vcc, s9, v10
	s_mov_b64 s[10:11], 0
                                        ; implicit-def: $vgpr10
	s_and_saveexec_b64 s[12:13], vcc
	s_xor_b64 s[12:13], exec, s[12:13]
	s_cbranch_execnz .LBB51_141
; %bb.103:
	s_or_saveexec_b64 s[12:13], s[12:13]
                                        ; implicit-def: $sgpr9
	s_xor_b64 exec, exec, s[12:13]
	s_cbranch_execnz .LBB51_142
.LBB51_104:
	s_or_b64 exec, exec, s[12:13]
	v_mov_b32_e32 v11, s9
	s_and_saveexec_b64 s[12:13], s[10:11]
.LBB51_105:
	v_lshlrev_b32_e32 v10, 24, v10
	s_brev_b32 s9, 1
	v_and_or_b32 v11, v9, s9, v10
.LBB51_106:
	s_or_b64 exec, exec, s[12:13]
.LBB51_107:
	s_or_b64 exec, exec, s[2:3]
	v_lshlrev_b32_e32 v9, 8, v22
	s_mov_b32 s2, 0xc0c0500
	v_perm_b32 v0, v9, v0, s2
	v_or3_b32 v10, v1, v0, v18
	v_lshlrev_b32_e32 v0, 8, v21
	v_perm_b32 v0, v0, v6, s2
	v_lshlrev_b32_e32 v1, 16, v23
	s_mov_b32 s3, 0xff0000
	v_and_or_b32 v0, v1, s3, v0
	v_lshl_or_b32 v9, v7, 24, v0
	v_lshlrev_b32_e32 v0, 8, v4
	v_perm_b32 v0, v0, v8, s2
	v_lshlrev_b32_e32 v1, 16, v19
	v_or_b32_e32 v2, v17, v2
	v_and_or_b32 v0, v1, s3, v0
	v_lshl_or_b32 v8, v5, 24, v0
	v_or3_b32 v11, v3, v2, v11
	s_or_b64 s[6:7], s[6:7], exec
.LBB51_108:
	s_or_b64 exec, exec, s[0:1]
	s_and_b64 exec, exec, s[6:7]
	s_cbranch_execz .LBB51_110
; %bb.109:
	s_load_dwordx2 s[0:1], s[4:5], 0x8
	v_alignbit_b32 v0, v16, v12, 25
	s_ashr_i32 s2, s8, 31
	v_lshlrev_b32_e32 v2, 7, v12
	v_mul_lo_u32 v4, v0, s8
	s_waitcnt lgkmcnt(0)
	v_pk_mov_b32 v[0:1], s[0:1], s[0:1] op_sel:[0,1]
	v_mul_lo_u32 v3, v2, s2
	v_mad_u64_u32 v[0:1], s[0:1], v2, s8, v[0:1]
	v_add3_u32 v1, v4, v1, v3
	v_ashrrev_i32_e32 v2, 31, v14
	v_add_co_u32_e32 v0, vcc, v0, v14
	v_addc_co_u32_e32 v1, vcc, v1, v2, vcc
	v_lshlrev_b32_e32 v2, 4, v13
	v_add_co_u32_e32 v0, vcc, v0, v2
	v_addc_co_u32_e32 v1, vcc, 0, v1, vcc
	global_store_dwordx4 v[0:1], v[8:11], off
.LBB51_110:
	s_endpgm
.LBB51_111:
	v_bfe_u32 v8, v24, 20, 1
	s_mov_b32 s14, 0x487ffff
	v_add3_u32 v8, v24, v8, s14
	s_mov_b64 s[10:11], exec
	v_lshrrev_b32_e32 v25, 20, v8
	s_or_saveexec_b64 s[12:13], s[12:13]
                                        ; implicit-def: $sgpr14
	s_xor_b64 exec, exec, s[12:13]
	s_cbranch_execz .LBB51_14
.LBB51_112:
	s_mov_b32 s14, 0x46000000
	v_add_f32_e64 v8, |v24|, s14
	v_and_b32_e32 v25, 0xff, v8
	v_cmp_ne_u32_e32 vcc, 0, v25
	s_andn2_b64 s[10:11], s[10:11], exec
	s_and_b64 s[16:17], vcc, exec
	s_mov_b32 s14, 0
	s_or_b64 s[10:11], s[10:11], s[16:17]
	s_or_b64 exec, exec, s[12:13]
	v_mov_b32_e32 v8, s14
	s_and_saveexec_b64 s[12:13], s[10:11]
	s_cbranch_execnz .LBB51_15
	s_branch .LBB51_16
.LBB51_113:
	v_bfe_u32 v4, v19, 20, 1
	s_mov_b32 s9, 0x487ffff
	v_add3_u32 v4, v19, v4, s9
	s_mov_b64 s[10:11], exec
	v_lshrrev_b32_e32 v24, 20, v4
	s_or_saveexec_b64 s[12:13], s[12:13]
                                        ; implicit-def: $sgpr9
	s_xor_b64 exec, exec, s[12:13]
	s_cbranch_execz .LBB51_20
.LBB51_114:
	s_mov_b32 s9, 0x46000000
	v_add_f32_e64 v4, |v19|, s9
	v_and_b32_e32 v24, 0xff, v4
	v_cmp_ne_u32_e32 vcc, 0, v24
	s_andn2_b64 s[10:11], s[10:11], exec
	s_and_b64 s[14:15], vcc, exec
	s_mov_b32 s9, 0
	s_or_b64 s[10:11], s[10:11], s[14:15]
	s_or_b64 exec, exec, s[12:13]
	v_mov_b32_e32 v4, s9
	s_and_saveexec_b64 s[12:13], s[10:11]
	s_cbranch_execnz .LBB51_21
	s_branch .LBB51_22
.LBB51_115:
	v_bfe_u32 v19, v24, 20, 1
	s_mov_b32 s14, 0x487ffff
	v_add3_u32 v19, v24, v19, s14
	s_mov_b64 s[10:11], exec
	v_lshrrev_b32_e32 v25, 20, v19
	s_or_saveexec_b64 s[12:13], s[12:13]
                                        ; implicit-def: $sgpr14
	s_xor_b64 exec, exec, s[12:13]
	s_cbranch_execz .LBB51_26
.LBB51_116:
	s_mov_b32 s14, 0x46000000
	v_add_f32_e64 v19, |v24|, s14
	v_and_b32_e32 v25, 0xff, v19
	v_cmp_ne_u32_e32 vcc, 0, v25
	s_andn2_b64 s[10:11], s[10:11], exec
	s_and_b64 s[16:17], vcc, exec
	s_mov_b32 s14, 0
	s_or_b64 s[10:11], s[10:11], s[16:17]
	s_or_b64 exec, exec, s[12:13]
	v_mov_b32_e32 v19, s14
	s_and_saveexec_b64 s[12:13], s[10:11]
	s_cbranch_execnz .LBB51_27
	s_branch .LBB51_28
.LBB51_117:
	v_bfe_u32 v5, v21, 20, 1
	s_mov_b32 s9, 0x487ffff
	v_add3_u32 v5, v21, v5, s9
	s_mov_b64 s[10:11], exec
	v_lshrrev_b32_e32 v24, 20, v5
	s_or_saveexec_b64 s[12:13], s[12:13]
                                        ; implicit-def: $sgpr9
	s_xor_b64 exec, exec, s[12:13]
	s_cbranch_execz .LBB51_32
.LBB51_118:
	s_mov_b32 s9, 0x46000000
	v_add_f32_e64 v5, |v21|, s9
	v_and_b32_e32 v24, 0xff, v5
	v_cmp_ne_u32_e32 vcc, 0, v24
	s_andn2_b64 s[10:11], s[10:11], exec
	s_and_b64 s[14:15], vcc, exec
	s_mov_b32 s9, 0
	s_or_b64 s[10:11], s[10:11], s[14:15]
	s_or_b64 exec, exec, s[12:13]
	v_mov_b32_e32 v5, s9
	s_and_saveexec_b64 s[12:13], s[10:11]
	s_cbranch_execnz .LBB51_33
	s_branch .LBB51_34
.LBB51_119:
	v_bfe_u32 v6, v24, 20, 1
	s_mov_b32 s14, 0x487ffff
	v_add3_u32 v6, v24, v6, s14
	s_mov_b64 s[10:11], exec
	v_lshrrev_b32_e32 v25, 20, v6
	s_or_saveexec_b64 s[12:13], s[12:13]
                                        ; implicit-def: $sgpr14
	s_xor_b64 exec, exec, s[12:13]
	s_cbranch_execz .LBB51_38
.LBB51_120:
	s_mov_b32 s14, 0x46000000
	v_add_f32_e64 v6, |v24|, s14
	v_and_b32_e32 v25, 0xff, v6
	v_cmp_ne_u32_e32 vcc, 0, v25
	s_andn2_b64 s[10:11], s[10:11], exec
	s_and_b64 s[16:17], vcc, exec
	s_mov_b32 s14, 0
	s_or_b64 s[10:11], s[10:11], s[16:17]
	s_or_b64 exec, exec, s[12:13]
	v_mov_b32_e32 v6, s14
	s_and_saveexec_b64 s[12:13], s[10:11]
	s_cbranch_execnz .LBB51_39
	s_branch .LBB51_40
.LBB51_121:
	v_bfe_u32 v21, v23, 20, 1
	s_mov_b32 s9, 0x487ffff
	v_add3_u32 v21, v23, v21, s9
	s_mov_b64 s[10:11], exec
	v_lshrrev_b32_e32 v24, 20, v21
	s_or_saveexec_b64 s[12:13], s[12:13]
                                        ; implicit-def: $sgpr9
	s_xor_b64 exec, exec, s[12:13]
	s_cbranch_execz .LBB51_44
.LBB51_122:
	s_mov_b32 s9, 0x46000000
	v_add_f32_e64 v21, |v23|, s9
	v_and_b32_e32 v24, 0xff, v21
	v_cmp_ne_u32_e32 vcc, 0, v24
	s_andn2_b64 s[10:11], s[10:11], exec
	s_and_b64 s[14:15], vcc, exec
	s_mov_b32 s9, 0
	s_or_b64 s[10:11], s[10:11], s[14:15]
	s_or_b64 exec, exec, s[12:13]
	v_mov_b32_e32 v21, s9
	s_and_saveexec_b64 s[12:13], s[10:11]
	s_cbranch_execnz .LBB51_45
	s_branch .LBB51_46
.LBB51_123:
	v_bfe_u32 v23, v24, 20, 1
	s_mov_b32 s14, 0x487ffff
	v_add3_u32 v23, v24, v23, s14
	s_mov_b64 s[10:11], exec
	v_lshrrev_b32_e32 v25, 20, v23
	s_or_saveexec_b64 s[12:13], s[12:13]
                                        ; implicit-def: $sgpr14
	s_xor_b64 exec, exec, s[12:13]
	s_cbranch_execz .LBB51_50
.LBB51_124:
	s_mov_b32 s14, 0x46000000
	v_add_f32_e64 v23, |v24|, s14
	v_and_b32_e32 v25, 0xff, v23
	v_cmp_ne_u32_e32 vcc, 0, v25
	s_andn2_b64 s[10:11], s[10:11], exec
	s_and_b64 s[16:17], vcc, exec
	s_mov_b32 s14, 0
	s_or_b64 s[10:11], s[10:11], s[16:17]
	s_or_b64 exec, exec, s[12:13]
	v_mov_b32_e32 v23, s14
	s_and_saveexec_b64 s[12:13], s[10:11]
	s_cbranch_execnz .LBB51_51
	s_branch .LBB51_52
.LBB51_125:
	v_bfe_u32 v7, v22, 20, 1
	s_mov_b32 s9, 0x487ffff
	v_add3_u32 v7, v22, v7, s9
	s_mov_b64 s[10:11], exec
	v_lshrrev_b32_e32 v24, 20, v7
	s_or_saveexec_b64 s[12:13], s[12:13]
                                        ; implicit-def: $sgpr9
	s_xor_b64 exec, exec, s[12:13]
	s_cbranch_execz .LBB51_56
.LBB51_126:
	s_mov_b32 s9, 0x46000000
	v_add_f32_e64 v7, |v22|, s9
	v_and_b32_e32 v24, 0xff, v7
	v_cmp_ne_u32_e32 vcc, 0, v24
	s_andn2_b64 s[10:11], s[10:11], exec
	s_and_b64 s[14:15], vcc, exec
	s_mov_b32 s9, 0
	s_or_b64 s[10:11], s[10:11], s[14:15]
	s_or_b64 exec, exec, s[12:13]
	v_mov_b32_e32 v7, s9
	s_and_saveexec_b64 s[12:13], s[10:11]
	s_cbranch_execnz .LBB51_57
	s_branch .LBB51_58
.LBB51_127:
	v_bfe_u32 v0, v24, 20, 1
	s_mov_b32 s14, 0x487ffff
	v_add3_u32 v0, v24, v0, s14
	s_mov_b64 s[10:11], exec
	v_lshrrev_b32_e32 v25, 20, v0
	s_or_saveexec_b64 s[12:13], s[12:13]
                                        ; implicit-def: $sgpr14
	s_xor_b64 exec, exec, s[12:13]
	s_cbranch_execz .LBB51_62
.LBB51_128:
	s_mov_b32 s14, 0x46000000
	v_add_f32_e64 v0, |v24|, s14
	v_and_b32_e32 v25, 0xff, v0
	v_cmp_ne_u32_e32 vcc, 0, v25
	s_andn2_b64 s[10:11], s[10:11], exec
	s_and_b64 s[16:17], vcc, exec
	s_mov_b32 s14, 0
	s_or_b64 s[10:11], s[10:11], s[16:17]
	s_or_b64 exec, exec, s[12:13]
	v_mov_b32_e32 v0, s14
	s_and_saveexec_b64 s[12:13], s[10:11]
	s_cbranch_execnz .LBB51_63
	s_branch .LBB51_64
.LBB51_129:
	v_bfe_u32 v22, v20, 20, 1
	s_mov_b32 s9, 0x487ffff
	v_add3_u32 v22, v20, v22, s9
	s_mov_b64 s[10:11], exec
	v_lshrrev_b32_e32 v24, 20, v22
	s_or_saveexec_b64 s[12:13], s[12:13]
                                        ; implicit-def: $sgpr9
	s_xor_b64 exec, exec, s[12:13]
	s_cbranch_execz .LBB51_68
.LBB51_130:
	s_mov_b32 s9, 0x46000000
	v_add_f32_e64 v22, |v20|, s9
	v_and_b32_e32 v24, 0xff, v22
	v_cmp_ne_u32_e32 vcc, 0, v24
	s_andn2_b64 s[10:11], s[10:11], exec
	s_and_b64 s[14:15], vcc, exec
	s_mov_b32 s9, 0
	s_or_b64 s[10:11], s[10:11], s[14:15]
	s_or_b64 exec, exec, s[12:13]
	v_mov_b32_e32 v22, s9
	s_and_saveexec_b64 s[12:13], s[10:11]
	s_cbranch_execnz .LBB51_69
	s_branch .LBB51_70
.LBB51_131:
	v_bfe_u32 v1, v20, 20, 1
	s_mov_b32 s14, 0x487ffff
	v_add3_u32 v1, v20, v1, s14
	s_mov_b64 s[10:11], exec
	v_lshrrev_b32_e32 v24, 20, v1
	s_or_saveexec_b64 s[12:13], s[12:13]
                                        ; implicit-def: $sgpr14
	s_xor_b64 exec, exec, s[12:13]
	s_cbranch_execz .LBB51_74
.LBB51_132:
	s_mov_b32 s14, 0x46000000
	v_add_f32_e64 v1, |v20|, s14
	v_and_b32_e32 v24, 0xff, v1
	v_cmp_ne_u32_e32 vcc, 0, v24
	s_andn2_b64 s[10:11], s[10:11], exec
	s_and_b64 s[16:17], vcc, exec
	s_mov_b32 s14, 0
	s_or_b64 s[10:11], s[10:11], s[16:17]
	s_or_b64 exec, exec, s[12:13]
	v_mov_b32_e32 v1, s14
	s_and_saveexec_b64 s[12:13], s[10:11]
	s_cbranch_execnz .LBB51_75
	s_branch .LBB51_76
.LBB51_133:
	v_bfe_u32 v18, v20, 20, 1
	s_mov_b32 s9, 0x487ffff
	v_add3_u32 v18, v20, v18, s9
	s_mov_b64 s[10:11], exec
	v_lshrrev_b32_e32 v24, 20, v18
	s_or_saveexec_b64 s[12:13], s[12:13]
                                        ; implicit-def: $sgpr9
	s_xor_b64 exec, exec, s[12:13]
	s_cbranch_execz .LBB51_80
.LBB51_134:
	s_mov_b32 s9, 0x46000000
	v_add_f32_e64 v18, |v20|, s9
	v_and_b32_e32 v24, 0xff, v18
	v_cmp_ne_u32_e32 vcc, 0, v24
	s_andn2_b64 s[10:11], s[10:11], exec
	s_and_b64 s[14:15], vcc, exec
	s_mov_b32 s9, 0
	s_or_b64 s[10:11], s[10:11], s[14:15]
	s_or_b64 exec, exec, s[12:13]
	v_mov_b32_e32 v18, s9
	s_and_saveexec_b64 s[12:13], s[10:11]
	s_cbranch_execnz .LBB51_81
	s_branch .LBB51_82
.LBB51_135:
	v_bfe_u32 v2, v20, 20, 1
	s_mov_b32 s14, 0x487ffff
	v_add3_u32 v2, v20, v2, s14
	s_mov_b64 s[10:11], exec
	v_bfe_u32 v24, v2, 20, 8
	s_or_saveexec_b64 s[12:13], s[12:13]
                                        ; implicit-def: $sgpr14
	s_xor_b64 exec, exec, s[12:13]
	s_cbranch_execz .LBB51_86
.LBB51_136:
	s_mov_b32 s14, 0x46000000
	v_add_f32_e64 v2, |v20|, s14
	v_and_b32_e32 v24, 0xff, v2
	v_cmp_ne_u32_e32 vcc, 0, v24
	s_andn2_b64 s[10:11], s[10:11], exec
	s_and_b64 s[16:17], vcc, exec
	s_mov_b32 s14, 0
	s_or_b64 s[10:11], s[10:11], s[16:17]
	s_or_b64 exec, exec, s[12:13]
	v_mov_b32_e32 v2, s14
	s_and_saveexec_b64 s[12:13], s[10:11]
	s_cbranch_execnz .LBB51_87
	s_branch .LBB51_88
.LBB51_137:
	v_bfe_u32 v17, v20, 20, 1
	s_mov_b32 s9, 0x487ffff
	v_add3_u32 v17, v20, v17, s9
	s_mov_b64 s[10:11], exec
	v_bfe_u32 v24, v17, 20, 8
	s_or_saveexec_b64 s[12:13], s[12:13]
                                        ; implicit-def: $sgpr9
	s_xor_b64 exec, exec, s[12:13]
	s_cbranch_execz .LBB51_92
.LBB51_138:
	s_mov_b32 s9, 0x46000000
	v_add_f32_e64 v17, |v20|, s9
	v_and_b32_e32 v24, 0xff, v17
	v_cmp_ne_u32_e32 vcc, 0, v24
	s_andn2_b64 s[10:11], s[10:11], exec
	s_and_b64 s[14:15], vcc, exec
	s_mov_b32 s9, 0
	s_or_b64 s[10:11], s[10:11], s[14:15]
	s_or_b64 exec, exec, s[12:13]
	v_mov_b32_e32 v17, s9
	s_and_saveexec_b64 s[12:13], s[10:11]
	s_cbranch_execnz .LBB51_93
	s_branch .LBB51_94
.LBB51_139:
	v_bfe_u32 v3, v20, 20, 1
	s_mov_b32 s14, 0x487ffff
	v_add3_u32 v3, v20, v3, s14
	s_mov_b64 s[10:11], exec
	v_bfe_u32 v24, v3, 20, 8
	s_or_saveexec_b64 s[12:13], s[12:13]
                                        ; implicit-def: $sgpr14
	s_xor_b64 exec, exec, s[12:13]
	s_cbranch_execz .LBB51_98
.LBB51_140:
	s_mov_b32 s14, 0x46000000
	v_add_f32_e64 v3, |v20|, s14
	v_and_b32_e32 v24, 0xff, v3
	v_cmp_ne_u32_e32 vcc, 0, v24
	s_andn2_b64 s[10:11], s[10:11], exec
	s_and_b64 s[16:17], vcc, exec
	s_mov_b32 s14, 0
	s_or_b64 s[10:11], s[10:11], s[16:17]
	s_or_b64 exec, exec, s[12:13]
	v_mov_b32_e32 v3, s14
	s_and_saveexec_b64 s[12:13], s[10:11]
	s_cbranch_execnz .LBB51_99
	s_branch .LBB51_100
.LBB51_141:
	v_bfe_u32 v10, v9, 20, 1
	s_mov_b32 s9, 0x487ffff
	v_add3_u32 v10, v9, v10, s9
	s_mov_b64 s[10:11], exec
	v_bfe_u32 v10, v10, 20, 8
	s_or_saveexec_b64 s[12:13], s[12:13]
                                        ; implicit-def: $sgpr9
	s_xor_b64 exec, exec, s[12:13]
	s_cbranch_execz .LBB51_104
.LBB51_142:
	s_mov_b32 s9, 0x46000000
	v_add_f32_e64 v10, |v9|, s9
	v_and_b32_e32 v10, 0xff, v10
	v_cmp_ne_u32_e32 vcc, 0, v10
	s_andn2_b64 s[10:11], s[10:11], exec
	s_and_b64 s[14:15], vcc, exec
	s_mov_b32 s9, 0
	s_or_b64 s[10:11], s[10:11], s[14:15]
	s_or_b64 exec, exec, s[12:13]
	v_mov_b32_e32 v11, s9
	s_and_saveexec_b64 s[12:13], s[10:11]
	s_cbranch_execnz .LBB51_105
	s_branch .LBB51_106
	.section	.rodata,"a",@progbits
	.p2align	6, 0x0
	.amdhsa_kernel _Z49per_token_group_quant_8bit_packed_register_kernelIN3c108BFloat16ENS0_15Float8_e4m3fnuzELi128ELi16ELi1EEvPKT_PvPjiiiiilfff
		.amdhsa_group_segment_fixed_size 0
		.amdhsa_private_segment_fixed_size 0
		.amdhsa_kernarg_size 68
		.amdhsa_user_sgpr_count 6
		.amdhsa_user_sgpr_private_segment_buffer 1
		.amdhsa_user_sgpr_dispatch_ptr 0
		.amdhsa_user_sgpr_queue_ptr 0
		.amdhsa_user_sgpr_kernarg_segment_ptr 1
		.amdhsa_user_sgpr_dispatch_id 0
		.amdhsa_user_sgpr_flat_scratch_init 0
		.amdhsa_user_sgpr_kernarg_preload_length 0
		.amdhsa_user_sgpr_kernarg_preload_offset 0
		.amdhsa_user_sgpr_private_segment_size 0
		.amdhsa_uses_dynamic_stack 0
		.amdhsa_system_sgpr_private_segment_wavefront_offset 0
		.amdhsa_system_sgpr_workgroup_id_x 1
		.amdhsa_system_sgpr_workgroup_id_y 1
		.amdhsa_system_sgpr_workgroup_id_z 0
		.amdhsa_system_sgpr_workgroup_info 0
		.amdhsa_system_vgpr_workitem_id 0
		.amdhsa_next_free_vgpr 36
		.amdhsa_next_free_sgpr 24
		.amdhsa_accum_offset 36
		.amdhsa_reserve_vcc 1
		.amdhsa_reserve_flat_scratch 0
		.amdhsa_float_round_mode_32 0
		.amdhsa_float_round_mode_16_64 0
		.amdhsa_float_denorm_mode_32 3
		.amdhsa_float_denorm_mode_16_64 3
		.amdhsa_dx10_clamp 1
		.amdhsa_ieee_mode 1
		.amdhsa_fp16_overflow 0
		.amdhsa_tg_split 0
		.amdhsa_exception_fp_ieee_invalid_op 0
		.amdhsa_exception_fp_denorm_src 0
		.amdhsa_exception_fp_ieee_div_zero 0
		.amdhsa_exception_fp_ieee_overflow 0
		.amdhsa_exception_fp_ieee_underflow 0
		.amdhsa_exception_fp_ieee_inexact 0
		.amdhsa_exception_int_div_zero 0
	.end_amdhsa_kernel
	.section	.text._Z49per_token_group_quant_8bit_packed_register_kernelIN3c108BFloat16ENS0_15Float8_e4m3fnuzELi128ELi16ELi1EEvPKT_PvPjiiiiilfff,"axG",@progbits,_Z49per_token_group_quant_8bit_packed_register_kernelIN3c108BFloat16ENS0_15Float8_e4m3fnuzELi128ELi16ELi1EEvPKT_PvPjiiiiilfff,comdat
.Lfunc_end51:
	.size	_Z49per_token_group_quant_8bit_packed_register_kernelIN3c108BFloat16ENS0_15Float8_e4m3fnuzELi128ELi16ELi1EEvPKT_PvPjiiiiilfff, .Lfunc_end51-_Z49per_token_group_quant_8bit_packed_register_kernelIN3c108BFloat16ENS0_15Float8_e4m3fnuzELi128ELi16ELi1EEvPKT_PvPjiiiiilfff
                                        ; -- End function
	.section	.AMDGPU.csdata,"",@progbits
; Kernel info:
; codeLenInByte = 4956
; NumSgprs: 28
; NumVgprs: 36
; NumAgprs: 0
; TotalNumVgprs: 36
; ScratchSize: 0
; MemoryBound: 0
; FloatMode: 240
; IeeeMode: 1
; LDSByteSize: 0 bytes/workgroup (compile time only)
; SGPRBlocks: 3
; VGPRBlocks: 4
; NumSGPRsForWavesPerEU: 28
; NumVGPRsForWavesPerEU: 36
; AccumOffset: 36
; Occupancy: 8
; WaveLimiterHint : 0
; COMPUTE_PGM_RSRC2:SCRATCH_EN: 0
; COMPUTE_PGM_RSRC2:USER_SGPR: 6
; COMPUTE_PGM_RSRC2:TRAP_HANDLER: 0
; COMPUTE_PGM_RSRC2:TGID_X_EN: 1
; COMPUTE_PGM_RSRC2:TGID_Y_EN: 1
; COMPUTE_PGM_RSRC2:TGID_Z_EN: 0
; COMPUTE_PGM_RSRC2:TIDIG_COMP_CNT: 0
; COMPUTE_PGM_RSRC3_GFX90A:ACCUM_OFFSET: 8
; COMPUTE_PGM_RSRC3_GFX90A:TG_SPLIT: 0
	.section	.text._Z49per_token_group_quant_8bit_packed_register_kernelIN3c108BFloat16ENS0_15Float8_e4m3fnuzELi128ELi8ELi2EEvPKT_PvPjiiiiilfff,"axG",@progbits,_Z49per_token_group_quant_8bit_packed_register_kernelIN3c108BFloat16ENS0_15Float8_e4m3fnuzELi128ELi8ELi2EEvPKT_PvPjiiiiilfff,comdat
	.protected	_Z49per_token_group_quant_8bit_packed_register_kernelIN3c108BFloat16ENS0_15Float8_e4m3fnuzELi128ELi8ELi2EEvPKT_PvPjiiiiilfff ; -- Begin function _Z49per_token_group_quant_8bit_packed_register_kernelIN3c108BFloat16ENS0_15Float8_e4m3fnuzELi128ELi8ELi2EEvPKT_PvPjiiiiilfff
	.globl	_Z49per_token_group_quant_8bit_packed_register_kernelIN3c108BFloat16ENS0_15Float8_e4m3fnuzELi128ELi8ELi2EEvPKT_PvPjiiiiilfff
	.p2align	8
	.type	_Z49per_token_group_quant_8bit_packed_register_kernelIN3c108BFloat16ENS0_15Float8_e4m3fnuzELi128ELi8ELi2EEvPKT_PvPjiiiiilfff,@function
_Z49per_token_group_quant_8bit_packed_register_kernelIN3c108BFloat16ENS0_15Float8_e4m3fnuzELi128ELi8ELi2EEvPKT_PvPjiiiiilfff: ; @_Z49per_token_group_quant_8bit_packed_register_kernelIN3c108BFloat16ENS0_15Float8_e4m3fnuzELi128ELi8ELi2EEvPKT_PvPjiiiiilfff
; %bb.0:
	s_load_dwordx4 s[8:11], s[4:5], 0x1c
	v_lshrrev_b32_e32 v1, 6, v0
	v_lshl_add_u32 v12, s7, 1, v1
	s_waitcnt lgkmcnt(0)
	v_cmp_gt_i32_e32 vcc, s11, v12
	s_and_saveexec_b64 s[0:1], vcc
	s_cbranch_execz .LBB52_110
; %bb.1:
	s_load_dwordx4 s[12:15], s[4:5], 0x38
	v_lshrrev_b32_e32 v1, 3, v0
	s_lshl_b32 s0, s6, 3
	v_and_or_b32 v10, v1, 7, s0
	v_cmp_gt_i32_e64 s[2:3], s9, v12
	v_cmp_gt_i32_e64 s[0:1], s8, v10
	v_and_b32_e32 v13, 7, v0
	s_and_b64 s[6:7], s[2:3], s[0:1]
	s_waitcnt lgkmcnt(0)
	v_mov_b32_e32 v8, s12
	v_ashrrev_i32_e32 v16, 31, v12
	v_lshlrev_b32_e32 v14, 7, v10
                                        ; implicit-def: $vgpr15
                                        ; implicit-def: $vgpr3
                                        ; implicit-def: $vgpr17
                                        ; implicit-def: $vgpr18
                                        ; implicit-def: $vgpr20
                                        ; implicit-def: $vgpr22
                                        ; implicit-def: $vgpr7
                                        ; implicit-def: $vgpr23
                                        ; implicit-def: $vgpr21
                                        ; implicit-def: $vgpr19
	s_and_saveexec_b64 s[16:17], s[6:7]
	s_cbranch_execz .LBB52_3
; %bb.2:
	s_load_dwordx2 s[18:19], s[4:5], 0x0
	v_alignbit_b32 v0, v16, v12, 24
	s_ashr_i32 s9, s8, 31
	v_lshlrev_b32_e32 v2, 8, v12
	v_mul_lo_u32 v4, v0, s8
	s_waitcnt lgkmcnt(0)
	v_pk_mov_b32 v[0:1], s[18:19], s[18:19] op_sel:[0,1]
	v_mul_lo_u32 v3, v2, s9
	v_mad_u64_u32 v[0:1], s[18:19], v2, s8, v[0:1]
	v_ashrrev_i32_e32 v15, 31, v14
	v_add3_u32 v1, v4, v1, v3
	v_lshlrev_b64 v[2:3], 1, v[14:15]
	v_add_co_u32_e32 v0, vcc, v0, v2
	v_addc_co_u32_e32 v1, vcc, v1, v3, vcc
	v_lshlrev_b32_e32 v2, 5, v13
	v_add_co_u32_e32 v8, vcc, v0, v2
	v_addc_co_u32_e32 v9, vcc, 0, v1, vcc
	global_load_dwordx4 v[4:7], v[8:9], off
	global_load_dwordx4 v[0:3], v[8:9], off offset:16
	s_waitcnt vmcnt(1)
	v_lshlrev_b32_e32 v8, 16, v4
	v_and_b32_e32 v9, 0xffff0000, v4
	v_lshlrev_b32_e32 v11, 16, v5
	v_and_b32_e32 v24, 0xffff0000, v5
	v_max3_f32 v8, s12, |v8|, |v9|
	v_lshlrev_b32_e32 v25, 16, v6
	v_and_b32_e32 v26, 0xffff0000, v6
	v_max3_f32 v8, v8, |v11|, |v24|
	;; [unrolled: 3-line block ×3, first 2 shown]
	s_waitcnt vmcnt(0)
	v_lshlrev_b32_e32 v29, 16, v0
	v_and_b32_e32 v30, 0xffff0000, v0
	v_max3_f32 v8, v8, |v27|, |v28|
	v_lshlrev_b32_e32 v31, 16, v1
	v_and_b32_e32 v32, 0xffff0000, v1
	v_max3_f32 v8, v8, |v29|, |v30|
	;; [unrolled: 3-line block ×3, first 2 shown]
	v_lshlrev_b32_e32 v35, 16, v3
	v_max3_f32 v8, v8, |v33|, |v34|
	v_and_b32_e32 v9, 0xffff0000, v3
	v_lshrrev_b32_e32 v19, 16, v4
	v_lshrrev_b32_e32 v21, 16, v5
	;; [unrolled: 1-line block ×8, first 2 shown]
	v_max3_f32 v8, v8, |v35|, |v9|
.LBB52_3:
	s_or_b64 exec, exec, s[16:17]
	v_mbcnt_lo_u32_b32 v9, -1, 0
	v_mbcnt_hi_u32_b32 v9, -1, v9
	v_and_b32_e32 v24, 0x78, v9
	v_xor_b32_e32 v11, 4, v9
	v_add_u32_e32 v24, 8, v24
	v_cmp_lt_i32_e32 vcc, v11, v24
	v_cndmask_b32_e32 v11, v9, v11, vcc
	v_lshlrev_b32_e32 v11, 2, v11
	ds_bpermute_b32 v11, v11, v8
	v_xor_b32_e32 v25, 2, v9
	v_max_f32_e32 v8, v8, v8
	v_cmp_lt_i32_e32 vcc, v25, v24
	s_waitcnt lgkmcnt(0)
	v_max_f32_e32 v11, v11, v11
	v_max_f32_e32 v8, v8, v11
	v_cndmask_b32_e32 v11, v9, v25, vcc
	v_lshlrev_b32_e32 v11, 2, v11
	ds_bpermute_b32 v11, v11, v8
	v_xor_b32_e32 v25, 1, v9
	v_cmp_lt_i32_e32 vcc, v25, v24
	v_cndmask_b32_e32 v9, v9, v25, vcc
	v_lshlrev_b32_e32 v9, 2, v9
	s_waitcnt lgkmcnt(0)
	v_max_f32_e32 v11, v11, v11
	v_max_f32_e32 v8, v8, v11
	ds_bpermute_b32 v9, v9, v8
	s_waitcnt lgkmcnt(0)
	v_max_f32_e32 v9, v9, v9
	v_max_f32_e32 v8, v8, v9
	v_div_scale_f32 v9, s[16:17], s14, s14, v8
	v_rcp_f32_e32 v11, v9
	v_div_scale_f32 v24, vcc, v8, s14, v8
	s_xor_b64 s[16:17], s[6:7], -1
	v_fma_f32 v25, -v9, v11, 1.0
	v_fmac_f32_e32 v11, v25, v11
	v_mul_f32_e32 v25, v24, v11
	v_fma_f32 v26, -v9, v25, v24
	v_fmac_f32_e32 v25, v26, v11
	v_fma_f32 v9, -v9, v25, v24
	v_div_fmas_f32 v9, v9, v11, v25
	v_div_fixup_f32 v8, v9, s14, v8
	v_max_f32_e32 v8, 0x2edbe6ff, v8
	v_lshrrev_b32_e32 v9, 23, v8
	v_and_b32_e32 v8, 0x7fffff, v8
	v_cmp_ne_u32_e32 vcc, 0, v8
	v_addc_co_u32_e32 v24, vcc, 0, v9, vcc
	v_cmp_eq_u32_e32 vcc, 0, v13
	s_and_saveexec_b64 s[18:19], vcc
	s_cbranch_execz .LBB52_8
; %bb.4:
	v_ashrrev_i32_e32 v8, 31, v10
	v_lshrrev_b32_e32 v8, 30, v8
	v_add_u32_e32 v8, v10, v8
	v_ashrrev_i32_e32 v11, 2, v8
	v_mad_u64_u32 v[8:9], s[20:21], v11, s11, v[12:13]
	v_mov_b32_e32 v25, v24
	s_and_saveexec_b64 s[20:21], s[16:17]
	s_cbranch_execz .LBB52_6
; %bb.5:
	s_load_dwordx2 s[22:23], s[4:5], 0x30
	v_ashrrev_i32_e32 v9, 31, v8
	s_andn2_b64 s[6:7], s[6:7], exec
	v_mov_b32_e32 v25, 0
	s_waitcnt lgkmcnt(0)
	v_cmp_gt_i64_e32 vcc, s[22:23], v[8:9]
	s_and_b64 s[22:23], vcc, exec
	s_or_b64 s[6:7], s[6:7], s[22:23]
.LBB52_6:
	s_or_b64 exec, exec, s[20:21]
	s_and_b64 exec, exec, s[6:7]
	s_cbranch_execz .LBB52_8
; %bb.7:
	s_load_dwordx2 s[6:7], s[4:5], 0x10
	v_lshlrev_b32_e32 v9, 2, v11
	v_sub_u32_e32 v9, v10, v9
	v_lshl_add_u32 v8, v8, 2, v9
	v_ashrrev_i32_e32 v9, 31, v8
	s_waitcnt lgkmcnt(0)
	v_mov_b32_e32 v10, s7
	v_add_co_u32_e32 v8, vcc, s6, v8
	v_addc_co_u32_e32 v9, vcc, v10, v9, vcc
	global_store_byte v[8:9], v25, off
.LBB52_8:
	s_or_b64 exec, exec, s[18:19]
	s_mov_b64 s[6:7], 0
                                        ; implicit-def: $sgpr9
	s_and_saveexec_b64 s[18:19], s[16:17]
	s_xor_b64 s[16:17], exec, s[18:19]
; %bb.9:
	s_xor_b64 s[2:3], s[2:3], -1
	v_cmp_gt_i32_e32 vcc, s10, v12
	s_and_b64 s[2:3], vcc, s[2:3]
	s_and_b64 s[0:1], s[0:1], s[2:3]
	s_mov_b32 s9, 0
	s_and_b64 s[6:7], s[0:1], exec
                                        ; implicit-def: $vgpr15
                                        ; implicit-def: $vgpr3
                                        ; implicit-def: $vgpr17
                                        ; implicit-def: $vgpr18
                                        ; implicit-def: $vgpr20
                                        ; implicit-def: $vgpr22
                                        ; implicit-def: $vgpr7
                                        ; implicit-def: $vgpr23
                                        ; implicit-def: $vgpr21
                                        ; implicit-def: $vgpr19
                                        ; implicit-def: $vgpr24
; %bb.10:
	s_or_saveexec_b64 s[0:1], s[16:17]
	v_mov_b32_e32 v11, s9
	v_mov_b32_e32 v10, s9
	;; [unrolled: 1-line block ×4, first 2 shown]
	s_xor_b64 exec, exec, s[0:1]
	s_cbranch_execz .LBB52_108
; %bb.11:
	v_lshlrev_b32_e32 v8, 23, v24
	v_and_b32_e32 v8, 0x7f800000, v8
	v_div_scale_f32 v9, s[2:3], v8, v8, 1.0
	v_rcp_f32_e32 v10, v9
	v_div_scale_f32 v11, vcc, 1.0, v8, 1.0
	v_lshlrev_b32_e32 v4, 16, v4
	v_fma_f32 v24, -v9, v10, 1.0
	v_fmac_f32_e32 v10, v24, v10
	v_mul_f32_e32 v24, v11, v10
	v_fma_f32 v25, -v9, v24, v11
	v_fmac_f32_e32 v24, v25, v10
	v_fma_f32 v9, -v9, v24, v11
	v_div_fmas_f32 v9, v9, v10, v24
	v_div_fixup_f32 v9, v9, v8, 1.0
	v_mul_f32_e32 v4, v9, v4
	v_max_f32_e64 v10, s13, s13
	v_max_f32_e32 v4, v4, v10
	v_max_f32_e64 v11, s14, s14
	v_min_f32_e32 v24, v4, v11
	v_and_b32_e32 v25, 0x7fffffff, v24
	s_mov_b32 s9, 0x43800000
	v_cmp_gt_u32_e32 vcc, s9, v25
	v_mov_b32_e32 v4, 0x80
	v_mov_b32_e32 v8, 0x80
	s_and_saveexec_b64 s[2:3], vcc
	s_cbranch_execz .LBB52_17
; %bb.12:
	s_mov_b32 s10, 0x3bffffff
	v_cmp_lt_u32_e32 vcc, s10, v25
	s_mov_b64 s[10:11], 0
                                        ; implicit-def: $vgpr25
	s_and_saveexec_b64 s[12:13], vcc
	s_xor_b64 s[12:13], exec, s[12:13]
	s_cbranch_execnz .LBB52_111
; %bb.13:
	s_or_saveexec_b64 s[12:13], s[12:13]
                                        ; implicit-def: $sgpr14
	s_xor_b64 exec, exec, s[12:13]
	s_cbranch_execnz .LBB52_112
.LBB52_14:
	s_or_b64 exec, exec, s[12:13]
	v_mov_b32_e32 v8, s14
	s_and_saveexec_b64 s[12:13], s[10:11]
.LBB52_15:
	v_lshrrev_b32_e32 v8, 24, v24
	s_movk_i32 s10, 0x80
	v_and_or_b32 v8, v8, s10, v25
.LBB52_16:
	s_or_b64 exec, exec, s[12:13]
.LBB52_17:
	s_or_b64 exec, exec, s[2:3]
	v_lshlrev_b32_e32 v19, 16, v19
	v_mul_f32_e32 v19, v9, v19
	v_max_f32_e32 v19, v19, v10
	v_min_f32_e32 v19, v19, v11
	v_and_b32_e32 v24, 0x7fffffff, v19
	v_cmp_gt_u32_e32 vcc, s9, v24
	s_and_saveexec_b64 s[2:3], vcc
	s_cbranch_execz .LBB52_23
; %bb.18:
	s_mov_b32 s9, 0x3bffffff
	v_cmp_lt_u32_e32 vcc, s9, v24
	s_mov_b64 s[10:11], 0
                                        ; implicit-def: $vgpr24
	s_and_saveexec_b64 s[12:13], vcc
	s_xor_b64 s[12:13], exec, s[12:13]
	s_cbranch_execnz .LBB52_113
; %bb.19:
	s_or_saveexec_b64 s[12:13], s[12:13]
                                        ; implicit-def: $sgpr9
	s_xor_b64 exec, exec, s[12:13]
	s_cbranch_execnz .LBB52_114
.LBB52_20:
	s_or_b64 exec, exec, s[12:13]
	v_mov_b32_e32 v4, s9
	s_and_saveexec_b64 s[12:13], s[10:11]
.LBB52_21:
	v_lshrrev_b32_e32 v4, 24, v19
	s_movk_i32 s9, 0x80
	v_and_or_b32 v4, v4, s9, v24
.LBB52_22:
	s_or_b64 exec, exec, s[12:13]
.LBB52_23:
	s_or_b64 exec, exec, s[2:3]
	v_lshlrev_b32_e32 v5, 16, v5
	v_mul_f32_e32 v5, v9, v5
	v_max_f32_e32 v5, v5, v10
	v_min_f32_e32 v24, v5, v11
	v_and_b32_e32 v25, 0x7fffffff, v24
	s_mov_b32 s9, 0x43800000
	v_cmp_gt_u32_e32 vcc, s9, v25
	v_mov_b32_e32 v5, 0x80
	v_mov_b32_e32 v19, 0x80
	s_and_saveexec_b64 s[2:3], vcc
	s_cbranch_execz .LBB52_29
; %bb.24:
	s_mov_b32 s10, 0x3bffffff
	v_cmp_lt_u32_e32 vcc, s10, v25
	s_mov_b64 s[10:11], 0
                                        ; implicit-def: $vgpr25
	s_and_saveexec_b64 s[12:13], vcc
	s_xor_b64 s[12:13], exec, s[12:13]
	s_cbranch_execnz .LBB52_115
; %bb.25:
	s_or_saveexec_b64 s[12:13], s[12:13]
                                        ; implicit-def: $sgpr14
	s_xor_b64 exec, exec, s[12:13]
	s_cbranch_execnz .LBB52_116
.LBB52_26:
	s_or_b64 exec, exec, s[12:13]
	v_mov_b32_e32 v19, s14
	s_and_saveexec_b64 s[12:13], s[10:11]
.LBB52_27:
	v_lshrrev_b32_e32 v19, 24, v24
	s_movk_i32 s10, 0x80
	v_and_or_b32 v19, v19, s10, v25
.LBB52_28:
	s_or_b64 exec, exec, s[12:13]
.LBB52_29:
	s_or_b64 exec, exec, s[2:3]
	v_lshlrev_b32_e32 v21, 16, v21
	v_mul_f32_e32 v21, v9, v21
	v_max_f32_e32 v21, v21, v10
	v_min_f32_e32 v21, v21, v11
	v_and_b32_e32 v24, 0x7fffffff, v21
	v_cmp_gt_u32_e32 vcc, s9, v24
	s_and_saveexec_b64 s[2:3], vcc
	s_cbranch_execz .LBB52_35
; %bb.30:
	s_mov_b32 s9, 0x3bffffff
	v_cmp_lt_u32_e32 vcc, s9, v24
	s_mov_b64 s[10:11], 0
                                        ; implicit-def: $vgpr24
	s_and_saveexec_b64 s[12:13], vcc
	s_xor_b64 s[12:13], exec, s[12:13]
	s_cbranch_execnz .LBB52_117
; %bb.31:
	s_or_saveexec_b64 s[12:13], s[12:13]
                                        ; implicit-def: $sgpr9
	s_xor_b64 exec, exec, s[12:13]
	s_cbranch_execnz .LBB52_118
.LBB52_32:
	s_or_b64 exec, exec, s[12:13]
	v_mov_b32_e32 v5, s9
	s_and_saveexec_b64 s[12:13], s[10:11]
.LBB52_33:
	v_lshrrev_b32_e32 v5, 24, v21
	s_movk_i32 s9, 0x80
	v_and_or_b32 v5, v5, s9, v24
.LBB52_34:
	s_or_b64 exec, exec, s[12:13]
.LBB52_35:
	s_or_b64 exec, exec, s[2:3]
	v_lshlrev_b32_e32 v6, 16, v6
	v_mul_f32_e32 v6, v9, v6
	v_max_f32_e32 v6, v6, v10
	v_min_f32_e32 v24, v6, v11
	v_and_b32_e32 v25, 0x7fffffff, v24
	s_mov_b32 s9, 0x43800000
	v_cmp_gt_u32_e32 vcc, s9, v25
	v_mov_b32_e32 v21, 0x80
	v_mov_b32_e32 v6, 0x80
	s_and_saveexec_b64 s[2:3], vcc
	s_cbranch_execz .LBB52_41
; %bb.36:
	s_mov_b32 s10, 0x3bffffff
	v_cmp_lt_u32_e32 vcc, s10, v25
	s_mov_b64 s[10:11], 0
                                        ; implicit-def: $vgpr25
	s_and_saveexec_b64 s[12:13], vcc
	s_xor_b64 s[12:13], exec, s[12:13]
	s_cbranch_execnz .LBB52_119
; %bb.37:
	s_or_saveexec_b64 s[12:13], s[12:13]
                                        ; implicit-def: $sgpr14
	s_xor_b64 exec, exec, s[12:13]
	s_cbranch_execnz .LBB52_120
.LBB52_38:
	s_or_b64 exec, exec, s[12:13]
	v_mov_b32_e32 v6, s14
	s_and_saveexec_b64 s[12:13], s[10:11]
.LBB52_39:
	v_lshrrev_b32_e32 v6, 24, v24
	s_movk_i32 s10, 0x80
	v_and_or_b32 v6, v6, s10, v25
.LBB52_40:
	s_or_b64 exec, exec, s[12:13]
.LBB52_41:
	s_or_b64 exec, exec, s[2:3]
	v_lshlrev_b32_e32 v23, 16, v23
	v_mul_f32_e32 v23, v9, v23
	v_max_f32_e32 v23, v23, v10
	v_min_f32_e32 v23, v23, v11
	v_and_b32_e32 v24, 0x7fffffff, v23
	v_cmp_gt_u32_e32 vcc, s9, v24
	s_and_saveexec_b64 s[2:3], vcc
	s_cbranch_execz .LBB52_47
; %bb.42:
	s_mov_b32 s9, 0x3bffffff
	v_cmp_lt_u32_e32 vcc, s9, v24
	s_mov_b64 s[10:11], 0
                                        ; implicit-def: $vgpr24
	s_and_saveexec_b64 s[12:13], vcc
	s_xor_b64 s[12:13], exec, s[12:13]
	s_cbranch_execnz .LBB52_121
; %bb.43:
	s_or_saveexec_b64 s[12:13], s[12:13]
                                        ; implicit-def: $sgpr9
	s_xor_b64 exec, exec, s[12:13]
	s_cbranch_execnz .LBB52_122
.LBB52_44:
	s_or_b64 exec, exec, s[12:13]
	v_mov_b32_e32 v21, s9
	s_and_saveexec_b64 s[12:13], s[10:11]
.LBB52_45:
	v_lshrrev_b32_e32 v21, 24, v23
	s_movk_i32 s9, 0x80
	v_and_or_b32 v21, v21, s9, v24
.LBB52_46:
	s_or_b64 exec, exec, s[12:13]
.LBB52_47:
	s_or_b64 exec, exec, s[2:3]
	v_lshlrev_b32_e32 v7, 16, v7
	v_mul_f32_e32 v7, v9, v7
	v_max_f32_e32 v7, v7, v10
	v_min_f32_e32 v24, v7, v11
	v_and_b32_e32 v25, 0x7fffffff, v24
	s_mov_b32 s9, 0x43800000
	v_cmp_gt_u32_e32 vcc, s9, v25
	v_mov_b32_e32 v7, 0x80
	v_mov_b32_e32 v23, 0x80
	s_and_saveexec_b64 s[2:3], vcc
	s_cbranch_execz .LBB52_53
; %bb.48:
	s_mov_b32 s10, 0x3bffffff
	v_cmp_lt_u32_e32 vcc, s10, v25
	s_mov_b64 s[10:11], 0
                                        ; implicit-def: $vgpr25
	s_and_saveexec_b64 s[12:13], vcc
	s_xor_b64 s[12:13], exec, s[12:13]
	s_cbranch_execnz .LBB52_123
; %bb.49:
	s_or_saveexec_b64 s[12:13], s[12:13]
                                        ; implicit-def: $sgpr14
	s_xor_b64 exec, exec, s[12:13]
	s_cbranch_execnz .LBB52_124
.LBB52_50:
	s_or_b64 exec, exec, s[12:13]
	v_mov_b32_e32 v23, s14
	s_and_saveexec_b64 s[12:13], s[10:11]
.LBB52_51:
	v_lshrrev_b32_e32 v23, 24, v24
	s_movk_i32 s10, 0x80
	v_and_or_b32 v23, v23, s10, v25
.LBB52_52:
	s_or_b64 exec, exec, s[12:13]
.LBB52_53:
	s_or_b64 exec, exec, s[2:3]
	v_lshlrev_b32_e32 v22, 16, v22
	v_mul_f32_e32 v22, v9, v22
	v_max_f32_e32 v22, v22, v10
	v_min_f32_e32 v22, v22, v11
	v_and_b32_e32 v24, 0x7fffffff, v22
	v_cmp_gt_u32_e32 vcc, s9, v24
	s_and_saveexec_b64 s[2:3], vcc
	s_cbranch_execz .LBB52_59
; %bb.54:
	s_mov_b32 s9, 0x3bffffff
	v_cmp_lt_u32_e32 vcc, s9, v24
	s_mov_b64 s[10:11], 0
                                        ; implicit-def: $vgpr24
	s_and_saveexec_b64 s[12:13], vcc
	s_xor_b64 s[12:13], exec, s[12:13]
	s_cbranch_execnz .LBB52_125
; %bb.55:
	s_or_saveexec_b64 s[12:13], s[12:13]
                                        ; implicit-def: $sgpr9
	s_xor_b64 exec, exec, s[12:13]
	s_cbranch_execnz .LBB52_126
.LBB52_56:
	s_or_b64 exec, exec, s[12:13]
	v_mov_b32_e32 v7, s9
	s_and_saveexec_b64 s[12:13], s[10:11]
.LBB52_57:
	v_lshrrev_b32_e32 v7, 24, v22
	s_movk_i32 s9, 0x80
	v_and_or_b32 v7, v7, s9, v24
.LBB52_58:
	s_or_b64 exec, exec, s[12:13]
.LBB52_59:
	s_or_b64 exec, exec, s[2:3]
	v_lshlrev_b32_e32 v0, 16, v0
	v_mul_f32_e32 v0, v9, v0
	v_max_f32_e32 v0, v0, v10
	v_min_f32_e32 v24, v0, v11
	v_and_b32_e32 v25, 0x7fffffff, v24
	s_mov_b32 s9, 0x43800000
	v_cmp_gt_u32_e32 vcc, s9, v25
	v_mov_b32_e32 v22, 0x80
	v_mov_b32_e32 v0, 0x80
	s_and_saveexec_b64 s[2:3], vcc
	s_cbranch_execz .LBB52_65
; %bb.60:
	s_mov_b32 s10, 0x3bffffff
	v_cmp_lt_u32_e32 vcc, s10, v25
	s_mov_b64 s[10:11], 0
                                        ; implicit-def: $vgpr25
	s_and_saveexec_b64 s[12:13], vcc
	s_xor_b64 s[12:13], exec, s[12:13]
	s_cbranch_execnz .LBB52_127
; %bb.61:
	s_or_saveexec_b64 s[12:13], s[12:13]
                                        ; implicit-def: $sgpr14
	s_xor_b64 exec, exec, s[12:13]
	s_cbranch_execnz .LBB52_128
.LBB52_62:
	s_or_b64 exec, exec, s[12:13]
	v_mov_b32_e32 v0, s14
	s_and_saveexec_b64 s[12:13], s[10:11]
.LBB52_63:
	v_lshrrev_b32_e32 v0, 24, v24
	s_movk_i32 s10, 0x80
	v_and_or_b32 v0, v0, s10, v25
.LBB52_64:
	s_or_b64 exec, exec, s[12:13]
.LBB52_65:
	s_or_b64 exec, exec, s[2:3]
	v_lshlrev_b32_e32 v20, 16, v20
	v_mul_f32_e32 v20, v9, v20
	v_max_f32_e32 v20, v20, v10
	v_min_f32_e32 v20, v20, v11
	v_and_b32_e32 v24, 0x7fffffff, v20
	v_cmp_gt_u32_e32 vcc, s9, v24
	s_and_saveexec_b64 s[2:3], vcc
	s_cbranch_execz .LBB52_71
; %bb.66:
	s_mov_b32 s9, 0x3bffffff
	v_cmp_lt_u32_e32 vcc, s9, v24
	s_mov_b64 s[10:11], 0
                                        ; implicit-def: $vgpr24
	s_and_saveexec_b64 s[12:13], vcc
	s_xor_b64 s[12:13], exec, s[12:13]
	s_cbranch_execnz .LBB52_129
; %bb.67:
	s_or_saveexec_b64 s[12:13], s[12:13]
                                        ; implicit-def: $sgpr9
	s_xor_b64 exec, exec, s[12:13]
	s_cbranch_execnz .LBB52_130
.LBB52_68:
	s_or_b64 exec, exec, s[12:13]
	v_mov_b32_e32 v22, s9
	s_and_saveexec_b64 s[12:13], s[10:11]
.LBB52_69:
	v_lshrrev_b32_e32 v20, 24, v20
	s_movk_i32 s9, 0x80
	v_and_or_b32 v22, v20, s9, v24
.LBB52_70:
	s_or_b64 exec, exec, s[12:13]
.LBB52_71:
	s_or_b64 exec, exec, s[2:3]
	v_lshlrev_b32_e32 v1, 16, v1
	v_mul_f32_e32 v1, v9, v1
	v_max_f32_e32 v1, v1, v10
	v_min_f32_e32 v20, v1, v11
	v_and_b32_e32 v24, 0x7fffffff, v20
	s_mov_b32 s9, 0x43800000
	v_cmp_gt_u32_e32 vcc, s9, v24
	v_mov_b32_e32 v1, 0x800000
	s_and_saveexec_b64 s[2:3], vcc
	s_cbranch_execz .LBB52_77
; %bb.72:
	s_mov_b32 s10, 0x3bffffff
	v_cmp_lt_u32_e32 vcc, s10, v24
	s_mov_b64 s[10:11], 0
                                        ; implicit-def: $vgpr24
	s_and_saveexec_b64 s[12:13], vcc
	s_xor_b64 s[12:13], exec, s[12:13]
	s_cbranch_execnz .LBB52_131
; %bb.73:
	s_or_saveexec_b64 s[12:13], s[12:13]
                                        ; implicit-def: $sgpr14
	s_xor_b64 exec, exec, s[12:13]
	s_cbranch_execnz .LBB52_132
.LBB52_74:
	s_or_b64 exec, exec, s[12:13]
	v_mov_b32_e32 v1, s14
	s_and_saveexec_b64 s[12:13], s[10:11]
.LBB52_75:
	v_lshrrev_b32_e32 v1, 24, v20
	s_movk_i32 s10, 0x80
	v_and_or_b32 v1, v1, s10, v24
	v_lshlrev_b32_e32 v1, 16, v1
	v_and_b32_e32 v1, 0xff0000, v1
.LBB52_76:
	s_or_b64 exec, exec, s[12:13]
.LBB52_77:
	s_or_b64 exec, exec, s[2:3]
	v_lshlrev_b32_e32 v18, 16, v18
	v_mul_f32_e32 v18, v9, v18
	v_max_f32_e32 v18, v18, v10
	v_min_f32_e32 v20, v18, v11
	v_and_b32_e32 v24, 0x7fffffff, v20
	v_cmp_gt_u32_e32 vcc, s9, v24
	v_bfrev_b32_e32 v18, 1
	s_and_saveexec_b64 s[2:3], vcc
	s_cbranch_execz .LBB52_83
; %bb.78:
	s_mov_b32 s9, 0x3bffffff
	v_cmp_lt_u32_e32 vcc, s9, v24
	s_mov_b64 s[10:11], 0
                                        ; implicit-def: $vgpr24
	s_and_saveexec_b64 s[12:13], vcc
	s_xor_b64 s[12:13], exec, s[12:13]
	s_cbranch_execnz .LBB52_133
; %bb.79:
	s_or_saveexec_b64 s[12:13], s[12:13]
                                        ; implicit-def: $sgpr9
	s_xor_b64 exec, exec, s[12:13]
	s_cbranch_execnz .LBB52_134
.LBB52_80:
	s_or_b64 exec, exec, s[12:13]
	v_mov_b32_e32 v18, s9
	s_and_saveexec_b64 s[12:13], s[10:11]
.LBB52_81:
	v_lshlrev_b32_e32 v18, 24, v24
	s_brev_b32 s9, 1
	v_and_or_b32 v18, v20, s9, v18
.LBB52_82:
	s_or_b64 exec, exec, s[12:13]
.LBB52_83:
	s_or_b64 exec, exec, s[2:3]
	v_lshlrev_b32_e32 v2, 16, v2
	v_mul_f32_e32 v2, v9, v2
	v_max_f32_e32 v2, v2, v10
	v_min_f32_e32 v20, v2, v11
	v_and_b32_e32 v24, 0x7fffffff, v20
	s_mov_b32 s9, 0x43800000
	v_cmp_gt_u32_e32 vcc, s9, v24
	v_mov_b32_e32 v2, 0x80
	s_and_saveexec_b64 s[2:3], vcc
	s_cbranch_execz .LBB52_89
; %bb.84:
	s_mov_b32 s10, 0x3bffffff
	v_cmp_lt_u32_e32 vcc, s10, v24
	s_mov_b64 s[10:11], 0
                                        ; implicit-def: $vgpr24
	s_and_saveexec_b64 s[12:13], vcc
	s_xor_b64 s[12:13], exec, s[12:13]
	s_cbranch_execnz .LBB52_135
; %bb.85:
	s_or_saveexec_b64 s[12:13], s[12:13]
                                        ; implicit-def: $sgpr14
	s_xor_b64 exec, exec, s[12:13]
	s_cbranch_execnz .LBB52_136
.LBB52_86:
	s_or_b64 exec, exec, s[12:13]
	v_mov_b32_e32 v2, s14
	s_and_saveexec_b64 s[12:13], s[10:11]
.LBB52_87:
	v_lshrrev_b32_e32 v2, 24, v20
	s_movk_i32 s10, 0x80
	v_and_or_b32 v2, v2, s10, v24
.LBB52_88:
	s_or_b64 exec, exec, s[12:13]
.LBB52_89:
	s_or_b64 exec, exec, s[2:3]
	v_lshlrev_b32_e32 v17, 16, v17
	v_mul_f32_e32 v17, v9, v17
	v_max_f32_e32 v17, v17, v10
	v_min_f32_e32 v20, v17, v11
	v_and_b32_e32 v24, 0x7fffffff, v20
	v_cmp_gt_u32_e32 vcc, s9, v24
	v_mov_b32_e32 v17, 0x8000
	s_and_saveexec_b64 s[2:3], vcc
	s_cbranch_execz .LBB52_95
; %bb.90:
	s_mov_b32 s9, 0x3bffffff
	v_cmp_lt_u32_e32 vcc, s9, v24
	s_mov_b64 s[10:11], 0
                                        ; implicit-def: $vgpr24
	s_and_saveexec_b64 s[12:13], vcc
	s_xor_b64 s[12:13], exec, s[12:13]
	s_cbranch_execnz .LBB52_137
; %bb.91:
	s_or_saveexec_b64 s[12:13], s[12:13]
                                        ; implicit-def: $sgpr9
	s_xor_b64 exec, exec, s[12:13]
	s_cbranch_execnz .LBB52_138
.LBB52_92:
	s_or_b64 exec, exec, s[12:13]
	v_mov_b32_e32 v17, s9
	s_and_saveexec_b64 s[12:13], s[10:11]
.LBB52_93:
	v_lshrrev_b32_e32 v17, 24, v20
	s_movk_i32 s9, 0x80
	v_and_or_b32 v17, v17, s9, v24
	v_lshlrev_b32_e32 v17, 8, v17
.LBB52_94:
	s_or_b64 exec, exec, s[12:13]
.LBB52_95:
	s_or_b64 exec, exec, s[2:3]
	v_lshlrev_b32_e32 v3, 16, v3
	v_mul_f32_e32 v3, v9, v3
	v_max_f32_e32 v3, v3, v10
	v_min_f32_e32 v20, v3, v11
	v_and_b32_e32 v24, 0x7fffffff, v20
	s_mov_b32 s9, 0x43800000
	v_cmp_gt_u32_e32 vcc, s9, v24
	v_mov_b32_e32 v3, 0x800000
	s_and_saveexec_b64 s[2:3], vcc
	s_cbranch_execz .LBB52_101
; %bb.96:
	s_mov_b32 s10, 0x3bffffff
	v_cmp_lt_u32_e32 vcc, s10, v24
	s_mov_b64 s[10:11], 0
                                        ; implicit-def: $vgpr24
	s_and_saveexec_b64 s[12:13], vcc
	s_xor_b64 s[12:13], exec, s[12:13]
	s_cbranch_execnz .LBB52_139
; %bb.97:
	s_or_saveexec_b64 s[12:13], s[12:13]
                                        ; implicit-def: $sgpr14
	s_xor_b64 exec, exec, s[12:13]
	s_cbranch_execnz .LBB52_140
.LBB52_98:
	s_or_b64 exec, exec, s[12:13]
	v_mov_b32_e32 v3, s14
	s_and_saveexec_b64 s[12:13], s[10:11]
.LBB52_99:
	v_lshrrev_b32_e32 v3, 24, v20
	s_movk_i32 s10, 0x80
	v_and_or_b32 v3, v3, s10, v24
	v_lshlrev_b32_e32 v3, 16, v3
.LBB52_100:
	s_or_b64 exec, exec, s[12:13]
.LBB52_101:
	s_or_b64 exec, exec, s[2:3]
	v_lshlrev_b32_e32 v15, 16, v15
	v_mul_f32_e32 v9, v9, v15
	v_max_f32_e32 v9, v9, v10
	v_min_f32_e32 v9, v9, v11
	v_and_b32_e32 v10, 0x7fffffff, v9
	v_cmp_gt_u32_e32 vcc, s9, v10
	v_bfrev_b32_e32 v11, 1
	s_and_saveexec_b64 s[2:3], vcc
	s_cbranch_execz .LBB52_107
; %bb.102:
	s_mov_b32 s9, 0x3bffffff
	v_cmp_lt_u32_e32 vcc, s9, v10
	s_mov_b64 s[10:11], 0
                                        ; implicit-def: $vgpr10
	s_and_saveexec_b64 s[12:13], vcc
	s_xor_b64 s[12:13], exec, s[12:13]
	s_cbranch_execnz .LBB52_141
; %bb.103:
	s_or_saveexec_b64 s[12:13], s[12:13]
                                        ; implicit-def: $sgpr9
	s_xor_b64 exec, exec, s[12:13]
	s_cbranch_execnz .LBB52_142
.LBB52_104:
	s_or_b64 exec, exec, s[12:13]
	v_mov_b32_e32 v11, s9
	s_and_saveexec_b64 s[12:13], s[10:11]
.LBB52_105:
	v_lshlrev_b32_e32 v10, 24, v10
	s_brev_b32 s9, 1
	v_and_or_b32 v11, v9, s9, v10
.LBB52_106:
	s_or_b64 exec, exec, s[12:13]
.LBB52_107:
	s_or_b64 exec, exec, s[2:3]
	v_lshlrev_b32_e32 v9, 8, v22
	s_mov_b32 s2, 0xc0c0500
	v_perm_b32 v0, v9, v0, s2
	v_or3_b32 v10, v1, v0, v18
	v_lshlrev_b32_e32 v0, 8, v21
	v_perm_b32 v0, v0, v6, s2
	v_lshlrev_b32_e32 v1, 16, v23
	s_mov_b32 s3, 0xff0000
	v_and_or_b32 v0, v1, s3, v0
	v_lshl_or_b32 v9, v7, 24, v0
	v_lshlrev_b32_e32 v0, 8, v4
	v_perm_b32 v0, v0, v8, s2
	v_lshlrev_b32_e32 v1, 16, v19
	v_or_b32_e32 v2, v17, v2
	v_and_or_b32 v0, v1, s3, v0
	v_lshl_or_b32 v8, v5, 24, v0
	v_or3_b32 v11, v3, v2, v11
	s_or_b64 s[6:7], s[6:7], exec
.LBB52_108:
	s_or_b64 exec, exec, s[0:1]
	s_and_b64 exec, exec, s[6:7]
	s_cbranch_execz .LBB52_110
; %bb.109:
	s_load_dwordx2 s[0:1], s[4:5], 0x8
	v_alignbit_b32 v0, v16, v12, 25
	s_ashr_i32 s2, s8, 31
	v_lshlrev_b32_e32 v2, 7, v12
	v_mul_lo_u32 v4, v0, s8
	s_waitcnt lgkmcnt(0)
	v_pk_mov_b32 v[0:1], s[0:1], s[0:1] op_sel:[0,1]
	v_mul_lo_u32 v3, v2, s2
	v_mad_u64_u32 v[0:1], s[0:1], v2, s8, v[0:1]
	v_add3_u32 v1, v4, v1, v3
	v_ashrrev_i32_e32 v2, 31, v14
	v_add_co_u32_e32 v0, vcc, v0, v14
	v_addc_co_u32_e32 v1, vcc, v1, v2, vcc
	v_lshlrev_b32_e32 v2, 4, v13
	v_add_co_u32_e32 v0, vcc, v0, v2
	v_addc_co_u32_e32 v1, vcc, 0, v1, vcc
	global_store_dwordx4 v[0:1], v[8:11], off
.LBB52_110:
	s_endpgm
.LBB52_111:
	v_bfe_u32 v8, v24, 20, 1
	s_mov_b32 s14, 0x487ffff
	v_add3_u32 v8, v24, v8, s14
	s_mov_b64 s[10:11], exec
	v_lshrrev_b32_e32 v25, 20, v8
	s_or_saveexec_b64 s[12:13], s[12:13]
                                        ; implicit-def: $sgpr14
	s_xor_b64 exec, exec, s[12:13]
	s_cbranch_execz .LBB52_14
.LBB52_112:
	s_mov_b32 s14, 0x46000000
	v_add_f32_e64 v8, |v24|, s14
	v_and_b32_e32 v25, 0xff, v8
	v_cmp_ne_u32_e32 vcc, 0, v25
	s_andn2_b64 s[10:11], s[10:11], exec
	s_and_b64 s[16:17], vcc, exec
	s_mov_b32 s14, 0
	s_or_b64 s[10:11], s[10:11], s[16:17]
	s_or_b64 exec, exec, s[12:13]
	v_mov_b32_e32 v8, s14
	s_and_saveexec_b64 s[12:13], s[10:11]
	s_cbranch_execnz .LBB52_15
	s_branch .LBB52_16
.LBB52_113:
	v_bfe_u32 v4, v19, 20, 1
	s_mov_b32 s9, 0x487ffff
	v_add3_u32 v4, v19, v4, s9
	s_mov_b64 s[10:11], exec
	v_lshrrev_b32_e32 v24, 20, v4
	s_or_saveexec_b64 s[12:13], s[12:13]
                                        ; implicit-def: $sgpr9
	s_xor_b64 exec, exec, s[12:13]
	s_cbranch_execz .LBB52_20
.LBB52_114:
	s_mov_b32 s9, 0x46000000
	v_add_f32_e64 v4, |v19|, s9
	v_and_b32_e32 v24, 0xff, v4
	v_cmp_ne_u32_e32 vcc, 0, v24
	s_andn2_b64 s[10:11], s[10:11], exec
	s_and_b64 s[14:15], vcc, exec
	s_mov_b32 s9, 0
	s_or_b64 s[10:11], s[10:11], s[14:15]
	s_or_b64 exec, exec, s[12:13]
	v_mov_b32_e32 v4, s9
	s_and_saveexec_b64 s[12:13], s[10:11]
	s_cbranch_execnz .LBB52_21
	s_branch .LBB52_22
.LBB52_115:
	v_bfe_u32 v19, v24, 20, 1
	s_mov_b32 s14, 0x487ffff
	v_add3_u32 v19, v24, v19, s14
	s_mov_b64 s[10:11], exec
	v_lshrrev_b32_e32 v25, 20, v19
	s_or_saveexec_b64 s[12:13], s[12:13]
                                        ; implicit-def: $sgpr14
	s_xor_b64 exec, exec, s[12:13]
	s_cbranch_execz .LBB52_26
.LBB52_116:
	s_mov_b32 s14, 0x46000000
	v_add_f32_e64 v19, |v24|, s14
	v_and_b32_e32 v25, 0xff, v19
	v_cmp_ne_u32_e32 vcc, 0, v25
	s_andn2_b64 s[10:11], s[10:11], exec
	s_and_b64 s[16:17], vcc, exec
	s_mov_b32 s14, 0
	s_or_b64 s[10:11], s[10:11], s[16:17]
	s_or_b64 exec, exec, s[12:13]
	v_mov_b32_e32 v19, s14
	s_and_saveexec_b64 s[12:13], s[10:11]
	s_cbranch_execnz .LBB52_27
	s_branch .LBB52_28
.LBB52_117:
	v_bfe_u32 v5, v21, 20, 1
	s_mov_b32 s9, 0x487ffff
	v_add3_u32 v5, v21, v5, s9
	s_mov_b64 s[10:11], exec
	v_lshrrev_b32_e32 v24, 20, v5
	s_or_saveexec_b64 s[12:13], s[12:13]
                                        ; implicit-def: $sgpr9
	s_xor_b64 exec, exec, s[12:13]
	s_cbranch_execz .LBB52_32
.LBB52_118:
	s_mov_b32 s9, 0x46000000
	v_add_f32_e64 v5, |v21|, s9
	v_and_b32_e32 v24, 0xff, v5
	v_cmp_ne_u32_e32 vcc, 0, v24
	s_andn2_b64 s[10:11], s[10:11], exec
	s_and_b64 s[14:15], vcc, exec
	s_mov_b32 s9, 0
	s_or_b64 s[10:11], s[10:11], s[14:15]
	s_or_b64 exec, exec, s[12:13]
	v_mov_b32_e32 v5, s9
	s_and_saveexec_b64 s[12:13], s[10:11]
	s_cbranch_execnz .LBB52_33
	s_branch .LBB52_34
.LBB52_119:
	v_bfe_u32 v6, v24, 20, 1
	s_mov_b32 s14, 0x487ffff
	v_add3_u32 v6, v24, v6, s14
	s_mov_b64 s[10:11], exec
	v_lshrrev_b32_e32 v25, 20, v6
	s_or_saveexec_b64 s[12:13], s[12:13]
                                        ; implicit-def: $sgpr14
	s_xor_b64 exec, exec, s[12:13]
	s_cbranch_execz .LBB52_38
.LBB52_120:
	s_mov_b32 s14, 0x46000000
	v_add_f32_e64 v6, |v24|, s14
	v_and_b32_e32 v25, 0xff, v6
	v_cmp_ne_u32_e32 vcc, 0, v25
	s_andn2_b64 s[10:11], s[10:11], exec
	s_and_b64 s[16:17], vcc, exec
	s_mov_b32 s14, 0
	s_or_b64 s[10:11], s[10:11], s[16:17]
	s_or_b64 exec, exec, s[12:13]
	v_mov_b32_e32 v6, s14
	s_and_saveexec_b64 s[12:13], s[10:11]
	s_cbranch_execnz .LBB52_39
	s_branch .LBB52_40
.LBB52_121:
	v_bfe_u32 v21, v23, 20, 1
	s_mov_b32 s9, 0x487ffff
	v_add3_u32 v21, v23, v21, s9
	s_mov_b64 s[10:11], exec
	v_lshrrev_b32_e32 v24, 20, v21
	s_or_saveexec_b64 s[12:13], s[12:13]
                                        ; implicit-def: $sgpr9
	s_xor_b64 exec, exec, s[12:13]
	s_cbranch_execz .LBB52_44
.LBB52_122:
	s_mov_b32 s9, 0x46000000
	v_add_f32_e64 v21, |v23|, s9
	v_and_b32_e32 v24, 0xff, v21
	v_cmp_ne_u32_e32 vcc, 0, v24
	s_andn2_b64 s[10:11], s[10:11], exec
	s_and_b64 s[14:15], vcc, exec
	s_mov_b32 s9, 0
	s_or_b64 s[10:11], s[10:11], s[14:15]
	s_or_b64 exec, exec, s[12:13]
	v_mov_b32_e32 v21, s9
	s_and_saveexec_b64 s[12:13], s[10:11]
	s_cbranch_execnz .LBB52_45
	s_branch .LBB52_46
.LBB52_123:
	v_bfe_u32 v23, v24, 20, 1
	s_mov_b32 s14, 0x487ffff
	v_add3_u32 v23, v24, v23, s14
	s_mov_b64 s[10:11], exec
	v_lshrrev_b32_e32 v25, 20, v23
	s_or_saveexec_b64 s[12:13], s[12:13]
                                        ; implicit-def: $sgpr14
	s_xor_b64 exec, exec, s[12:13]
	s_cbranch_execz .LBB52_50
.LBB52_124:
	s_mov_b32 s14, 0x46000000
	v_add_f32_e64 v23, |v24|, s14
	v_and_b32_e32 v25, 0xff, v23
	v_cmp_ne_u32_e32 vcc, 0, v25
	s_andn2_b64 s[10:11], s[10:11], exec
	s_and_b64 s[16:17], vcc, exec
	s_mov_b32 s14, 0
	s_or_b64 s[10:11], s[10:11], s[16:17]
	s_or_b64 exec, exec, s[12:13]
	v_mov_b32_e32 v23, s14
	s_and_saveexec_b64 s[12:13], s[10:11]
	s_cbranch_execnz .LBB52_51
	s_branch .LBB52_52
.LBB52_125:
	v_bfe_u32 v7, v22, 20, 1
	s_mov_b32 s9, 0x487ffff
	v_add3_u32 v7, v22, v7, s9
	s_mov_b64 s[10:11], exec
	v_lshrrev_b32_e32 v24, 20, v7
	s_or_saveexec_b64 s[12:13], s[12:13]
                                        ; implicit-def: $sgpr9
	s_xor_b64 exec, exec, s[12:13]
	s_cbranch_execz .LBB52_56
.LBB52_126:
	s_mov_b32 s9, 0x46000000
	v_add_f32_e64 v7, |v22|, s9
	v_and_b32_e32 v24, 0xff, v7
	v_cmp_ne_u32_e32 vcc, 0, v24
	s_andn2_b64 s[10:11], s[10:11], exec
	s_and_b64 s[14:15], vcc, exec
	s_mov_b32 s9, 0
	s_or_b64 s[10:11], s[10:11], s[14:15]
	s_or_b64 exec, exec, s[12:13]
	v_mov_b32_e32 v7, s9
	s_and_saveexec_b64 s[12:13], s[10:11]
	s_cbranch_execnz .LBB52_57
	s_branch .LBB52_58
.LBB52_127:
	v_bfe_u32 v0, v24, 20, 1
	s_mov_b32 s14, 0x487ffff
	v_add3_u32 v0, v24, v0, s14
	s_mov_b64 s[10:11], exec
	v_lshrrev_b32_e32 v25, 20, v0
	s_or_saveexec_b64 s[12:13], s[12:13]
                                        ; implicit-def: $sgpr14
	s_xor_b64 exec, exec, s[12:13]
	s_cbranch_execz .LBB52_62
.LBB52_128:
	s_mov_b32 s14, 0x46000000
	v_add_f32_e64 v0, |v24|, s14
	v_and_b32_e32 v25, 0xff, v0
	v_cmp_ne_u32_e32 vcc, 0, v25
	s_andn2_b64 s[10:11], s[10:11], exec
	s_and_b64 s[16:17], vcc, exec
	s_mov_b32 s14, 0
	s_or_b64 s[10:11], s[10:11], s[16:17]
	s_or_b64 exec, exec, s[12:13]
	v_mov_b32_e32 v0, s14
	s_and_saveexec_b64 s[12:13], s[10:11]
	s_cbranch_execnz .LBB52_63
	s_branch .LBB52_64
.LBB52_129:
	v_bfe_u32 v22, v20, 20, 1
	s_mov_b32 s9, 0x487ffff
	v_add3_u32 v22, v20, v22, s9
	s_mov_b64 s[10:11], exec
	v_lshrrev_b32_e32 v24, 20, v22
	s_or_saveexec_b64 s[12:13], s[12:13]
                                        ; implicit-def: $sgpr9
	s_xor_b64 exec, exec, s[12:13]
	s_cbranch_execz .LBB52_68
.LBB52_130:
	s_mov_b32 s9, 0x46000000
	v_add_f32_e64 v22, |v20|, s9
	v_and_b32_e32 v24, 0xff, v22
	v_cmp_ne_u32_e32 vcc, 0, v24
	s_andn2_b64 s[10:11], s[10:11], exec
	s_and_b64 s[14:15], vcc, exec
	s_mov_b32 s9, 0
	s_or_b64 s[10:11], s[10:11], s[14:15]
	s_or_b64 exec, exec, s[12:13]
	v_mov_b32_e32 v22, s9
	s_and_saveexec_b64 s[12:13], s[10:11]
	s_cbranch_execnz .LBB52_69
	s_branch .LBB52_70
.LBB52_131:
	v_bfe_u32 v1, v20, 20, 1
	s_mov_b32 s14, 0x487ffff
	v_add3_u32 v1, v20, v1, s14
	s_mov_b64 s[10:11], exec
	v_lshrrev_b32_e32 v24, 20, v1
	s_or_saveexec_b64 s[12:13], s[12:13]
                                        ; implicit-def: $sgpr14
	s_xor_b64 exec, exec, s[12:13]
	s_cbranch_execz .LBB52_74
.LBB52_132:
	s_mov_b32 s14, 0x46000000
	v_add_f32_e64 v1, |v20|, s14
	v_and_b32_e32 v24, 0xff, v1
	v_cmp_ne_u32_e32 vcc, 0, v24
	s_andn2_b64 s[10:11], s[10:11], exec
	s_and_b64 s[16:17], vcc, exec
	s_mov_b32 s14, 0
	s_or_b64 s[10:11], s[10:11], s[16:17]
	s_or_b64 exec, exec, s[12:13]
	v_mov_b32_e32 v1, s14
	s_and_saveexec_b64 s[12:13], s[10:11]
	s_cbranch_execnz .LBB52_75
	s_branch .LBB52_76
.LBB52_133:
	v_bfe_u32 v18, v20, 20, 1
	s_mov_b32 s9, 0x487ffff
	v_add3_u32 v18, v20, v18, s9
	s_mov_b64 s[10:11], exec
	v_lshrrev_b32_e32 v24, 20, v18
	s_or_saveexec_b64 s[12:13], s[12:13]
                                        ; implicit-def: $sgpr9
	s_xor_b64 exec, exec, s[12:13]
	s_cbranch_execz .LBB52_80
.LBB52_134:
	s_mov_b32 s9, 0x46000000
	v_add_f32_e64 v18, |v20|, s9
	v_and_b32_e32 v24, 0xff, v18
	v_cmp_ne_u32_e32 vcc, 0, v24
	s_andn2_b64 s[10:11], s[10:11], exec
	s_and_b64 s[14:15], vcc, exec
	s_mov_b32 s9, 0
	s_or_b64 s[10:11], s[10:11], s[14:15]
	s_or_b64 exec, exec, s[12:13]
	v_mov_b32_e32 v18, s9
	s_and_saveexec_b64 s[12:13], s[10:11]
	s_cbranch_execnz .LBB52_81
	s_branch .LBB52_82
.LBB52_135:
	v_bfe_u32 v2, v20, 20, 1
	s_mov_b32 s14, 0x487ffff
	v_add3_u32 v2, v20, v2, s14
	s_mov_b64 s[10:11], exec
	v_bfe_u32 v24, v2, 20, 8
	s_or_saveexec_b64 s[12:13], s[12:13]
                                        ; implicit-def: $sgpr14
	s_xor_b64 exec, exec, s[12:13]
	s_cbranch_execz .LBB52_86
.LBB52_136:
	s_mov_b32 s14, 0x46000000
	v_add_f32_e64 v2, |v20|, s14
	v_and_b32_e32 v24, 0xff, v2
	v_cmp_ne_u32_e32 vcc, 0, v24
	s_andn2_b64 s[10:11], s[10:11], exec
	s_and_b64 s[16:17], vcc, exec
	s_mov_b32 s14, 0
	s_or_b64 s[10:11], s[10:11], s[16:17]
	s_or_b64 exec, exec, s[12:13]
	v_mov_b32_e32 v2, s14
	s_and_saveexec_b64 s[12:13], s[10:11]
	s_cbranch_execnz .LBB52_87
	s_branch .LBB52_88
.LBB52_137:
	v_bfe_u32 v17, v20, 20, 1
	s_mov_b32 s9, 0x487ffff
	v_add3_u32 v17, v20, v17, s9
	s_mov_b64 s[10:11], exec
	v_bfe_u32 v24, v17, 20, 8
	s_or_saveexec_b64 s[12:13], s[12:13]
                                        ; implicit-def: $sgpr9
	s_xor_b64 exec, exec, s[12:13]
	s_cbranch_execz .LBB52_92
.LBB52_138:
	s_mov_b32 s9, 0x46000000
	v_add_f32_e64 v17, |v20|, s9
	v_and_b32_e32 v24, 0xff, v17
	v_cmp_ne_u32_e32 vcc, 0, v24
	s_andn2_b64 s[10:11], s[10:11], exec
	s_and_b64 s[14:15], vcc, exec
	s_mov_b32 s9, 0
	s_or_b64 s[10:11], s[10:11], s[14:15]
	s_or_b64 exec, exec, s[12:13]
	v_mov_b32_e32 v17, s9
	s_and_saveexec_b64 s[12:13], s[10:11]
	s_cbranch_execnz .LBB52_93
	s_branch .LBB52_94
.LBB52_139:
	v_bfe_u32 v3, v20, 20, 1
	s_mov_b32 s14, 0x487ffff
	v_add3_u32 v3, v20, v3, s14
	s_mov_b64 s[10:11], exec
	v_bfe_u32 v24, v3, 20, 8
	s_or_saveexec_b64 s[12:13], s[12:13]
                                        ; implicit-def: $sgpr14
	s_xor_b64 exec, exec, s[12:13]
	s_cbranch_execz .LBB52_98
.LBB52_140:
	s_mov_b32 s14, 0x46000000
	v_add_f32_e64 v3, |v20|, s14
	v_and_b32_e32 v24, 0xff, v3
	v_cmp_ne_u32_e32 vcc, 0, v24
	s_andn2_b64 s[10:11], s[10:11], exec
	s_and_b64 s[16:17], vcc, exec
	s_mov_b32 s14, 0
	s_or_b64 s[10:11], s[10:11], s[16:17]
	s_or_b64 exec, exec, s[12:13]
	v_mov_b32_e32 v3, s14
	s_and_saveexec_b64 s[12:13], s[10:11]
	s_cbranch_execnz .LBB52_99
	s_branch .LBB52_100
.LBB52_141:
	v_bfe_u32 v10, v9, 20, 1
	s_mov_b32 s9, 0x487ffff
	v_add3_u32 v10, v9, v10, s9
	s_mov_b64 s[10:11], exec
	v_bfe_u32 v10, v10, 20, 8
	s_or_saveexec_b64 s[12:13], s[12:13]
                                        ; implicit-def: $sgpr9
	s_xor_b64 exec, exec, s[12:13]
	s_cbranch_execz .LBB52_104
.LBB52_142:
	s_mov_b32 s9, 0x46000000
	v_add_f32_e64 v10, |v9|, s9
	v_and_b32_e32 v10, 0xff, v10
	v_cmp_ne_u32_e32 vcc, 0, v10
	s_andn2_b64 s[10:11], s[10:11], exec
	s_and_b64 s[14:15], vcc, exec
	s_mov_b32 s9, 0
	s_or_b64 s[10:11], s[10:11], s[14:15]
	s_or_b64 exec, exec, s[12:13]
	v_mov_b32_e32 v11, s9
	s_and_saveexec_b64 s[12:13], s[10:11]
	s_cbranch_execnz .LBB52_105
	s_branch .LBB52_106
	.section	.rodata,"a",@progbits
	.p2align	6, 0x0
	.amdhsa_kernel _Z49per_token_group_quant_8bit_packed_register_kernelIN3c108BFloat16ENS0_15Float8_e4m3fnuzELi128ELi8ELi2EEvPKT_PvPjiiiiilfff
		.amdhsa_group_segment_fixed_size 0
		.amdhsa_private_segment_fixed_size 0
		.amdhsa_kernarg_size 68
		.amdhsa_user_sgpr_count 6
		.amdhsa_user_sgpr_private_segment_buffer 1
		.amdhsa_user_sgpr_dispatch_ptr 0
		.amdhsa_user_sgpr_queue_ptr 0
		.amdhsa_user_sgpr_kernarg_segment_ptr 1
		.amdhsa_user_sgpr_dispatch_id 0
		.amdhsa_user_sgpr_flat_scratch_init 0
		.amdhsa_user_sgpr_kernarg_preload_length 0
		.amdhsa_user_sgpr_kernarg_preload_offset 0
		.amdhsa_user_sgpr_private_segment_size 0
		.amdhsa_uses_dynamic_stack 0
		.amdhsa_system_sgpr_private_segment_wavefront_offset 0
		.amdhsa_system_sgpr_workgroup_id_x 1
		.amdhsa_system_sgpr_workgroup_id_y 1
		.amdhsa_system_sgpr_workgroup_id_z 0
		.amdhsa_system_sgpr_workgroup_info 0
		.amdhsa_system_vgpr_workitem_id 0
		.amdhsa_next_free_vgpr 36
		.amdhsa_next_free_sgpr 24
		.amdhsa_accum_offset 36
		.amdhsa_reserve_vcc 1
		.amdhsa_reserve_flat_scratch 0
		.amdhsa_float_round_mode_32 0
		.amdhsa_float_round_mode_16_64 0
		.amdhsa_float_denorm_mode_32 3
		.amdhsa_float_denorm_mode_16_64 3
		.amdhsa_dx10_clamp 1
		.amdhsa_ieee_mode 1
		.amdhsa_fp16_overflow 0
		.amdhsa_tg_split 0
		.amdhsa_exception_fp_ieee_invalid_op 0
		.amdhsa_exception_fp_denorm_src 0
		.amdhsa_exception_fp_ieee_div_zero 0
		.amdhsa_exception_fp_ieee_overflow 0
		.amdhsa_exception_fp_ieee_underflow 0
		.amdhsa_exception_fp_ieee_inexact 0
		.amdhsa_exception_int_div_zero 0
	.end_amdhsa_kernel
	.section	.text._Z49per_token_group_quant_8bit_packed_register_kernelIN3c108BFloat16ENS0_15Float8_e4m3fnuzELi128ELi8ELi2EEvPKT_PvPjiiiiilfff,"axG",@progbits,_Z49per_token_group_quant_8bit_packed_register_kernelIN3c108BFloat16ENS0_15Float8_e4m3fnuzELi128ELi8ELi2EEvPKT_PvPjiiiiilfff,comdat
.Lfunc_end52:
	.size	_Z49per_token_group_quant_8bit_packed_register_kernelIN3c108BFloat16ENS0_15Float8_e4m3fnuzELi128ELi8ELi2EEvPKT_PvPjiiiiilfff, .Lfunc_end52-_Z49per_token_group_quant_8bit_packed_register_kernelIN3c108BFloat16ENS0_15Float8_e4m3fnuzELi128ELi8ELi2EEvPKT_PvPjiiiiilfff
                                        ; -- End function
	.section	.AMDGPU.csdata,"",@progbits
; Kernel info:
; codeLenInByte = 4960
; NumSgprs: 28
; NumVgprs: 36
; NumAgprs: 0
; TotalNumVgprs: 36
; ScratchSize: 0
; MemoryBound: 0
; FloatMode: 240
; IeeeMode: 1
; LDSByteSize: 0 bytes/workgroup (compile time only)
; SGPRBlocks: 3
; VGPRBlocks: 4
; NumSGPRsForWavesPerEU: 28
; NumVGPRsForWavesPerEU: 36
; AccumOffset: 36
; Occupancy: 8
; WaveLimiterHint : 0
; COMPUTE_PGM_RSRC2:SCRATCH_EN: 0
; COMPUTE_PGM_RSRC2:USER_SGPR: 6
; COMPUTE_PGM_RSRC2:TRAP_HANDLER: 0
; COMPUTE_PGM_RSRC2:TGID_X_EN: 1
; COMPUTE_PGM_RSRC2:TGID_Y_EN: 1
; COMPUTE_PGM_RSRC2:TGID_Z_EN: 0
; COMPUTE_PGM_RSRC2:TIDIG_COMP_CNT: 0
; COMPUTE_PGM_RSRC3_GFX90A:ACCUM_OFFSET: 8
; COMPUTE_PGM_RSRC3_GFX90A:TG_SPLIT: 0
	.section	.text._Z49per_token_group_quant_8bit_packed_register_kernelIN3c108BFloat16ENS0_15Float8_e4m3fnuzELi128ELi4ELi4EEvPKT_PvPjiiiiilfff,"axG",@progbits,_Z49per_token_group_quant_8bit_packed_register_kernelIN3c108BFloat16ENS0_15Float8_e4m3fnuzELi128ELi4ELi4EEvPKT_PvPjiiiiilfff,comdat
	.protected	_Z49per_token_group_quant_8bit_packed_register_kernelIN3c108BFloat16ENS0_15Float8_e4m3fnuzELi128ELi4ELi4EEvPKT_PvPjiiiiilfff ; -- Begin function _Z49per_token_group_quant_8bit_packed_register_kernelIN3c108BFloat16ENS0_15Float8_e4m3fnuzELi128ELi4ELi4EEvPKT_PvPjiiiiilfff
	.globl	_Z49per_token_group_quant_8bit_packed_register_kernelIN3c108BFloat16ENS0_15Float8_e4m3fnuzELi128ELi4ELi4EEvPKT_PvPjiiiiilfff
	.p2align	8
	.type	_Z49per_token_group_quant_8bit_packed_register_kernelIN3c108BFloat16ENS0_15Float8_e4m3fnuzELi128ELi4ELi4EEvPKT_PvPjiiiiilfff,@function
_Z49per_token_group_quant_8bit_packed_register_kernelIN3c108BFloat16ENS0_15Float8_e4m3fnuzELi128ELi4ELi4EEvPKT_PvPjiiiiilfff: ; @_Z49per_token_group_quant_8bit_packed_register_kernelIN3c108BFloat16ENS0_15Float8_e4m3fnuzELi128ELi4ELi4EEvPKT_PvPjiiiiilfff
; %bb.0:
	s_load_dwordx4 s[8:11], s[4:5], 0x1c
	v_lshrrev_b32_e32 v1, 5, v0
	v_lshl_add_u32 v12, s7, 2, v1
	s_waitcnt lgkmcnt(0)
	v_cmp_gt_i32_e32 vcc, s11, v12
	s_and_saveexec_b64 s[0:1], vcc
	s_cbranch_execz .LBB53_110
; %bb.1:
	s_load_dwordx4 s[12:15], s[4:5], 0x38
	v_lshrrev_b32_e32 v1, 3, v0
	s_lshl_b32 s0, s6, 2
	v_and_or_b32 v10, v1, 3, s0
	v_cmp_gt_i32_e64 s[2:3], s9, v12
	v_cmp_gt_i32_e64 s[0:1], s8, v10
	v_and_b32_e32 v13, 7, v0
	s_and_b64 s[6:7], s[2:3], s[0:1]
	s_waitcnt lgkmcnt(0)
	v_mov_b32_e32 v8, s12
	v_ashrrev_i32_e32 v16, 31, v12
	v_lshlrev_b32_e32 v14, 7, v10
                                        ; implicit-def: $vgpr15
                                        ; implicit-def: $vgpr3
                                        ; implicit-def: $vgpr17
                                        ; implicit-def: $vgpr18
                                        ; implicit-def: $vgpr20
                                        ; implicit-def: $vgpr22
                                        ; implicit-def: $vgpr7
                                        ; implicit-def: $vgpr23
                                        ; implicit-def: $vgpr21
                                        ; implicit-def: $vgpr19
	s_and_saveexec_b64 s[16:17], s[6:7]
	s_cbranch_execz .LBB53_3
; %bb.2:
	s_load_dwordx2 s[18:19], s[4:5], 0x0
	v_alignbit_b32 v0, v16, v12, 24
	s_ashr_i32 s9, s8, 31
	v_lshlrev_b32_e32 v2, 8, v12
	v_mul_lo_u32 v4, v0, s8
	s_waitcnt lgkmcnt(0)
	v_pk_mov_b32 v[0:1], s[18:19], s[18:19] op_sel:[0,1]
	v_mul_lo_u32 v3, v2, s9
	v_mad_u64_u32 v[0:1], s[18:19], v2, s8, v[0:1]
	v_ashrrev_i32_e32 v15, 31, v14
	v_add3_u32 v1, v4, v1, v3
	v_lshlrev_b64 v[2:3], 1, v[14:15]
	v_add_co_u32_e32 v0, vcc, v0, v2
	v_addc_co_u32_e32 v1, vcc, v1, v3, vcc
	v_lshlrev_b32_e32 v2, 5, v13
	v_add_co_u32_e32 v8, vcc, v0, v2
	v_addc_co_u32_e32 v9, vcc, 0, v1, vcc
	global_load_dwordx4 v[4:7], v[8:9], off
	global_load_dwordx4 v[0:3], v[8:9], off offset:16
	s_waitcnt vmcnt(1)
	v_lshlrev_b32_e32 v8, 16, v4
	v_and_b32_e32 v9, 0xffff0000, v4
	v_lshlrev_b32_e32 v11, 16, v5
	v_and_b32_e32 v24, 0xffff0000, v5
	v_max3_f32 v8, s12, |v8|, |v9|
	v_lshlrev_b32_e32 v25, 16, v6
	v_and_b32_e32 v26, 0xffff0000, v6
	v_max3_f32 v8, v8, |v11|, |v24|
	;; [unrolled: 3-line block ×3, first 2 shown]
	s_waitcnt vmcnt(0)
	v_lshlrev_b32_e32 v29, 16, v0
	v_and_b32_e32 v30, 0xffff0000, v0
	v_max3_f32 v8, v8, |v27|, |v28|
	v_lshlrev_b32_e32 v31, 16, v1
	v_and_b32_e32 v32, 0xffff0000, v1
	v_max3_f32 v8, v8, |v29|, |v30|
	;; [unrolled: 3-line block ×3, first 2 shown]
	v_lshlrev_b32_e32 v35, 16, v3
	v_max3_f32 v8, v8, |v33|, |v34|
	v_and_b32_e32 v9, 0xffff0000, v3
	v_lshrrev_b32_e32 v19, 16, v4
	v_lshrrev_b32_e32 v21, 16, v5
	;; [unrolled: 1-line block ×8, first 2 shown]
	v_max3_f32 v8, v8, |v35|, |v9|
.LBB53_3:
	s_or_b64 exec, exec, s[16:17]
	v_mbcnt_lo_u32_b32 v9, -1, 0
	v_mbcnt_hi_u32_b32 v9, -1, v9
	v_and_b32_e32 v24, 0x78, v9
	v_xor_b32_e32 v11, 4, v9
	v_add_u32_e32 v24, 8, v24
	v_cmp_lt_i32_e32 vcc, v11, v24
	v_cndmask_b32_e32 v11, v9, v11, vcc
	v_lshlrev_b32_e32 v11, 2, v11
	ds_bpermute_b32 v11, v11, v8
	v_xor_b32_e32 v25, 2, v9
	v_max_f32_e32 v8, v8, v8
	v_cmp_lt_i32_e32 vcc, v25, v24
	s_waitcnt lgkmcnt(0)
	v_max_f32_e32 v11, v11, v11
	v_max_f32_e32 v8, v8, v11
	v_cndmask_b32_e32 v11, v9, v25, vcc
	v_lshlrev_b32_e32 v11, 2, v11
	ds_bpermute_b32 v11, v11, v8
	v_xor_b32_e32 v25, 1, v9
	v_cmp_lt_i32_e32 vcc, v25, v24
	v_cndmask_b32_e32 v9, v9, v25, vcc
	v_lshlrev_b32_e32 v9, 2, v9
	s_waitcnt lgkmcnt(0)
	v_max_f32_e32 v11, v11, v11
	v_max_f32_e32 v8, v8, v11
	ds_bpermute_b32 v9, v9, v8
	s_waitcnt lgkmcnt(0)
	v_max_f32_e32 v9, v9, v9
	v_max_f32_e32 v8, v8, v9
	v_div_scale_f32 v9, s[16:17], s14, s14, v8
	v_rcp_f32_e32 v11, v9
	v_div_scale_f32 v24, vcc, v8, s14, v8
	s_xor_b64 s[16:17], s[6:7], -1
	v_fma_f32 v25, -v9, v11, 1.0
	v_fmac_f32_e32 v11, v25, v11
	v_mul_f32_e32 v25, v24, v11
	v_fma_f32 v26, -v9, v25, v24
	v_fmac_f32_e32 v25, v26, v11
	v_fma_f32 v9, -v9, v25, v24
	v_div_fmas_f32 v9, v9, v11, v25
	v_div_fixup_f32 v8, v9, s14, v8
	v_max_f32_e32 v8, 0x2edbe6ff, v8
	v_lshrrev_b32_e32 v9, 23, v8
	v_and_b32_e32 v8, 0x7fffff, v8
	v_cmp_ne_u32_e32 vcc, 0, v8
	v_addc_co_u32_e32 v24, vcc, 0, v9, vcc
	v_cmp_eq_u32_e32 vcc, 0, v13
	s_and_saveexec_b64 s[18:19], vcc
	s_cbranch_execz .LBB53_8
; %bb.4:
	v_ashrrev_i32_e32 v8, 31, v10
	v_lshrrev_b32_e32 v8, 30, v8
	v_add_u32_e32 v8, v10, v8
	v_ashrrev_i32_e32 v11, 2, v8
	v_mad_u64_u32 v[8:9], s[20:21], v11, s11, v[12:13]
	v_mov_b32_e32 v25, v24
	s_and_saveexec_b64 s[20:21], s[16:17]
	s_cbranch_execz .LBB53_6
; %bb.5:
	s_load_dwordx2 s[22:23], s[4:5], 0x30
	v_ashrrev_i32_e32 v9, 31, v8
	s_andn2_b64 s[6:7], s[6:7], exec
	v_mov_b32_e32 v25, 0
	s_waitcnt lgkmcnt(0)
	v_cmp_gt_i64_e32 vcc, s[22:23], v[8:9]
	s_and_b64 s[22:23], vcc, exec
	s_or_b64 s[6:7], s[6:7], s[22:23]
.LBB53_6:
	s_or_b64 exec, exec, s[20:21]
	s_and_b64 exec, exec, s[6:7]
	s_cbranch_execz .LBB53_8
; %bb.7:
	s_load_dwordx2 s[6:7], s[4:5], 0x10
	v_lshlrev_b32_e32 v9, 2, v11
	v_sub_u32_e32 v9, v10, v9
	v_lshl_add_u32 v8, v8, 2, v9
	v_ashrrev_i32_e32 v9, 31, v8
	s_waitcnt lgkmcnt(0)
	v_mov_b32_e32 v10, s7
	v_add_co_u32_e32 v8, vcc, s6, v8
	v_addc_co_u32_e32 v9, vcc, v10, v9, vcc
	global_store_byte v[8:9], v25, off
.LBB53_8:
	s_or_b64 exec, exec, s[18:19]
	s_mov_b64 s[6:7], 0
                                        ; implicit-def: $sgpr9
	s_and_saveexec_b64 s[18:19], s[16:17]
	s_xor_b64 s[16:17], exec, s[18:19]
; %bb.9:
	s_xor_b64 s[2:3], s[2:3], -1
	v_cmp_gt_i32_e32 vcc, s10, v12
	s_and_b64 s[2:3], vcc, s[2:3]
	s_and_b64 s[0:1], s[0:1], s[2:3]
	s_mov_b32 s9, 0
	s_and_b64 s[6:7], s[0:1], exec
                                        ; implicit-def: $vgpr15
                                        ; implicit-def: $vgpr3
                                        ; implicit-def: $vgpr17
                                        ; implicit-def: $vgpr18
                                        ; implicit-def: $vgpr20
                                        ; implicit-def: $vgpr22
                                        ; implicit-def: $vgpr7
                                        ; implicit-def: $vgpr23
                                        ; implicit-def: $vgpr21
                                        ; implicit-def: $vgpr19
                                        ; implicit-def: $vgpr24
; %bb.10:
	s_or_saveexec_b64 s[0:1], s[16:17]
	v_mov_b32_e32 v11, s9
	v_mov_b32_e32 v10, s9
	;; [unrolled: 1-line block ×4, first 2 shown]
	s_xor_b64 exec, exec, s[0:1]
	s_cbranch_execz .LBB53_108
; %bb.11:
	v_lshlrev_b32_e32 v8, 23, v24
	v_and_b32_e32 v8, 0x7f800000, v8
	v_div_scale_f32 v9, s[2:3], v8, v8, 1.0
	v_rcp_f32_e32 v10, v9
	v_div_scale_f32 v11, vcc, 1.0, v8, 1.0
	v_lshlrev_b32_e32 v4, 16, v4
	v_fma_f32 v24, -v9, v10, 1.0
	v_fmac_f32_e32 v10, v24, v10
	v_mul_f32_e32 v24, v11, v10
	v_fma_f32 v25, -v9, v24, v11
	v_fmac_f32_e32 v24, v25, v10
	v_fma_f32 v9, -v9, v24, v11
	v_div_fmas_f32 v9, v9, v10, v24
	v_div_fixup_f32 v9, v9, v8, 1.0
	v_mul_f32_e32 v4, v9, v4
	v_max_f32_e64 v10, s13, s13
	v_max_f32_e32 v4, v4, v10
	v_max_f32_e64 v11, s14, s14
	v_min_f32_e32 v24, v4, v11
	v_and_b32_e32 v25, 0x7fffffff, v24
	s_mov_b32 s9, 0x43800000
	v_cmp_gt_u32_e32 vcc, s9, v25
	v_mov_b32_e32 v4, 0x80
	v_mov_b32_e32 v8, 0x80
	s_and_saveexec_b64 s[2:3], vcc
	s_cbranch_execz .LBB53_17
; %bb.12:
	s_mov_b32 s10, 0x3bffffff
	v_cmp_lt_u32_e32 vcc, s10, v25
	s_mov_b64 s[10:11], 0
                                        ; implicit-def: $vgpr25
	s_and_saveexec_b64 s[12:13], vcc
	s_xor_b64 s[12:13], exec, s[12:13]
	s_cbranch_execnz .LBB53_111
; %bb.13:
	s_or_saveexec_b64 s[12:13], s[12:13]
                                        ; implicit-def: $sgpr14
	s_xor_b64 exec, exec, s[12:13]
	s_cbranch_execnz .LBB53_112
.LBB53_14:
	s_or_b64 exec, exec, s[12:13]
	v_mov_b32_e32 v8, s14
	s_and_saveexec_b64 s[12:13], s[10:11]
.LBB53_15:
	v_lshrrev_b32_e32 v8, 24, v24
	s_movk_i32 s10, 0x80
	v_and_or_b32 v8, v8, s10, v25
.LBB53_16:
	s_or_b64 exec, exec, s[12:13]
.LBB53_17:
	s_or_b64 exec, exec, s[2:3]
	v_lshlrev_b32_e32 v19, 16, v19
	v_mul_f32_e32 v19, v9, v19
	v_max_f32_e32 v19, v19, v10
	v_min_f32_e32 v19, v19, v11
	v_and_b32_e32 v24, 0x7fffffff, v19
	v_cmp_gt_u32_e32 vcc, s9, v24
	s_and_saveexec_b64 s[2:3], vcc
	s_cbranch_execz .LBB53_23
; %bb.18:
	s_mov_b32 s9, 0x3bffffff
	v_cmp_lt_u32_e32 vcc, s9, v24
	s_mov_b64 s[10:11], 0
                                        ; implicit-def: $vgpr24
	s_and_saveexec_b64 s[12:13], vcc
	s_xor_b64 s[12:13], exec, s[12:13]
	s_cbranch_execnz .LBB53_113
; %bb.19:
	s_or_saveexec_b64 s[12:13], s[12:13]
                                        ; implicit-def: $sgpr9
	s_xor_b64 exec, exec, s[12:13]
	s_cbranch_execnz .LBB53_114
.LBB53_20:
	s_or_b64 exec, exec, s[12:13]
	v_mov_b32_e32 v4, s9
	s_and_saveexec_b64 s[12:13], s[10:11]
.LBB53_21:
	v_lshrrev_b32_e32 v4, 24, v19
	s_movk_i32 s9, 0x80
	v_and_or_b32 v4, v4, s9, v24
.LBB53_22:
	s_or_b64 exec, exec, s[12:13]
.LBB53_23:
	s_or_b64 exec, exec, s[2:3]
	v_lshlrev_b32_e32 v5, 16, v5
	v_mul_f32_e32 v5, v9, v5
	v_max_f32_e32 v5, v5, v10
	v_min_f32_e32 v24, v5, v11
	v_and_b32_e32 v25, 0x7fffffff, v24
	s_mov_b32 s9, 0x43800000
	v_cmp_gt_u32_e32 vcc, s9, v25
	v_mov_b32_e32 v5, 0x80
	v_mov_b32_e32 v19, 0x80
	s_and_saveexec_b64 s[2:3], vcc
	s_cbranch_execz .LBB53_29
; %bb.24:
	s_mov_b32 s10, 0x3bffffff
	v_cmp_lt_u32_e32 vcc, s10, v25
	s_mov_b64 s[10:11], 0
                                        ; implicit-def: $vgpr25
	s_and_saveexec_b64 s[12:13], vcc
	s_xor_b64 s[12:13], exec, s[12:13]
	s_cbranch_execnz .LBB53_115
; %bb.25:
	s_or_saveexec_b64 s[12:13], s[12:13]
                                        ; implicit-def: $sgpr14
	s_xor_b64 exec, exec, s[12:13]
	s_cbranch_execnz .LBB53_116
.LBB53_26:
	s_or_b64 exec, exec, s[12:13]
	v_mov_b32_e32 v19, s14
	s_and_saveexec_b64 s[12:13], s[10:11]
.LBB53_27:
	v_lshrrev_b32_e32 v19, 24, v24
	s_movk_i32 s10, 0x80
	v_and_or_b32 v19, v19, s10, v25
.LBB53_28:
	s_or_b64 exec, exec, s[12:13]
.LBB53_29:
	s_or_b64 exec, exec, s[2:3]
	v_lshlrev_b32_e32 v21, 16, v21
	v_mul_f32_e32 v21, v9, v21
	v_max_f32_e32 v21, v21, v10
	v_min_f32_e32 v21, v21, v11
	v_and_b32_e32 v24, 0x7fffffff, v21
	v_cmp_gt_u32_e32 vcc, s9, v24
	s_and_saveexec_b64 s[2:3], vcc
	s_cbranch_execz .LBB53_35
; %bb.30:
	s_mov_b32 s9, 0x3bffffff
	v_cmp_lt_u32_e32 vcc, s9, v24
	s_mov_b64 s[10:11], 0
                                        ; implicit-def: $vgpr24
	s_and_saveexec_b64 s[12:13], vcc
	s_xor_b64 s[12:13], exec, s[12:13]
	s_cbranch_execnz .LBB53_117
; %bb.31:
	s_or_saveexec_b64 s[12:13], s[12:13]
                                        ; implicit-def: $sgpr9
	s_xor_b64 exec, exec, s[12:13]
	s_cbranch_execnz .LBB53_118
.LBB53_32:
	s_or_b64 exec, exec, s[12:13]
	v_mov_b32_e32 v5, s9
	s_and_saveexec_b64 s[12:13], s[10:11]
.LBB53_33:
	v_lshrrev_b32_e32 v5, 24, v21
	s_movk_i32 s9, 0x80
	v_and_or_b32 v5, v5, s9, v24
.LBB53_34:
	s_or_b64 exec, exec, s[12:13]
.LBB53_35:
	s_or_b64 exec, exec, s[2:3]
	v_lshlrev_b32_e32 v6, 16, v6
	v_mul_f32_e32 v6, v9, v6
	v_max_f32_e32 v6, v6, v10
	v_min_f32_e32 v24, v6, v11
	v_and_b32_e32 v25, 0x7fffffff, v24
	s_mov_b32 s9, 0x43800000
	v_cmp_gt_u32_e32 vcc, s9, v25
	v_mov_b32_e32 v21, 0x80
	v_mov_b32_e32 v6, 0x80
	s_and_saveexec_b64 s[2:3], vcc
	s_cbranch_execz .LBB53_41
; %bb.36:
	s_mov_b32 s10, 0x3bffffff
	v_cmp_lt_u32_e32 vcc, s10, v25
	s_mov_b64 s[10:11], 0
                                        ; implicit-def: $vgpr25
	s_and_saveexec_b64 s[12:13], vcc
	s_xor_b64 s[12:13], exec, s[12:13]
	s_cbranch_execnz .LBB53_119
; %bb.37:
	s_or_saveexec_b64 s[12:13], s[12:13]
                                        ; implicit-def: $sgpr14
	s_xor_b64 exec, exec, s[12:13]
	s_cbranch_execnz .LBB53_120
.LBB53_38:
	s_or_b64 exec, exec, s[12:13]
	v_mov_b32_e32 v6, s14
	s_and_saveexec_b64 s[12:13], s[10:11]
.LBB53_39:
	v_lshrrev_b32_e32 v6, 24, v24
	s_movk_i32 s10, 0x80
	v_and_or_b32 v6, v6, s10, v25
.LBB53_40:
	s_or_b64 exec, exec, s[12:13]
.LBB53_41:
	s_or_b64 exec, exec, s[2:3]
	v_lshlrev_b32_e32 v23, 16, v23
	v_mul_f32_e32 v23, v9, v23
	v_max_f32_e32 v23, v23, v10
	v_min_f32_e32 v23, v23, v11
	v_and_b32_e32 v24, 0x7fffffff, v23
	v_cmp_gt_u32_e32 vcc, s9, v24
	s_and_saveexec_b64 s[2:3], vcc
	s_cbranch_execz .LBB53_47
; %bb.42:
	s_mov_b32 s9, 0x3bffffff
	v_cmp_lt_u32_e32 vcc, s9, v24
	s_mov_b64 s[10:11], 0
                                        ; implicit-def: $vgpr24
	s_and_saveexec_b64 s[12:13], vcc
	s_xor_b64 s[12:13], exec, s[12:13]
	s_cbranch_execnz .LBB53_121
; %bb.43:
	s_or_saveexec_b64 s[12:13], s[12:13]
                                        ; implicit-def: $sgpr9
	s_xor_b64 exec, exec, s[12:13]
	s_cbranch_execnz .LBB53_122
.LBB53_44:
	s_or_b64 exec, exec, s[12:13]
	v_mov_b32_e32 v21, s9
	s_and_saveexec_b64 s[12:13], s[10:11]
.LBB53_45:
	v_lshrrev_b32_e32 v21, 24, v23
	s_movk_i32 s9, 0x80
	v_and_or_b32 v21, v21, s9, v24
.LBB53_46:
	s_or_b64 exec, exec, s[12:13]
.LBB53_47:
	s_or_b64 exec, exec, s[2:3]
	v_lshlrev_b32_e32 v7, 16, v7
	v_mul_f32_e32 v7, v9, v7
	v_max_f32_e32 v7, v7, v10
	v_min_f32_e32 v24, v7, v11
	v_and_b32_e32 v25, 0x7fffffff, v24
	s_mov_b32 s9, 0x43800000
	v_cmp_gt_u32_e32 vcc, s9, v25
	v_mov_b32_e32 v7, 0x80
	v_mov_b32_e32 v23, 0x80
	s_and_saveexec_b64 s[2:3], vcc
	s_cbranch_execz .LBB53_53
; %bb.48:
	s_mov_b32 s10, 0x3bffffff
	v_cmp_lt_u32_e32 vcc, s10, v25
	s_mov_b64 s[10:11], 0
                                        ; implicit-def: $vgpr25
	s_and_saveexec_b64 s[12:13], vcc
	s_xor_b64 s[12:13], exec, s[12:13]
	s_cbranch_execnz .LBB53_123
; %bb.49:
	s_or_saveexec_b64 s[12:13], s[12:13]
                                        ; implicit-def: $sgpr14
	s_xor_b64 exec, exec, s[12:13]
	s_cbranch_execnz .LBB53_124
.LBB53_50:
	s_or_b64 exec, exec, s[12:13]
	v_mov_b32_e32 v23, s14
	s_and_saveexec_b64 s[12:13], s[10:11]
.LBB53_51:
	v_lshrrev_b32_e32 v23, 24, v24
	s_movk_i32 s10, 0x80
	v_and_or_b32 v23, v23, s10, v25
.LBB53_52:
	s_or_b64 exec, exec, s[12:13]
.LBB53_53:
	s_or_b64 exec, exec, s[2:3]
	v_lshlrev_b32_e32 v22, 16, v22
	v_mul_f32_e32 v22, v9, v22
	v_max_f32_e32 v22, v22, v10
	v_min_f32_e32 v22, v22, v11
	v_and_b32_e32 v24, 0x7fffffff, v22
	v_cmp_gt_u32_e32 vcc, s9, v24
	s_and_saveexec_b64 s[2:3], vcc
	s_cbranch_execz .LBB53_59
; %bb.54:
	s_mov_b32 s9, 0x3bffffff
	v_cmp_lt_u32_e32 vcc, s9, v24
	s_mov_b64 s[10:11], 0
                                        ; implicit-def: $vgpr24
	s_and_saveexec_b64 s[12:13], vcc
	s_xor_b64 s[12:13], exec, s[12:13]
	s_cbranch_execnz .LBB53_125
; %bb.55:
	s_or_saveexec_b64 s[12:13], s[12:13]
                                        ; implicit-def: $sgpr9
	s_xor_b64 exec, exec, s[12:13]
	s_cbranch_execnz .LBB53_126
.LBB53_56:
	s_or_b64 exec, exec, s[12:13]
	v_mov_b32_e32 v7, s9
	s_and_saveexec_b64 s[12:13], s[10:11]
.LBB53_57:
	v_lshrrev_b32_e32 v7, 24, v22
	s_movk_i32 s9, 0x80
	v_and_or_b32 v7, v7, s9, v24
.LBB53_58:
	s_or_b64 exec, exec, s[12:13]
.LBB53_59:
	s_or_b64 exec, exec, s[2:3]
	v_lshlrev_b32_e32 v0, 16, v0
	v_mul_f32_e32 v0, v9, v0
	v_max_f32_e32 v0, v0, v10
	v_min_f32_e32 v24, v0, v11
	v_and_b32_e32 v25, 0x7fffffff, v24
	s_mov_b32 s9, 0x43800000
	v_cmp_gt_u32_e32 vcc, s9, v25
	v_mov_b32_e32 v22, 0x80
	v_mov_b32_e32 v0, 0x80
	s_and_saveexec_b64 s[2:3], vcc
	s_cbranch_execz .LBB53_65
; %bb.60:
	s_mov_b32 s10, 0x3bffffff
	v_cmp_lt_u32_e32 vcc, s10, v25
	s_mov_b64 s[10:11], 0
                                        ; implicit-def: $vgpr25
	s_and_saveexec_b64 s[12:13], vcc
	s_xor_b64 s[12:13], exec, s[12:13]
	s_cbranch_execnz .LBB53_127
; %bb.61:
	s_or_saveexec_b64 s[12:13], s[12:13]
                                        ; implicit-def: $sgpr14
	s_xor_b64 exec, exec, s[12:13]
	s_cbranch_execnz .LBB53_128
.LBB53_62:
	s_or_b64 exec, exec, s[12:13]
	v_mov_b32_e32 v0, s14
	s_and_saveexec_b64 s[12:13], s[10:11]
.LBB53_63:
	v_lshrrev_b32_e32 v0, 24, v24
	s_movk_i32 s10, 0x80
	v_and_or_b32 v0, v0, s10, v25
.LBB53_64:
	s_or_b64 exec, exec, s[12:13]
.LBB53_65:
	s_or_b64 exec, exec, s[2:3]
	v_lshlrev_b32_e32 v20, 16, v20
	v_mul_f32_e32 v20, v9, v20
	v_max_f32_e32 v20, v20, v10
	v_min_f32_e32 v20, v20, v11
	v_and_b32_e32 v24, 0x7fffffff, v20
	v_cmp_gt_u32_e32 vcc, s9, v24
	s_and_saveexec_b64 s[2:3], vcc
	s_cbranch_execz .LBB53_71
; %bb.66:
	s_mov_b32 s9, 0x3bffffff
	v_cmp_lt_u32_e32 vcc, s9, v24
	s_mov_b64 s[10:11], 0
                                        ; implicit-def: $vgpr24
	s_and_saveexec_b64 s[12:13], vcc
	s_xor_b64 s[12:13], exec, s[12:13]
	s_cbranch_execnz .LBB53_129
; %bb.67:
	s_or_saveexec_b64 s[12:13], s[12:13]
                                        ; implicit-def: $sgpr9
	s_xor_b64 exec, exec, s[12:13]
	s_cbranch_execnz .LBB53_130
.LBB53_68:
	s_or_b64 exec, exec, s[12:13]
	v_mov_b32_e32 v22, s9
	s_and_saveexec_b64 s[12:13], s[10:11]
.LBB53_69:
	v_lshrrev_b32_e32 v20, 24, v20
	s_movk_i32 s9, 0x80
	v_and_or_b32 v22, v20, s9, v24
.LBB53_70:
	s_or_b64 exec, exec, s[12:13]
.LBB53_71:
	s_or_b64 exec, exec, s[2:3]
	v_lshlrev_b32_e32 v1, 16, v1
	v_mul_f32_e32 v1, v9, v1
	v_max_f32_e32 v1, v1, v10
	v_min_f32_e32 v20, v1, v11
	v_and_b32_e32 v24, 0x7fffffff, v20
	s_mov_b32 s9, 0x43800000
	v_cmp_gt_u32_e32 vcc, s9, v24
	v_mov_b32_e32 v1, 0x800000
	s_and_saveexec_b64 s[2:3], vcc
	s_cbranch_execz .LBB53_77
; %bb.72:
	s_mov_b32 s10, 0x3bffffff
	v_cmp_lt_u32_e32 vcc, s10, v24
	s_mov_b64 s[10:11], 0
                                        ; implicit-def: $vgpr24
	s_and_saveexec_b64 s[12:13], vcc
	s_xor_b64 s[12:13], exec, s[12:13]
	s_cbranch_execnz .LBB53_131
; %bb.73:
	s_or_saveexec_b64 s[12:13], s[12:13]
                                        ; implicit-def: $sgpr14
	s_xor_b64 exec, exec, s[12:13]
	s_cbranch_execnz .LBB53_132
.LBB53_74:
	s_or_b64 exec, exec, s[12:13]
	v_mov_b32_e32 v1, s14
	s_and_saveexec_b64 s[12:13], s[10:11]
.LBB53_75:
	v_lshrrev_b32_e32 v1, 24, v20
	s_movk_i32 s10, 0x80
	v_and_or_b32 v1, v1, s10, v24
	v_lshlrev_b32_e32 v1, 16, v1
	v_and_b32_e32 v1, 0xff0000, v1
.LBB53_76:
	s_or_b64 exec, exec, s[12:13]
.LBB53_77:
	s_or_b64 exec, exec, s[2:3]
	v_lshlrev_b32_e32 v18, 16, v18
	v_mul_f32_e32 v18, v9, v18
	v_max_f32_e32 v18, v18, v10
	v_min_f32_e32 v20, v18, v11
	v_and_b32_e32 v24, 0x7fffffff, v20
	v_cmp_gt_u32_e32 vcc, s9, v24
	v_bfrev_b32_e32 v18, 1
	s_and_saveexec_b64 s[2:3], vcc
	s_cbranch_execz .LBB53_83
; %bb.78:
	s_mov_b32 s9, 0x3bffffff
	v_cmp_lt_u32_e32 vcc, s9, v24
	s_mov_b64 s[10:11], 0
                                        ; implicit-def: $vgpr24
	s_and_saveexec_b64 s[12:13], vcc
	s_xor_b64 s[12:13], exec, s[12:13]
	s_cbranch_execnz .LBB53_133
; %bb.79:
	s_or_saveexec_b64 s[12:13], s[12:13]
                                        ; implicit-def: $sgpr9
	s_xor_b64 exec, exec, s[12:13]
	s_cbranch_execnz .LBB53_134
.LBB53_80:
	s_or_b64 exec, exec, s[12:13]
	v_mov_b32_e32 v18, s9
	s_and_saveexec_b64 s[12:13], s[10:11]
.LBB53_81:
	v_lshlrev_b32_e32 v18, 24, v24
	s_brev_b32 s9, 1
	v_and_or_b32 v18, v20, s9, v18
.LBB53_82:
	s_or_b64 exec, exec, s[12:13]
.LBB53_83:
	s_or_b64 exec, exec, s[2:3]
	v_lshlrev_b32_e32 v2, 16, v2
	v_mul_f32_e32 v2, v9, v2
	v_max_f32_e32 v2, v2, v10
	v_min_f32_e32 v20, v2, v11
	v_and_b32_e32 v24, 0x7fffffff, v20
	s_mov_b32 s9, 0x43800000
	v_cmp_gt_u32_e32 vcc, s9, v24
	v_mov_b32_e32 v2, 0x80
	s_and_saveexec_b64 s[2:3], vcc
	s_cbranch_execz .LBB53_89
; %bb.84:
	s_mov_b32 s10, 0x3bffffff
	v_cmp_lt_u32_e32 vcc, s10, v24
	s_mov_b64 s[10:11], 0
                                        ; implicit-def: $vgpr24
	s_and_saveexec_b64 s[12:13], vcc
	s_xor_b64 s[12:13], exec, s[12:13]
	s_cbranch_execnz .LBB53_135
; %bb.85:
	s_or_saveexec_b64 s[12:13], s[12:13]
                                        ; implicit-def: $sgpr14
	s_xor_b64 exec, exec, s[12:13]
	s_cbranch_execnz .LBB53_136
.LBB53_86:
	s_or_b64 exec, exec, s[12:13]
	v_mov_b32_e32 v2, s14
	s_and_saveexec_b64 s[12:13], s[10:11]
.LBB53_87:
	v_lshrrev_b32_e32 v2, 24, v20
	s_movk_i32 s10, 0x80
	v_and_or_b32 v2, v2, s10, v24
.LBB53_88:
	s_or_b64 exec, exec, s[12:13]
.LBB53_89:
	s_or_b64 exec, exec, s[2:3]
	v_lshlrev_b32_e32 v17, 16, v17
	v_mul_f32_e32 v17, v9, v17
	v_max_f32_e32 v17, v17, v10
	v_min_f32_e32 v20, v17, v11
	v_and_b32_e32 v24, 0x7fffffff, v20
	v_cmp_gt_u32_e32 vcc, s9, v24
	v_mov_b32_e32 v17, 0x8000
	s_and_saveexec_b64 s[2:3], vcc
	s_cbranch_execz .LBB53_95
; %bb.90:
	s_mov_b32 s9, 0x3bffffff
	v_cmp_lt_u32_e32 vcc, s9, v24
	s_mov_b64 s[10:11], 0
                                        ; implicit-def: $vgpr24
	s_and_saveexec_b64 s[12:13], vcc
	s_xor_b64 s[12:13], exec, s[12:13]
	s_cbranch_execnz .LBB53_137
; %bb.91:
	s_or_saveexec_b64 s[12:13], s[12:13]
                                        ; implicit-def: $sgpr9
	s_xor_b64 exec, exec, s[12:13]
	s_cbranch_execnz .LBB53_138
.LBB53_92:
	s_or_b64 exec, exec, s[12:13]
	v_mov_b32_e32 v17, s9
	s_and_saveexec_b64 s[12:13], s[10:11]
.LBB53_93:
	v_lshrrev_b32_e32 v17, 24, v20
	s_movk_i32 s9, 0x80
	v_and_or_b32 v17, v17, s9, v24
	v_lshlrev_b32_e32 v17, 8, v17
.LBB53_94:
	s_or_b64 exec, exec, s[12:13]
.LBB53_95:
	s_or_b64 exec, exec, s[2:3]
	v_lshlrev_b32_e32 v3, 16, v3
	v_mul_f32_e32 v3, v9, v3
	v_max_f32_e32 v3, v3, v10
	v_min_f32_e32 v20, v3, v11
	v_and_b32_e32 v24, 0x7fffffff, v20
	s_mov_b32 s9, 0x43800000
	v_cmp_gt_u32_e32 vcc, s9, v24
	v_mov_b32_e32 v3, 0x800000
	s_and_saveexec_b64 s[2:3], vcc
	s_cbranch_execz .LBB53_101
; %bb.96:
	s_mov_b32 s10, 0x3bffffff
	v_cmp_lt_u32_e32 vcc, s10, v24
	s_mov_b64 s[10:11], 0
                                        ; implicit-def: $vgpr24
	s_and_saveexec_b64 s[12:13], vcc
	s_xor_b64 s[12:13], exec, s[12:13]
	s_cbranch_execnz .LBB53_139
; %bb.97:
	s_or_saveexec_b64 s[12:13], s[12:13]
                                        ; implicit-def: $sgpr14
	s_xor_b64 exec, exec, s[12:13]
	s_cbranch_execnz .LBB53_140
.LBB53_98:
	s_or_b64 exec, exec, s[12:13]
	v_mov_b32_e32 v3, s14
	s_and_saveexec_b64 s[12:13], s[10:11]
.LBB53_99:
	v_lshrrev_b32_e32 v3, 24, v20
	s_movk_i32 s10, 0x80
	v_and_or_b32 v3, v3, s10, v24
	v_lshlrev_b32_e32 v3, 16, v3
.LBB53_100:
	s_or_b64 exec, exec, s[12:13]
.LBB53_101:
	s_or_b64 exec, exec, s[2:3]
	v_lshlrev_b32_e32 v15, 16, v15
	v_mul_f32_e32 v9, v9, v15
	v_max_f32_e32 v9, v9, v10
	v_min_f32_e32 v9, v9, v11
	v_and_b32_e32 v10, 0x7fffffff, v9
	v_cmp_gt_u32_e32 vcc, s9, v10
	v_bfrev_b32_e32 v11, 1
	s_and_saveexec_b64 s[2:3], vcc
	s_cbranch_execz .LBB53_107
; %bb.102:
	s_mov_b32 s9, 0x3bffffff
	v_cmp_lt_u32_e32 vcc, s9, v10
	s_mov_b64 s[10:11], 0
                                        ; implicit-def: $vgpr10
	s_and_saveexec_b64 s[12:13], vcc
	s_xor_b64 s[12:13], exec, s[12:13]
	s_cbranch_execnz .LBB53_141
; %bb.103:
	s_or_saveexec_b64 s[12:13], s[12:13]
                                        ; implicit-def: $sgpr9
	s_xor_b64 exec, exec, s[12:13]
	s_cbranch_execnz .LBB53_142
.LBB53_104:
	s_or_b64 exec, exec, s[12:13]
	v_mov_b32_e32 v11, s9
	s_and_saveexec_b64 s[12:13], s[10:11]
.LBB53_105:
	v_lshlrev_b32_e32 v10, 24, v10
	s_brev_b32 s9, 1
	v_and_or_b32 v11, v9, s9, v10
.LBB53_106:
	s_or_b64 exec, exec, s[12:13]
.LBB53_107:
	s_or_b64 exec, exec, s[2:3]
	v_lshlrev_b32_e32 v9, 8, v22
	s_mov_b32 s2, 0xc0c0500
	v_perm_b32 v0, v9, v0, s2
	v_or3_b32 v10, v1, v0, v18
	v_lshlrev_b32_e32 v0, 8, v21
	v_perm_b32 v0, v0, v6, s2
	v_lshlrev_b32_e32 v1, 16, v23
	s_mov_b32 s3, 0xff0000
	v_and_or_b32 v0, v1, s3, v0
	v_lshl_or_b32 v9, v7, 24, v0
	v_lshlrev_b32_e32 v0, 8, v4
	v_perm_b32 v0, v0, v8, s2
	v_lshlrev_b32_e32 v1, 16, v19
	v_or_b32_e32 v2, v17, v2
	v_and_or_b32 v0, v1, s3, v0
	v_lshl_or_b32 v8, v5, 24, v0
	v_or3_b32 v11, v3, v2, v11
	s_or_b64 s[6:7], s[6:7], exec
.LBB53_108:
	s_or_b64 exec, exec, s[0:1]
	s_and_b64 exec, exec, s[6:7]
	s_cbranch_execz .LBB53_110
; %bb.109:
	s_load_dwordx2 s[0:1], s[4:5], 0x8
	v_alignbit_b32 v0, v16, v12, 25
	s_ashr_i32 s2, s8, 31
	v_lshlrev_b32_e32 v2, 7, v12
	v_mul_lo_u32 v4, v0, s8
	s_waitcnt lgkmcnt(0)
	v_pk_mov_b32 v[0:1], s[0:1], s[0:1] op_sel:[0,1]
	v_mul_lo_u32 v3, v2, s2
	v_mad_u64_u32 v[0:1], s[0:1], v2, s8, v[0:1]
	v_add3_u32 v1, v4, v1, v3
	v_ashrrev_i32_e32 v2, 31, v14
	v_add_co_u32_e32 v0, vcc, v0, v14
	v_addc_co_u32_e32 v1, vcc, v1, v2, vcc
	v_lshlrev_b32_e32 v2, 4, v13
	v_add_co_u32_e32 v0, vcc, v0, v2
	v_addc_co_u32_e32 v1, vcc, 0, v1, vcc
	global_store_dwordx4 v[0:1], v[8:11], off
.LBB53_110:
	s_endpgm
.LBB53_111:
	v_bfe_u32 v8, v24, 20, 1
	s_mov_b32 s14, 0x487ffff
	v_add3_u32 v8, v24, v8, s14
	s_mov_b64 s[10:11], exec
	v_lshrrev_b32_e32 v25, 20, v8
	s_or_saveexec_b64 s[12:13], s[12:13]
                                        ; implicit-def: $sgpr14
	s_xor_b64 exec, exec, s[12:13]
	s_cbranch_execz .LBB53_14
.LBB53_112:
	s_mov_b32 s14, 0x46000000
	v_add_f32_e64 v8, |v24|, s14
	v_and_b32_e32 v25, 0xff, v8
	v_cmp_ne_u32_e32 vcc, 0, v25
	s_andn2_b64 s[10:11], s[10:11], exec
	s_and_b64 s[16:17], vcc, exec
	s_mov_b32 s14, 0
	s_or_b64 s[10:11], s[10:11], s[16:17]
	s_or_b64 exec, exec, s[12:13]
	v_mov_b32_e32 v8, s14
	s_and_saveexec_b64 s[12:13], s[10:11]
	s_cbranch_execnz .LBB53_15
	s_branch .LBB53_16
.LBB53_113:
	v_bfe_u32 v4, v19, 20, 1
	s_mov_b32 s9, 0x487ffff
	v_add3_u32 v4, v19, v4, s9
	s_mov_b64 s[10:11], exec
	v_lshrrev_b32_e32 v24, 20, v4
	s_or_saveexec_b64 s[12:13], s[12:13]
                                        ; implicit-def: $sgpr9
	s_xor_b64 exec, exec, s[12:13]
	s_cbranch_execz .LBB53_20
.LBB53_114:
	s_mov_b32 s9, 0x46000000
	v_add_f32_e64 v4, |v19|, s9
	v_and_b32_e32 v24, 0xff, v4
	v_cmp_ne_u32_e32 vcc, 0, v24
	s_andn2_b64 s[10:11], s[10:11], exec
	s_and_b64 s[14:15], vcc, exec
	s_mov_b32 s9, 0
	s_or_b64 s[10:11], s[10:11], s[14:15]
	s_or_b64 exec, exec, s[12:13]
	v_mov_b32_e32 v4, s9
	s_and_saveexec_b64 s[12:13], s[10:11]
	s_cbranch_execnz .LBB53_21
	s_branch .LBB53_22
.LBB53_115:
	v_bfe_u32 v19, v24, 20, 1
	s_mov_b32 s14, 0x487ffff
	v_add3_u32 v19, v24, v19, s14
	s_mov_b64 s[10:11], exec
	v_lshrrev_b32_e32 v25, 20, v19
	s_or_saveexec_b64 s[12:13], s[12:13]
                                        ; implicit-def: $sgpr14
	s_xor_b64 exec, exec, s[12:13]
	s_cbranch_execz .LBB53_26
.LBB53_116:
	s_mov_b32 s14, 0x46000000
	v_add_f32_e64 v19, |v24|, s14
	v_and_b32_e32 v25, 0xff, v19
	v_cmp_ne_u32_e32 vcc, 0, v25
	s_andn2_b64 s[10:11], s[10:11], exec
	s_and_b64 s[16:17], vcc, exec
	s_mov_b32 s14, 0
	s_or_b64 s[10:11], s[10:11], s[16:17]
	s_or_b64 exec, exec, s[12:13]
	v_mov_b32_e32 v19, s14
	s_and_saveexec_b64 s[12:13], s[10:11]
	s_cbranch_execnz .LBB53_27
	s_branch .LBB53_28
.LBB53_117:
	v_bfe_u32 v5, v21, 20, 1
	s_mov_b32 s9, 0x487ffff
	v_add3_u32 v5, v21, v5, s9
	s_mov_b64 s[10:11], exec
	v_lshrrev_b32_e32 v24, 20, v5
	s_or_saveexec_b64 s[12:13], s[12:13]
                                        ; implicit-def: $sgpr9
	s_xor_b64 exec, exec, s[12:13]
	s_cbranch_execz .LBB53_32
.LBB53_118:
	s_mov_b32 s9, 0x46000000
	v_add_f32_e64 v5, |v21|, s9
	v_and_b32_e32 v24, 0xff, v5
	v_cmp_ne_u32_e32 vcc, 0, v24
	s_andn2_b64 s[10:11], s[10:11], exec
	s_and_b64 s[14:15], vcc, exec
	s_mov_b32 s9, 0
	s_or_b64 s[10:11], s[10:11], s[14:15]
	s_or_b64 exec, exec, s[12:13]
	v_mov_b32_e32 v5, s9
	s_and_saveexec_b64 s[12:13], s[10:11]
	s_cbranch_execnz .LBB53_33
	s_branch .LBB53_34
.LBB53_119:
	v_bfe_u32 v6, v24, 20, 1
	s_mov_b32 s14, 0x487ffff
	v_add3_u32 v6, v24, v6, s14
	s_mov_b64 s[10:11], exec
	v_lshrrev_b32_e32 v25, 20, v6
	s_or_saveexec_b64 s[12:13], s[12:13]
                                        ; implicit-def: $sgpr14
	s_xor_b64 exec, exec, s[12:13]
	s_cbranch_execz .LBB53_38
.LBB53_120:
	s_mov_b32 s14, 0x46000000
	v_add_f32_e64 v6, |v24|, s14
	v_and_b32_e32 v25, 0xff, v6
	v_cmp_ne_u32_e32 vcc, 0, v25
	s_andn2_b64 s[10:11], s[10:11], exec
	s_and_b64 s[16:17], vcc, exec
	s_mov_b32 s14, 0
	s_or_b64 s[10:11], s[10:11], s[16:17]
	s_or_b64 exec, exec, s[12:13]
	v_mov_b32_e32 v6, s14
	s_and_saveexec_b64 s[12:13], s[10:11]
	s_cbranch_execnz .LBB53_39
	s_branch .LBB53_40
.LBB53_121:
	v_bfe_u32 v21, v23, 20, 1
	s_mov_b32 s9, 0x487ffff
	v_add3_u32 v21, v23, v21, s9
	s_mov_b64 s[10:11], exec
	v_lshrrev_b32_e32 v24, 20, v21
	s_or_saveexec_b64 s[12:13], s[12:13]
                                        ; implicit-def: $sgpr9
	s_xor_b64 exec, exec, s[12:13]
	s_cbranch_execz .LBB53_44
.LBB53_122:
	s_mov_b32 s9, 0x46000000
	v_add_f32_e64 v21, |v23|, s9
	v_and_b32_e32 v24, 0xff, v21
	v_cmp_ne_u32_e32 vcc, 0, v24
	s_andn2_b64 s[10:11], s[10:11], exec
	s_and_b64 s[14:15], vcc, exec
	s_mov_b32 s9, 0
	s_or_b64 s[10:11], s[10:11], s[14:15]
	s_or_b64 exec, exec, s[12:13]
	v_mov_b32_e32 v21, s9
	s_and_saveexec_b64 s[12:13], s[10:11]
	s_cbranch_execnz .LBB53_45
	s_branch .LBB53_46
.LBB53_123:
	v_bfe_u32 v23, v24, 20, 1
	s_mov_b32 s14, 0x487ffff
	v_add3_u32 v23, v24, v23, s14
	s_mov_b64 s[10:11], exec
	v_lshrrev_b32_e32 v25, 20, v23
	s_or_saveexec_b64 s[12:13], s[12:13]
                                        ; implicit-def: $sgpr14
	s_xor_b64 exec, exec, s[12:13]
	s_cbranch_execz .LBB53_50
.LBB53_124:
	s_mov_b32 s14, 0x46000000
	v_add_f32_e64 v23, |v24|, s14
	v_and_b32_e32 v25, 0xff, v23
	v_cmp_ne_u32_e32 vcc, 0, v25
	s_andn2_b64 s[10:11], s[10:11], exec
	s_and_b64 s[16:17], vcc, exec
	s_mov_b32 s14, 0
	s_or_b64 s[10:11], s[10:11], s[16:17]
	s_or_b64 exec, exec, s[12:13]
	v_mov_b32_e32 v23, s14
	s_and_saveexec_b64 s[12:13], s[10:11]
	s_cbranch_execnz .LBB53_51
	s_branch .LBB53_52
.LBB53_125:
	v_bfe_u32 v7, v22, 20, 1
	s_mov_b32 s9, 0x487ffff
	v_add3_u32 v7, v22, v7, s9
	s_mov_b64 s[10:11], exec
	v_lshrrev_b32_e32 v24, 20, v7
	s_or_saveexec_b64 s[12:13], s[12:13]
                                        ; implicit-def: $sgpr9
	s_xor_b64 exec, exec, s[12:13]
	s_cbranch_execz .LBB53_56
.LBB53_126:
	s_mov_b32 s9, 0x46000000
	v_add_f32_e64 v7, |v22|, s9
	v_and_b32_e32 v24, 0xff, v7
	v_cmp_ne_u32_e32 vcc, 0, v24
	s_andn2_b64 s[10:11], s[10:11], exec
	s_and_b64 s[14:15], vcc, exec
	s_mov_b32 s9, 0
	s_or_b64 s[10:11], s[10:11], s[14:15]
	s_or_b64 exec, exec, s[12:13]
	v_mov_b32_e32 v7, s9
	s_and_saveexec_b64 s[12:13], s[10:11]
	s_cbranch_execnz .LBB53_57
	s_branch .LBB53_58
.LBB53_127:
	v_bfe_u32 v0, v24, 20, 1
	s_mov_b32 s14, 0x487ffff
	v_add3_u32 v0, v24, v0, s14
	s_mov_b64 s[10:11], exec
	v_lshrrev_b32_e32 v25, 20, v0
	s_or_saveexec_b64 s[12:13], s[12:13]
                                        ; implicit-def: $sgpr14
	s_xor_b64 exec, exec, s[12:13]
	s_cbranch_execz .LBB53_62
.LBB53_128:
	s_mov_b32 s14, 0x46000000
	v_add_f32_e64 v0, |v24|, s14
	v_and_b32_e32 v25, 0xff, v0
	v_cmp_ne_u32_e32 vcc, 0, v25
	s_andn2_b64 s[10:11], s[10:11], exec
	s_and_b64 s[16:17], vcc, exec
	s_mov_b32 s14, 0
	s_or_b64 s[10:11], s[10:11], s[16:17]
	s_or_b64 exec, exec, s[12:13]
	v_mov_b32_e32 v0, s14
	s_and_saveexec_b64 s[12:13], s[10:11]
	s_cbranch_execnz .LBB53_63
	s_branch .LBB53_64
.LBB53_129:
	v_bfe_u32 v22, v20, 20, 1
	s_mov_b32 s9, 0x487ffff
	v_add3_u32 v22, v20, v22, s9
	s_mov_b64 s[10:11], exec
	v_lshrrev_b32_e32 v24, 20, v22
	s_or_saveexec_b64 s[12:13], s[12:13]
                                        ; implicit-def: $sgpr9
	s_xor_b64 exec, exec, s[12:13]
	s_cbranch_execz .LBB53_68
.LBB53_130:
	s_mov_b32 s9, 0x46000000
	v_add_f32_e64 v22, |v20|, s9
	v_and_b32_e32 v24, 0xff, v22
	v_cmp_ne_u32_e32 vcc, 0, v24
	s_andn2_b64 s[10:11], s[10:11], exec
	s_and_b64 s[14:15], vcc, exec
	s_mov_b32 s9, 0
	s_or_b64 s[10:11], s[10:11], s[14:15]
	s_or_b64 exec, exec, s[12:13]
	v_mov_b32_e32 v22, s9
	s_and_saveexec_b64 s[12:13], s[10:11]
	s_cbranch_execnz .LBB53_69
	s_branch .LBB53_70
.LBB53_131:
	v_bfe_u32 v1, v20, 20, 1
	s_mov_b32 s14, 0x487ffff
	v_add3_u32 v1, v20, v1, s14
	s_mov_b64 s[10:11], exec
	v_lshrrev_b32_e32 v24, 20, v1
	s_or_saveexec_b64 s[12:13], s[12:13]
                                        ; implicit-def: $sgpr14
	s_xor_b64 exec, exec, s[12:13]
	s_cbranch_execz .LBB53_74
.LBB53_132:
	s_mov_b32 s14, 0x46000000
	v_add_f32_e64 v1, |v20|, s14
	v_and_b32_e32 v24, 0xff, v1
	v_cmp_ne_u32_e32 vcc, 0, v24
	s_andn2_b64 s[10:11], s[10:11], exec
	s_and_b64 s[16:17], vcc, exec
	s_mov_b32 s14, 0
	s_or_b64 s[10:11], s[10:11], s[16:17]
	s_or_b64 exec, exec, s[12:13]
	v_mov_b32_e32 v1, s14
	s_and_saveexec_b64 s[12:13], s[10:11]
	s_cbranch_execnz .LBB53_75
	s_branch .LBB53_76
.LBB53_133:
	v_bfe_u32 v18, v20, 20, 1
	s_mov_b32 s9, 0x487ffff
	v_add3_u32 v18, v20, v18, s9
	s_mov_b64 s[10:11], exec
	v_lshrrev_b32_e32 v24, 20, v18
	s_or_saveexec_b64 s[12:13], s[12:13]
                                        ; implicit-def: $sgpr9
	s_xor_b64 exec, exec, s[12:13]
	s_cbranch_execz .LBB53_80
.LBB53_134:
	s_mov_b32 s9, 0x46000000
	v_add_f32_e64 v18, |v20|, s9
	v_and_b32_e32 v24, 0xff, v18
	v_cmp_ne_u32_e32 vcc, 0, v24
	s_andn2_b64 s[10:11], s[10:11], exec
	s_and_b64 s[14:15], vcc, exec
	s_mov_b32 s9, 0
	s_or_b64 s[10:11], s[10:11], s[14:15]
	s_or_b64 exec, exec, s[12:13]
	v_mov_b32_e32 v18, s9
	s_and_saveexec_b64 s[12:13], s[10:11]
	s_cbranch_execnz .LBB53_81
	s_branch .LBB53_82
.LBB53_135:
	v_bfe_u32 v2, v20, 20, 1
	s_mov_b32 s14, 0x487ffff
	v_add3_u32 v2, v20, v2, s14
	s_mov_b64 s[10:11], exec
	v_bfe_u32 v24, v2, 20, 8
	s_or_saveexec_b64 s[12:13], s[12:13]
                                        ; implicit-def: $sgpr14
	s_xor_b64 exec, exec, s[12:13]
	s_cbranch_execz .LBB53_86
.LBB53_136:
	s_mov_b32 s14, 0x46000000
	v_add_f32_e64 v2, |v20|, s14
	v_and_b32_e32 v24, 0xff, v2
	v_cmp_ne_u32_e32 vcc, 0, v24
	s_andn2_b64 s[10:11], s[10:11], exec
	s_and_b64 s[16:17], vcc, exec
	s_mov_b32 s14, 0
	s_or_b64 s[10:11], s[10:11], s[16:17]
	s_or_b64 exec, exec, s[12:13]
	v_mov_b32_e32 v2, s14
	s_and_saveexec_b64 s[12:13], s[10:11]
	s_cbranch_execnz .LBB53_87
	s_branch .LBB53_88
.LBB53_137:
	v_bfe_u32 v17, v20, 20, 1
	s_mov_b32 s9, 0x487ffff
	v_add3_u32 v17, v20, v17, s9
	s_mov_b64 s[10:11], exec
	v_bfe_u32 v24, v17, 20, 8
	s_or_saveexec_b64 s[12:13], s[12:13]
                                        ; implicit-def: $sgpr9
	s_xor_b64 exec, exec, s[12:13]
	s_cbranch_execz .LBB53_92
.LBB53_138:
	s_mov_b32 s9, 0x46000000
	v_add_f32_e64 v17, |v20|, s9
	v_and_b32_e32 v24, 0xff, v17
	v_cmp_ne_u32_e32 vcc, 0, v24
	s_andn2_b64 s[10:11], s[10:11], exec
	s_and_b64 s[14:15], vcc, exec
	s_mov_b32 s9, 0
	s_or_b64 s[10:11], s[10:11], s[14:15]
	s_or_b64 exec, exec, s[12:13]
	v_mov_b32_e32 v17, s9
	s_and_saveexec_b64 s[12:13], s[10:11]
	s_cbranch_execnz .LBB53_93
	s_branch .LBB53_94
.LBB53_139:
	v_bfe_u32 v3, v20, 20, 1
	s_mov_b32 s14, 0x487ffff
	v_add3_u32 v3, v20, v3, s14
	s_mov_b64 s[10:11], exec
	v_bfe_u32 v24, v3, 20, 8
	s_or_saveexec_b64 s[12:13], s[12:13]
                                        ; implicit-def: $sgpr14
	s_xor_b64 exec, exec, s[12:13]
	s_cbranch_execz .LBB53_98
.LBB53_140:
	s_mov_b32 s14, 0x46000000
	v_add_f32_e64 v3, |v20|, s14
	v_and_b32_e32 v24, 0xff, v3
	v_cmp_ne_u32_e32 vcc, 0, v24
	s_andn2_b64 s[10:11], s[10:11], exec
	s_and_b64 s[16:17], vcc, exec
	s_mov_b32 s14, 0
	s_or_b64 s[10:11], s[10:11], s[16:17]
	s_or_b64 exec, exec, s[12:13]
	v_mov_b32_e32 v3, s14
	s_and_saveexec_b64 s[12:13], s[10:11]
	s_cbranch_execnz .LBB53_99
	s_branch .LBB53_100
.LBB53_141:
	v_bfe_u32 v10, v9, 20, 1
	s_mov_b32 s9, 0x487ffff
	v_add3_u32 v10, v9, v10, s9
	s_mov_b64 s[10:11], exec
	v_bfe_u32 v10, v10, 20, 8
	s_or_saveexec_b64 s[12:13], s[12:13]
                                        ; implicit-def: $sgpr9
	s_xor_b64 exec, exec, s[12:13]
	s_cbranch_execz .LBB53_104
.LBB53_142:
	s_mov_b32 s9, 0x46000000
	v_add_f32_e64 v10, |v9|, s9
	v_and_b32_e32 v10, 0xff, v10
	v_cmp_ne_u32_e32 vcc, 0, v10
	s_andn2_b64 s[10:11], s[10:11], exec
	s_and_b64 s[14:15], vcc, exec
	s_mov_b32 s9, 0
	s_or_b64 s[10:11], s[10:11], s[14:15]
	s_or_b64 exec, exec, s[12:13]
	v_mov_b32_e32 v11, s9
	s_and_saveexec_b64 s[12:13], s[10:11]
	s_cbranch_execnz .LBB53_105
	s_branch .LBB53_106
	.section	.rodata,"a",@progbits
	.p2align	6, 0x0
	.amdhsa_kernel _Z49per_token_group_quant_8bit_packed_register_kernelIN3c108BFloat16ENS0_15Float8_e4m3fnuzELi128ELi4ELi4EEvPKT_PvPjiiiiilfff
		.amdhsa_group_segment_fixed_size 0
		.amdhsa_private_segment_fixed_size 0
		.amdhsa_kernarg_size 68
		.amdhsa_user_sgpr_count 6
		.amdhsa_user_sgpr_private_segment_buffer 1
		.amdhsa_user_sgpr_dispatch_ptr 0
		.amdhsa_user_sgpr_queue_ptr 0
		.amdhsa_user_sgpr_kernarg_segment_ptr 1
		.amdhsa_user_sgpr_dispatch_id 0
		.amdhsa_user_sgpr_flat_scratch_init 0
		.amdhsa_user_sgpr_kernarg_preload_length 0
		.amdhsa_user_sgpr_kernarg_preload_offset 0
		.amdhsa_user_sgpr_private_segment_size 0
		.amdhsa_uses_dynamic_stack 0
		.amdhsa_system_sgpr_private_segment_wavefront_offset 0
		.amdhsa_system_sgpr_workgroup_id_x 1
		.amdhsa_system_sgpr_workgroup_id_y 1
		.amdhsa_system_sgpr_workgroup_id_z 0
		.amdhsa_system_sgpr_workgroup_info 0
		.amdhsa_system_vgpr_workitem_id 0
		.amdhsa_next_free_vgpr 36
		.amdhsa_next_free_sgpr 24
		.amdhsa_accum_offset 36
		.amdhsa_reserve_vcc 1
		.amdhsa_reserve_flat_scratch 0
		.amdhsa_float_round_mode_32 0
		.amdhsa_float_round_mode_16_64 0
		.amdhsa_float_denorm_mode_32 3
		.amdhsa_float_denorm_mode_16_64 3
		.amdhsa_dx10_clamp 1
		.amdhsa_ieee_mode 1
		.amdhsa_fp16_overflow 0
		.amdhsa_tg_split 0
		.amdhsa_exception_fp_ieee_invalid_op 0
		.amdhsa_exception_fp_denorm_src 0
		.amdhsa_exception_fp_ieee_div_zero 0
		.amdhsa_exception_fp_ieee_overflow 0
		.amdhsa_exception_fp_ieee_underflow 0
		.amdhsa_exception_fp_ieee_inexact 0
		.amdhsa_exception_int_div_zero 0
	.end_amdhsa_kernel
	.section	.text._Z49per_token_group_quant_8bit_packed_register_kernelIN3c108BFloat16ENS0_15Float8_e4m3fnuzELi128ELi4ELi4EEvPKT_PvPjiiiiilfff,"axG",@progbits,_Z49per_token_group_quant_8bit_packed_register_kernelIN3c108BFloat16ENS0_15Float8_e4m3fnuzELi128ELi4ELi4EEvPKT_PvPjiiiiilfff,comdat
.Lfunc_end53:
	.size	_Z49per_token_group_quant_8bit_packed_register_kernelIN3c108BFloat16ENS0_15Float8_e4m3fnuzELi128ELi4ELi4EEvPKT_PvPjiiiiilfff, .Lfunc_end53-_Z49per_token_group_quant_8bit_packed_register_kernelIN3c108BFloat16ENS0_15Float8_e4m3fnuzELi128ELi4ELi4EEvPKT_PvPjiiiiilfff
                                        ; -- End function
	.section	.AMDGPU.csdata,"",@progbits
; Kernel info:
; codeLenInByte = 4960
; NumSgprs: 28
; NumVgprs: 36
; NumAgprs: 0
; TotalNumVgprs: 36
; ScratchSize: 0
; MemoryBound: 0
; FloatMode: 240
; IeeeMode: 1
; LDSByteSize: 0 bytes/workgroup (compile time only)
; SGPRBlocks: 3
; VGPRBlocks: 4
; NumSGPRsForWavesPerEU: 28
; NumVGPRsForWavesPerEU: 36
; AccumOffset: 36
; Occupancy: 8
; WaveLimiterHint : 0
; COMPUTE_PGM_RSRC2:SCRATCH_EN: 0
; COMPUTE_PGM_RSRC2:USER_SGPR: 6
; COMPUTE_PGM_RSRC2:TRAP_HANDLER: 0
; COMPUTE_PGM_RSRC2:TGID_X_EN: 1
; COMPUTE_PGM_RSRC2:TGID_Y_EN: 1
; COMPUTE_PGM_RSRC2:TGID_Z_EN: 0
; COMPUTE_PGM_RSRC2:TIDIG_COMP_CNT: 0
; COMPUTE_PGM_RSRC3_GFX90A:ACCUM_OFFSET: 8
; COMPUTE_PGM_RSRC3_GFX90A:TG_SPLIT: 0
	.text
	.p2alignl 6, 3212836864
	.fill 256, 4, 3212836864
	.type	__hip_cuid_ba19045eec126d18,@object ; @__hip_cuid_ba19045eec126d18
	.section	.bss,"aw",@nobits
	.globl	__hip_cuid_ba19045eec126d18
__hip_cuid_ba19045eec126d18:
	.byte	0                               ; 0x0
	.size	__hip_cuid_ba19045eec126d18, 1

	.ident	"AMD clang version 19.0.0git (https://github.com/RadeonOpenCompute/llvm-project roc-6.4.0 25133 c7fe45cf4b819c5991fe208aaa96edf142730f1d)"
	.section	".note.GNU-stack","",@progbits
	.addrsig
	.addrsig_sym smem_raw
	.addrsig_sym __hip_cuid_ba19045eec126d18
	.amdgpu_metadata
---
amdhsa.kernels:
  - .agpr_count:     0
    .args:
      - .address_space:  global
        .offset:         0
        .size:           8
        .value_kind:     global_buffer
      - .actual_access:  write_only
        .address_space:  global
        .offset:         8
        .size:           8
        .value_kind:     global_buffer
      - .actual_access:  write_only
        .address_space:  global
        .offset:         16
        .size:           8
        .value_kind:     global_buffer
      - .offset:         24
        .size:           4
        .value_kind:     by_value
      - .offset:         28
        .size:           4
        .value_kind:     by_value
      - .offset:         32
        .size:           4
        .value_kind:     by_value
      - .offset:         36
        .size:           4
        .value_kind:     by_value
      - .offset:         40
        .size:           4
        .value_kind:     by_value
      - .offset:         44
        .size:           4
        .value_kind:     by_value
      - .offset:         48
        .size:           4
        .value_kind:     by_value
      - .offset:         52
        .size:           4
        .value_kind:     by_value
    .group_segment_fixed_size: 0
    .kernarg_segment_align: 8
    .kernarg_segment_size: 56
    .language:       OpenCL C
    .language_version:
      - 2
      - 0
    .max_flat_workgroup_size: 1024
    .name:           _Z33per_token_group_quant_8bit_kernelIfaLb1ELb1EfEvPKT_PvPT3_iiifffii
    .private_segment_fixed_size: 0
    .sgpr_count:     25
    .sgpr_spill_count: 0
    .symbol:         _Z33per_token_group_quant_8bit_kernelIfaLb1ELb1EfEvPKT_PvPT3_iiifffii.kd
    .uniform_work_group_size: 1
    .uses_dynamic_stack: false
    .vgpr_count:     41
    .vgpr_spill_count: 0
    .wavefront_size: 64
  - .agpr_count:     0
    .args:
      - .address_space:  global
        .offset:         0
        .size:           8
        .value_kind:     global_buffer
      - .actual_access:  write_only
        .address_space:  global
        .offset:         8
        .size:           8
        .value_kind:     global_buffer
      - .actual_access:  write_only
        .address_space:  global
        .offset:         16
        .size:           8
        .value_kind:     global_buffer
      - .offset:         24
        .size:           4
        .value_kind:     by_value
      - .offset:         28
        .size:           4
        .value_kind:     by_value
      - .offset:         32
        .size:           4
        .value_kind:     by_value
      - .offset:         36
        .size:           4
        .value_kind:     by_value
      - .offset:         40
        .size:           4
        .value_kind:     by_value
      - .offset:         44
        .size:           4
        .value_kind:     by_value
      - .offset:         48
        .size:           4
        .value_kind:     by_value
      - .offset:         52
        .size:           4
        .value_kind:     by_value
    .group_segment_fixed_size: 0
    .kernarg_segment_align: 8
    .kernarg_segment_size: 56
    .language:       OpenCL C
    .language_version:
      - 2
      - 0
    .max_flat_workgroup_size: 1024
    .name:           _Z33per_token_group_quant_8bit_kernelIfaLb1ELb0EfEvPKT_PvPT3_iiifffii
    .private_segment_fixed_size: 0
    .sgpr_count:     25
    .sgpr_spill_count: 0
    .symbol:         _Z33per_token_group_quant_8bit_kernelIfaLb1ELb0EfEvPKT_PvPT3_iiifffii.kd
    .uniform_work_group_size: 1
    .uses_dynamic_stack: false
    .vgpr_count:     41
    .vgpr_spill_count: 0
    .wavefront_size: 64
  - .agpr_count:     0
    .args:
      - .address_space:  global
        .offset:         0
        .size:           8
        .value_kind:     global_buffer
      - .actual_access:  write_only
        .address_space:  global
        .offset:         8
        .size:           8
        .value_kind:     global_buffer
      - .actual_access:  write_only
        .address_space:  global
        .offset:         16
        .size:           8
        .value_kind:     global_buffer
      - .offset:         24
        .size:           4
        .value_kind:     by_value
      - .offset:         28
        .size:           4
        .value_kind:     by_value
      - .offset:         32
        .size:           4
        .value_kind:     by_value
      - .offset:         36
        .size:           4
        .value_kind:     by_value
      - .offset:         40
        .size:           4
        .value_kind:     by_value
      - .offset:         44
        .size:           4
        .value_kind:     by_value
      - .offset:         48
        .size:           4
        .value_kind:     by_value
      - .offset:         52
        .size:           4
        .value_kind:     by_value
    .group_segment_fixed_size: 0
    .kernarg_segment_align: 8
    .kernarg_segment_size: 56
    .language:       OpenCL C
    .language_version:
      - 2
      - 0
    .max_flat_workgroup_size: 1024
    .name:           _Z33per_token_group_quant_8bit_kernelIfaLb0ELb1EfEvPKT_PvPT3_iiifffii
    .private_segment_fixed_size: 0
    .sgpr_count:     21
    .sgpr_spill_count: 0
    .symbol:         _Z33per_token_group_quant_8bit_kernelIfaLb0ELb1EfEvPKT_PvPT3_iiifffii.kd
    .uniform_work_group_size: 1
    .uses_dynamic_stack: false
    .vgpr_count:     41
    .vgpr_spill_count: 0
    .wavefront_size: 64
  - .agpr_count:     0
    .args:
      - .address_space:  global
        .offset:         0
        .size:           8
        .value_kind:     global_buffer
      - .actual_access:  write_only
        .address_space:  global
        .offset:         8
        .size:           8
        .value_kind:     global_buffer
      - .actual_access:  write_only
        .address_space:  global
        .offset:         16
        .size:           8
        .value_kind:     global_buffer
      - .offset:         24
        .size:           4
        .value_kind:     by_value
      - .offset:         28
        .size:           4
        .value_kind:     by_value
      - .offset:         32
        .size:           4
        .value_kind:     by_value
      - .offset:         36
        .size:           4
        .value_kind:     by_value
      - .offset:         40
        .size:           4
        .value_kind:     by_value
      - .offset:         44
        .size:           4
        .value_kind:     by_value
      - .offset:         48
        .size:           4
        .value_kind:     by_value
      - .offset:         52
        .size:           4
        .value_kind:     by_value
    .group_segment_fixed_size: 0
    .kernarg_segment_align: 8
    .kernarg_segment_size: 56
    .language:       OpenCL C
    .language_version:
      - 2
      - 0
    .max_flat_workgroup_size: 1024
    .name:           _Z33per_token_group_quant_8bit_kernelIfaLb0ELb0EfEvPKT_PvPT3_iiifffii
    .private_segment_fixed_size: 0
    .sgpr_count:     21
    .sgpr_spill_count: 0
    .symbol:         _Z33per_token_group_quant_8bit_kernelIfaLb0ELb0EfEvPKT_PvPT3_iiifffii.kd
    .uniform_work_group_size: 1
    .uses_dynamic_stack: false
    .vgpr_count:     41
    .vgpr_spill_count: 0
    .wavefront_size: 64
  - .agpr_count:     0
    .args:
      - .address_space:  global
        .offset:         0
        .size:           8
        .value_kind:     global_buffer
      - .actual_access:  write_only
        .address_space:  global
        .offset:         8
        .size:           8
        .value_kind:     global_buffer
      - .actual_access:  write_only
        .address_space:  global
        .offset:         16
        .size:           8
        .value_kind:     global_buffer
      - .offset:         24
        .size:           4
        .value_kind:     by_value
      - .offset:         28
        .size:           4
        .value_kind:     by_value
      - .offset:         32
        .size:           4
        .value_kind:     by_value
      - .offset:         36
        .size:           4
        .value_kind:     by_value
      - .offset:         40
        .size:           4
        .value_kind:     by_value
      - .offset:         44
        .size:           4
        .value_kind:     by_value
      - .offset:         48
        .size:           4
        .value_kind:     by_value
      - .offset:         52
        .size:           4
        .value_kind:     by_value
    .group_segment_fixed_size: 0
    .kernarg_segment_align: 8
    .kernarg_segment_size: 56
    .language:       OpenCL C
    .language_version:
      - 2
      - 0
    .max_flat_workgroup_size: 1024
    .name:           _Z33per_token_group_quant_8bit_kernelIfN3c1013Float8_e4m3fnELb1ELb1EfEvPKT_PvPT3_iiifffii
    .private_segment_fixed_size: 0
    .sgpr_count:     25
    .sgpr_spill_count: 0
    .symbol:         _Z33per_token_group_quant_8bit_kernelIfN3c1013Float8_e4m3fnELb1ELb1EfEvPKT_PvPT3_iiifffii.kd
    .uniform_work_group_size: 1
    .uses_dynamic_stack: false
    .vgpr_count:     56
    .vgpr_spill_count: 0
    .wavefront_size: 64
  - .agpr_count:     0
    .args:
      - .address_space:  global
        .offset:         0
        .size:           8
        .value_kind:     global_buffer
      - .actual_access:  write_only
        .address_space:  global
        .offset:         8
        .size:           8
        .value_kind:     global_buffer
      - .actual_access:  write_only
        .address_space:  global
        .offset:         16
        .size:           8
        .value_kind:     global_buffer
      - .offset:         24
        .size:           4
        .value_kind:     by_value
      - .offset:         28
        .size:           4
        .value_kind:     by_value
      - .offset:         32
        .size:           4
        .value_kind:     by_value
      - .offset:         36
        .size:           4
        .value_kind:     by_value
      - .offset:         40
        .size:           4
        .value_kind:     by_value
      - .offset:         44
        .size:           4
        .value_kind:     by_value
      - .offset:         48
        .size:           4
        .value_kind:     by_value
      - .offset:         52
        .size:           4
        .value_kind:     by_value
    .group_segment_fixed_size: 0
    .kernarg_segment_align: 8
    .kernarg_segment_size: 56
    .language:       OpenCL C
    .language_version:
      - 2
      - 0
    .max_flat_workgroup_size: 1024
    .name:           _Z33per_token_group_quant_8bit_kernelIfN3c1013Float8_e4m3fnELb1ELb0EfEvPKT_PvPT3_iiifffii
    .private_segment_fixed_size: 0
    .sgpr_count:     25
    .sgpr_spill_count: 0
    .symbol:         _Z33per_token_group_quant_8bit_kernelIfN3c1013Float8_e4m3fnELb1ELb0EfEvPKT_PvPT3_iiifffii.kd
    .uniform_work_group_size: 1
    .uses_dynamic_stack: false
    .vgpr_count:     56
    .vgpr_spill_count: 0
    .wavefront_size: 64
  - .agpr_count:     0
    .args:
      - .address_space:  global
        .offset:         0
        .size:           8
        .value_kind:     global_buffer
      - .actual_access:  write_only
        .address_space:  global
        .offset:         8
        .size:           8
        .value_kind:     global_buffer
      - .actual_access:  write_only
        .address_space:  global
        .offset:         16
        .size:           8
        .value_kind:     global_buffer
      - .offset:         24
        .size:           4
        .value_kind:     by_value
      - .offset:         28
        .size:           4
        .value_kind:     by_value
      - .offset:         32
        .size:           4
        .value_kind:     by_value
      - .offset:         36
        .size:           4
        .value_kind:     by_value
      - .offset:         40
        .size:           4
        .value_kind:     by_value
      - .offset:         44
        .size:           4
        .value_kind:     by_value
      - .offset:         48
        .size:           4
        .value_kind:     by_value
      - .offset:         52
        .size:           4
        .value_kind:     by_value
    .group_segment_fixed_size: 0
    .kernarg_segment_align: 8
    .kernarg_segment_size: 56
    .language:       OpenCL C
    .language_version:
      - 2
      - 0
    .max_flat_workgroup_size: 1024
    .name:           _Z33per_token_group_quant_8bit_kernelIfN3c1013Float8_e4m3fnELb0ELb1EfEvPKT_PvPT3_iiifffii
    .private_segment_fixed_size: 0
    .sgpr_count:     25
    .sgpr_spill_count: 0
    .symbol:         _Z33per_token_group_quant_8bit_kernelIfN3c1013Float8_e4m3fnELb0ELb1EfEvPKT_PvPT3_iiifffii.kd
    .uniform_work_group_size: 1
    .uses_dynamic_stack: false
    .vgpr_count:     56
    .vgpr_spill_count: 0
    .wavefront_size: 64
  - .agpr_count:     0
    .args:
      - .address_space:  global
        .offset:         0
        .size:           8
        .value_kind:     global_buffer
      - .actual_access:  write_only
        .address_space:  global
        .offset:         8
        .size:           8
        .value_kind:     global_buffer
      - .actual_access:  write_only
        .address_space:  global
        .offset:         16
        .size:           8
        .value_kind:     global_buffer
      - .offset:         24
        .size:           4
        .value_kind:     by_value
      - .offset:         28
        .size:           4
        .value_kind:     by_value
      - .offset:         32
        .size:           4
        .value_kind:     by_value
      - .offset:         36
        .size:           4
        .value_kind:     by_value
      - .offset:         40
        .size:           4
        .value_kind:     by_value
      - .offset:         44
        .size:           4
        .value_kind:     by_value
      - .offset:         48
        .size:           4
        .value_kind:     by_value
      - .offset:         52
        .size:           4
        .value_kind:     by_value
    .group_segment_fixed_size: 0
    .kernarg_segment_align: 8
    .kernarg_segment_size: 56
    .language:       OpenCL C
    .language_version:
      - 2
      - 0
    .max_flat_workgroup_size: 1024
    .name:           _Z33per_token_group_quant_8bit_kernelIfN3c1013Float8_e4m3fnELb0ELb0EfEvPKT_PvPT3_iiifffii
    .private_segment_fixed_size: 0
    .sgpr_count:     25
    .sgpr_spill_count: 0
    .symbol:         _Z33per_token_group_quant_8bit_kernelIfN3c1013Float8_e4m3fnELb0ELb0EfEvPKT_PvPT3_iiifffii.kd
    .uniform_work_group_size: 1
    .uses_dynamic_stack: false
    .vgpr_count:     56
    .vgpr_spill_count: 0
    .wavefront_size: 64
  - .agpr_count:     0
    .args:
      - .address_space:  global
        .offset:         0
        .size:           8
        .value_kind:     global_buffer
      - .actual_access:  write_only
        .address_space:  global
        .offset:         8
        .size:           8
        .value_kind:     global_buffer
      - .actual_access:  write_only
        .address_space:  global
        .offset:         16
        .size:           8
        .value_kind:     global_buffer
      - .offset:         24
        .size:           4
        .value_kind:     by_value
      - .offset:         28
        .size:           4
        .value_kind:     by_value
      - .offset:         32
        .size:           4
        .value_kind:     by_value
      - .offset:         36
        .size:           4
        .value_kind:     by_value
      - .offset:         40
        .size:           4
        .value_kind:     by_value
      - .offset:         44
        .size:           4
        .value_kind:     by_value
      - .offset:         48
        .size:           4
        .value_kind:     by_value
      - .offset:         52
        .size:           4
        .value_kind:     by_value
    .group_segment_fixed_size: 0
    .kernarg_segment_align: 8
    .kernarg_segment_size: 56
    .language:       OpenCL C
    .language_version:
      - 2
      - 0
    .max_flat_workgroup_size: 1024
    .name:           _Z33per_token_group_quant_8bit_kernelIfN3c1015Float8_e4m3fnuzELb1ELb1EfEvPKT_PvPT3_iiifffii
    .private_segment_fixed_size: 0
    .sgpr_count:     66
    .sgpr_spill_count: 0
    .symbol:         _Z33per_token_group_quant_8bit_kernelIfN3c1015Float8_e4m3fnuzELb1ELb1EfEvPKT_PvPT3_iiifffii.kd
    .uniform_work_group_size: 1
    .uses_dynamic_stack: false
    .vgpr_count:     44
    .vgpr_spill_count: 0
    .wavefront_size: 64
  - .agpr_count:     0
    .args:
      - .address_space:  global
        .offset:         0
        .size:           8
        .value_kind:     global_buffer
      - .actual_access:  write_only
        .address_space:  global
        .offset:         8
        .size:           8
        .value_kind:     global_buffer
      - .actual_access:  write_only
        .address_space:  global
        .offset:         16
        .size:           8
        .value_kind:     global_buffer
      - .offset:         24
        .size:           4
        .value_kind:     by_value
      - .offset:         28
        .size:           4
        .value_kind:     by_value
      - .offset:         32
        .size:           4
        .value_kind:     by_value
      - .offset:         36
        .size:           4
        .value_kind:     by_value
      - .offset:         40
        .size:           4
        .value_kind:     by_value
      - .offset:         44
        .size:           4
        .value_kind:     by_value
      - .offset:         48
        .size:           4
        .value_kind:     by_value
      - .offset:         52
        .size:           4
        .value_kind:     by_value
    .group_segment_fixed_size: 0
    .kernarg_segment_align: 8
    .kernarg_segment_size: 56
    .language:       OpenCL C
    .language_version:
      - 2
      - 0
    .max_flat_workgroup_size: 1024
    .name:           _Z33per_token_group_quant_8bit_kernelIfN3c1015Float8_e4m3fnuzELb1ELb0EfEvPKT_PvPT3_iiifffii
    .private_segment_fixed_size: 0
    .sgpr_count:     66
    .sgpr_spill_count: 0
    .symbol:         _Z33per_token_group_quant_8bit_kernelIfN3c1015Float8_e4m3fnuzELb1ELb0EfEvPKT_PvPT3_iiifffii.kd
    .uniform_work_group_size: 1
    .uses_dynamic_stack: false
    .vgpr_count:     44
    .vgpr_spill_count: 0
    .wavefront_size: 64
  - .agpr_count:     0
    .args:
      - .address_space:  global
        .offset:         0
        .size:           8
        .value_kind:     global_buffer
      - .actual_access:  write_only
        .address_space:  global
        .offset:         8
        .size:           8
        .value_kind:     global_buffer
      - .actual_access:  write_only
        .address_space:  global
        .offset:         16
        .size:           8
        .value_kind:     global_buffer
      - .offset:         24
        .size:           4
        .value_kind:     by_value
      - .offset:         28
        .size:           4
        .value_kind:     by_value
      - .offset:         32
        .size:           4
        .value_kind:     by_value
      - .offset:         36
        .size:           4
        .value_kind:     by_value
      - .offset:         40
        .size:           4
        .value_kind:     by_value
      - .offset:         44
        .size:           4
        .value_kind:     by_value
      - .offset:         48
        .size:           4
        .value_kind:     by_value
      - .offset:         52
        .size:           4
        .value_kind:     by_value
    .group_segment_fixed_size: 0
    .kernarg_segment_align: 8
    .kernarg_segment_size: 56
    .language:       OpenCL C
    .language_version:
      - 2
      - 0
    .max_flat_workgroup_size: 1024
    .name:           _Z33per_token_group_quant_8bit_kernelIfN3c1015Float8_e4m3fnuzELb0ELb1EfEvPKT_PvPT3_iiifffii
    .private_segment_fixed_size: 0
    .sgpr_count:     66
    .sgpr_spill_count: 0
    .symbol:         _Z33per_token_group_quant_8bit_kernelIfN3c1015Float8_e4m3fnuzELb0ELb1EfEvPKT_PvPT3_iiifffii.kd
    .uniform_work_group_size: 1
    .uses_dynamic_stack: false
    .vgpr_count:     44
    .vgpr_spill_count: 0
    .wavefront_size: 64
  - .agpr_count:     0
    .args:
      - .address_space:  global
        .offset:         0
        .size:           8
        .value_kind:     global_buffer
      - .actual_access:  write_only
        .address_space:  global
        .offset:         8
        .size:           8
        .value_kind:     global_buffer
      - .actual_access:  write_only
        .address_space:  global
        .offset:         16
        .size:           8
        .value_kind:     global_buffer
      - .offset:         24
        .size:           4
        .value_kind:     by_value
      - .offset:         28
        .size:           4
        .value_kind:     by_value
      - .offset:         32
        .size:           4
        .value_kind:     by_value
      - .offset:         36
        .size:           4
        .value_kind:     by_value
      - .offset:         40
        .size:           4
        .value_kind:     by_value
      - .offset:         44
        .size:           4
        .value_kind:     by_value
      - .offset:         48
        .size:           4
        .value_kind:     by_value
      - .offset:         52
        .size:           4
        .value_kind:     by_value
    .group_segment_fixed_size: 0
    .kernarg_segment_align: 8
    .kernarg_segment_size: 56
    .language:       OpenCL C
    .language_version:
      - 2
      - 0
    .max_flat_workgroup_size: 1024
    .name:           _Z33per_token_group_quant_8bit_kernelIfN3c1015Float8_e4m3fnuzELb0ELb0EfEvPKT_PvPT3_iiifffii
    .private_segment_fixed_size: 0
    .sgpr_count:     66
    .sgpr_spill_count: 0
    .symbol:         _Z33per_token_group_quant_8bit_kernelIfN3c1015Float8_e4m3fnuzELb0ELb0EfEvPKT_PvPT3_iiifffii.kd
    .uniform_work_group_size: 1
    .uses_dynamic_stack: false
    .vgpr_count:     44
    .vgpr_spill_count: 0
    .wavefront_size: 64
  - .agpr_count:     0
    .args:
      - .address_space:  global
        .offset:         0
        .size:           8
        .value_kind:     global_buffer
      - .actual_access:  write_only
        .address_space:  global
        .offset:         8
        .size:           8
        .value_kind:     global_buffer
      - .actual_access:  write_only
        .address_space:  global
        .offset:         16
        .size:           8
        .value_kind:     global_buffer
      - .offset:         24
        .size:           4
        .value_kind:     by_value
      - .offset:         28
        .size:           4
        .value_kind:     by_value
      - .offset:         32
        .size:           4
        .value_kind:     by_value
      - .offset:         36
        .size:           4
        .value_kind:     by_value
      - .offset:         40
        .size:           4
        .value_kind:     by_value
      - .offset:         44
        .size:           4
        .value_kind:     by_value
      - .offset:         48
        .size:           4
        .value_kind:     by_value
      - .offset:         52
        .size:           4
        .value_kind:     by_value
    .group_segment_fixed_size: 0
    .kernarg_segment_align: 8
    .kernarg_segment_size: 56
    .language:       OpenCL C
    .language_version:
      - 2
      - 0
    .max_flat_workgroup_size: 1024
    .name:           _Z33per_token_group_quant_8bit_kernelIN3c104HalfEaLb1ELb1EfEvPKT_PvPT3_iiifffii
    .private_segment_fixed_size: 0
    .sgpr_count:     25
    .sgpr_spill_count: 0
    .symbol:         _Z33per_token_group_quant_8bit_kernelIN3c104HalfEaLb1ELb1EfEvPKT_PvPT3_iiifffii.kd
    .uniform_work_group_size: 1
    .uses_dynamic_stack: false
    .vgpr_count:     56
    .vgpr_spill_count: 0
    .wavefront_size: 64
  - .agpr_count:     0
    .args:
      - .address_space:  global
        .offset:         0
        .size:           8
        .value_kind:     global_buffer
      - .actual_access:  write_only
        .address_space:  global
        .offset:         8
        .size:           8
        .value_kind:     global_buffer
      - .actual_access:  write_only
        .address_space:  global
        .offset:         16
        .size:           8
        .value_kind:     global_buffer
      - .offset:         24
        .size:           4
        .value_kind:     by_value
      - .offset:         28
        .size:           4
        .value_kind:     by_value
      - .offset:         32
        .size:           4
        .value_kind:     by_value
      - .offset:         36
        .size:           4
        .value_kind:     by_value
      - .offset:         40
        .size:           4
        .value_kind:     by_value
      - .offset:         44
        .size:           4
        .value_kind:     by_value
      - .offset:         48
        .size:           4
        .value_kind:     by_value
      - .offset:         52
        .size:           4
        .value_kind:     by_value
    .group_segment_fixed_size: 0
    .kernarg_segment_align: 8
    .kernarg_segment_size: 56
    .language:       OpenCL C
    .language_version:
      - 2
      - 0
    .max_flat_workgroup_size: 1024
    .name:           _Z33per_token_group_quant_8bit_kernelIN3c104HalfEaLb1ELb0EfEvPKT_PvPT3_iiifffii
    .private_segment_fixed_size: 0
    .sgpr_count:     25
    .sgpr_spill_count: 0
    .symbol:         _Z33per_token_group_quant_8bit_kernelIN3c104HalfEaLb1ELb0EfEvPKT_PvPT3_iiifffii.kd
    .uniform_work_group_size: 1
    .uses_dynamic_stack: false
    .vgpr_count:     56
    .vgpr_spill_count: 0
    .wavefront_size: 64
  - .agpr_count:     0
    .args:
      - .address_space:  global
        .offset:         0
        .size:           8
        .value_kind:     global_buffer
      - .actual_access:  write_only
        .address_space:  global
        .offset:         8
        .size:           8
        .value_kind:     global_buffer
      - .actual_access:  write_only
        .address_space:  global
        .offset:         16
        .size:           8
        .value_kind:     global_buffer
      - .offset:         24
        .size:           4
        .value_kind:     by_value
      - .offset:         28
        .size:           4
        .value_kind:     by_value
      - .offset:         32
        .size:           4
        .value_kind:     by_value
      - .offset:         36
        .size:           4
        .value_kind:     by_value
      - .offset:         40
        .size:           4
        .value_kind:     by_value
      - .offset:         44
        .size:           4
        .value_kind:     by_value
      - .offset:         48
        .size:           4
        .value_kind:     by_value
      - .offset:         52
        .size:           4
        .value_kind:     by_value
    .group_segment_fixed_size: 0
    .kernarg_segment_align: 8
    .kernarg_segment_size: 56
    .language:       OpenCL C
    .language_version:
      - 2
      - 0
    .max_flat_workgroup_size: 1024
    .name:           _Z33per_token_group_quant_8bit_kernelIN3c104HalfEaLb0ELb1EfEvPKT_PvPT3_iiifffii
    .private_segment_fixed_size: 0
    .sgpr_count:     25
    .sgpr_spill_count: 0
    .symbol:         _Z33per_token_group_quant_8bit_kernelIN3c104HalfEaLb0ELb1EfEvPKT_PvPT3_iiifffii.kd
    .uniform_work_group_size: 1
    .uses_dynamic_stack: false
    .vgpr_count:     56
    .vgpr_spill_count: 0
    .wavefront_size: 64
  - .agpr_count:     0
    .args:
      - .address_space:  global
        .offset:         0
        .size:           8
        .value_kind:     global_buffer
      - .actual_access:  write_only
        .address_space:  global
        .offset:         8
        .size:           8
        .value_kind:     global_buffer
      - .actual_access:  write_only
        .address_space:  global
        .offset:         16
        .size:           8
        .value_kind:     global_buffer
      - .offset:         24
        .size:           4
        .value_kind:     by_value
      - .offset:         28
        .size:           4
        .value_kind:     by_value
      - .offset:         32
        .size:           4
        .value_kind:     by_value
      - .offset:         36
        .size:           4
        .value_kind:     by_value
      - .offset:         40
        .size:           4
        .value_kind:     by_value
      - .offset:         44
        .size:           4
        .value_kind:     by_value
      - .offset:         48
        .size:           4
        .value_kind:     by_value
      - .offset:         52
        .size:           4
        .value_kind:     by_value
    .group_segment_fixed_size: 0
    .kernarg_segment_align: 8
    .kernarg_segment_size: 56
    .language:       OpenCL C
    .language_version:
      - 2
      - 0
    .max_flat_workgroup_size: 1024
    .name:           _Z33per_token_group_quant_8bit_kernelIN3c104HalfEaLb0ELb0EfEvPKT_PvPT3_iiifffii
    .private_segment_fixed_size: 0
    .sgpr_count:     25
    .sgpr_spill_count: 0
    .symbol:         _Z33per_token_group_quant_8bit_kernelIN3c104HalfEaLb0ELb0EfEvPKT_PvPT3_iiifffii.kd
    .uniform_work_group_size: 1
    .uses_dynamic_stack: false
    .vgpr_count:     56
    .vgpr_spill_count: 0
    .wavefront_size: 64
  - .agpr_count:     0
    .args:
      - .address_space:  global
        .offset:         0
        .size:           8
        .value_kind:     global_buffer
      - .actual_access:  write_only
        .address_space:  global
        .offset:         8
        .size:           8
        .value_kind:     global_buffer
      - .actual_access:  write_only
        .address_space:  global
        .offset:         16
        .size:           8
        .value_kind:     global_buffer
      - .offset:         24
        .size:           4
        .value_kind:     by_value
      - .offset:         28
        .size:           4
        .value_kind:     by_value
      - .offset:         32
        .size:           4
        .value_kind:     by_value
      - .offset:         36
        .size:           4
        .value_kind:     by_value
      - .offset:         40
        .size:           4
        .value_kind:     by_value
      - .offset:         44
        .size:           4
        .value_kind:     by_value
      - .offset:         48
        .size:           4
        .value_kind:     by_value
      - .offset:         52
        .size:           4
        .value_kind:     by_value
    .group_segment_fixed_size: 0
    .kernarg_segment_align: 8
    .kernarg_segment_size: 56
    .language:       OpenCL C
    .language_version:
      - 2
      - 0
    .max_flat_workgroup_size: 1024
    .name:           _Z33per_token_group_quant_8bit_kernelIN3c104HalfENS0_13Float8_e4m3fnELb1ELb1EfEvPKT_PvPT3_iiifffii
    .private_segment_fixed_size: 0
    .sgpr_count:     30
    .sgpr_spill_count: 0
    .symbol:         _Z33per_token_group_quant_8bit_kernelIN3c104HalfENS0_13Float8_e4m3fnELb1ELb1EfEvPKT_PvPT3_iiifffii.kd
    .uniform_work_group_size: 1
    .uses_dynamic_stack: false
    .vgpr_count:     60
    .vgpr_spill_count: 0
    .wavefront_size: 64
  - .agpr_count:     0
    .args:
      - .address_space:  global
        .offset:         0
        .size:           8
        .value_kind:     global_buffer
      - .actual_access:  write_only
        .address_space:  global
        .offset:         8
        .size:           8
        .value_kind:     global_buffer
      - .actual_access:  write_only
        .address_space:  global
        .offset:         16
        .size:           8
        .value_kind:     global_buffer
      - .offset:         24
        .size:           4
        .value_kind:     by_value
      - .offset:         28
        .size:           4
        .value_kind:     by_value
      - .offset:         32
        .size:           4
        .value_kind:     by_value
      - .offset:         36
        .size:           4
        .value_kind:     by_value
      - .offset:         40
        .size:           4
        .value_kind:     by_value
      - .offset:         44
        .size:           4
        .value_kind:     by_value
      - .offset:         48
        .size:           4
        .value_kind:     by_value
      - .offset:         52
        .size:           4
        .value_kind:     by_value
    .group_segment_fixed_size: 0
    .kernarg_segment_align: 8
    .kernarg_segment_size: 56
    .language:       OpenCL C
    .language_version:
      - 2
      - 0
    .max_flat_workgroup_size: 1024
    .name:           _Z33per_token_group_quant_8bit_kernelIN3c104HalfENS0_13Float8_e4m3fnELb1ELb0EfEvPKT_PvPT3_iiifffii
    .private_segment_fixed_size: 0
    .sgpr_count:     30
    .sgpr_spill_count: 0
    .symbol:         _Z33per_token_group_quant_8bit_kernelIN3c104HalfENS0_13Float8_e4m3fnELb1ELb0EfEvPKT_PvPT3_iiifffii.kd
    .uniform_work_group_size: 1
    .uses_dynamic_stack: false
    .vgpr_count:     60
    .vgpr_spill_count: 0
    .wavefront_size: 64
  - .agpr_count:     0
    .args:
      - .address_space:  global
        .offset:         0
        .size:           8
        .value_kind:     global_buffer
      - .actual_access:  write_only
        .address_space:  global
        .offset:         8
        .size:           8
        .value_kind:     global_buffer
      - .actual_access:  write_only
        .address_space:  global
        .offset:         16
        .size:           8
        .value_kind:     global_buffer
      - .offset:         24
        .size:           4
        .value_kind:     by_value
      - .offset:         28
        .size:           4
        .value_kind:     by_value
      - .offset:         32
        .size:           4
        .value_kind:     by_value
      - .offset:         36
        .size:           4
        .value_kind:     by_value
      - .offset:         40
        .size:           4
        .value_kind:     by_value
      - .offset:         44
        .size:           4
        .value_kind:     by_value
      - .offset:         48
        .size:           4
        .value_kind:     by_value
      - .offset:         52
        .size:           4
        .value_kind:     by_value
    .group_segment_fixed_size: 0
    .kernarg_segment_align: 8
    .kernarg_segment_size: 56
    .language:       OpenCL C
    .language_version:
      - 2
      - 0
    .max_flat_workgroup_size: 1024
    .name:           _Z33per_token_group_quant_8bit_kernelIN3c104HalfENS0_13Float8_e4m3fnELb0ELb1EfEvPKT_PvPT3_iiifffii
    .private_segment_fixed_size: 0
    .sgpr_count:     30
    .sgpr_spill_count: 0
    .symbol:         _Z33per_token_group_quant_8bit_kernelIN3c104HalfENS0_13Float8_e4m3fnELb0ELb1EfEvPKT_PvPT3_iiifffii.kd
    .uniform_work_group_size: 1
    .uses_dynamic_stack: false
    .vgpr_count:     60
    .vgpr_spill_count: 0
    .wavefront_size: 64
  - .agpr_count:     0
    .args:
      - .address_space:  global
        .offset:         0
        .size:           8
        .value_kind:     global_buffer
      - .actual_access:  write_only
        .address_space:  global
        .offset:         8
        .size:           8
        .value_kind:     global_buffer
      - .actual_access:  write_only
        .address_space:  global
        .offset:         16
        .size:           8
        .value_kind:     global_buffer
      - .offset:         24
        .size:           4
        .value_kind:     by_value
      - .offset:         28
        .size:           4
        .value_kind:     by_value
      - .offset:         32
        .size:           4
        .value_kind:     by_value
      - .offset:         36
        .size:           4
        .value_kind:     by_value
      - .offset:         40
        .size:           4
        .value_kind:     by_value
      - .offset:         44
        .size:           4
        .value_kind:     by_value
      - .offset:         48
        .size:           4
        .value_kind:     by_value
      - .offset:         52
        .size:           4
        .value_kind:     by_value
    .group_segment_fixed_size: 0
    .kernarg_segment_align: 8
    .kernarg_segment_size: 56
    .language:       OpenCL C
    .language_version:
      - 2
      - 0
    .max_flat_workgroup_size: 1024
    .name:           _Z33per_token_group_quant_8bit_kernelIN3c104HalfENS0_13Float8_e4m3fnELb0ELb0EfEvPKT_PvPT3_iiifffii
    .private_segment_fixed_size: 0
    .sgpr_count:     30
    .sgpr_spill_count: 0
    .symbol:         _Z33per_token_group_quant_8bit_kernelIN3c104HalfENS0_13Float8_e4m3fnELb0ELb0EfEvPKT_PvPT3_iiifffii.kd
    .uniform_work_group_size: 1
    .uses_dynamic_stack: false
    .vgpr_count:     60
    .vgpr_spill_count: 0
    .wavefront_size: 64
  - .agpr_count:     0
    .args:
      - .address_space:  global
        .offset:         0
        .size:           8
        .value_kind:     global_buffer
      - .actual_access:  write_only
        .address_space:  global
        .offset:         8
        .size:           8
        .value_kind:     global_buffer
      - .actual_access:  write_only
        .address_space:  global
        .offset:         16
        .size:           8
        .value_kind:     global_buffer
      - .offset:         24
        .size:           4
        .value_kind:     by_value
      - .offset:         28
        .size:           4
        .value_kind:     by_value
      - .offset:         32
        .size:           4
        .value_kind:     by_value
      - .offset:         36
        .size:           4
        .value_kind:     by_value
      - .offset:         40
        .size:           4
        .value_kind:     by_value
      - .offset:         44
        .size:           4
        .value_kind:     by_value
      - .offset:         48
        .size:           4
        .value_kind:     by_value
      - .offset:         52
        .size:           4
        .value_kind:     by_value
    .group_segment_fixed_size: 0
    .kernarg_segment_align: 8
    .kernarg_segment_size: 56
    .language:       OpenCL C
    .language_version:
      - 2
      - 0
    .max_flat_workgroup_size: 1024
    .name:           _Z33per_token_group_quant_8bit_kernelIN3c104HalfENS0_15Float8_e4m3fnuzELb1ELb1EfEvPKT_PvPT3_iiifffii
    .private_segment_fixed_size: 0
    .sgpr_count:     50
    .sgpr_spill_count: 0
    .symbol:         _Z33per_token_group_quant_8bit_kernelIN3c104HalfENS0_15Float8_e4m3fnuzELb1ELb1EfEvPKT_PvPT3_iiifffii.kd
    .uniform_work_group_size: 1
    .uses_dynamic_stack: false
    .vgpr_count:     61
    .vgpr_spill_count: 0
    .wavefront_size: 64
  - .agpr_count:     0
    .args:
      - .address_space:  global
        .offset:         0
        .size:           8
        .value_kind:     global_buffer
      - .actual_access:  write_only
        .address_space:  global
        .offset:         8
        .size:           8
        .value_kind:     global_buffer
      - .actual_access:  write_only
        .address_space:  global
        .offset:         16
        .size:           8
        .value_kind:     global_buffer
      - .offset:         24
        .size:           4
        .value_kind:     by_value
      - .offset:         28
        .size:           4
        .value_kind:     by_value
      - .offset:         32
        .size:           4
        .value_kind:     by_value
      - .offset:         36
        .size:           4
        .value_kind:     by_value
      - .offset:         40
        .size:           4
        .value_kind:     by_value
      - .offset:         44
        .size:           4
        .value_kind:     by_value
      - .offset:         48
        .size:           4
        .value_kind:     by_value
      - .offset:         52
        .size:           4
        .value_kind:     by_value
    .group_segment_fixed_size: 0
    .kernarg_segment_align: 8
    .kernarg_segment_size: 56
    .language:       OpenCL C
    .language_version:
      - 2
      - 0
    .max_flat_workgroup_size: 1024
    .name:           _Z33per_token_group_quant_8bit_kernelIN3c104HalfENS0_15Float8_e4m3fnuzELb1ELb0EfEvPKT_PvPT3_iiifffii
    .private_segment_fixed_size: 0
    .sgpr_count:     50
    .sgpr_spill_count: 0
    .symbol:         _Z33per_token_group_quant_8bit_kernelIN3c104HalfENS0_15Float8_e4m3fnuzELb1ELb0EfEvPKT_PvPT3_iiifffii.kd
    .uniform_work_group_size: 1
    .uses_dynamic_stack: false
    .vgpr_count:     61
    .vgpr_spill_count: 0
    .wavefront_size: 64
  - .agpr_count:     0
    .args:
      - .address_space:  global
        .offset:         0
        .size:           8
        .value_kind:     global_buffer
      - .actual_access:  write_only
        .address_space:  global
        .offset:         8
        .size:           8
        .value_kind:     global_buffer
      - .actual_access:  write_only
        .address_space:  global
        .offset:         16
        .size:           8
        .value_kind:     global_buffer
      - .offset:         24
        .size:           4
        .value_kind:     by_value
      - .offset:         28
        .size:           4
        .value_kind:     by_value
      - .offset:         32
        .size:           4
        .value_kind:     by_value
      - .offset:         36
        .size:           4
        .value_kind:     by_value
      - .offset:         40
        .size:           4
        .value_kind:     by_value
      - .offset:         44
        .size:           4
        .value_kind:     by_value
      - .offset:         48
        .size:           4
        .value_kind:     by_value
      - .offset:         52
        .size:           4
        .value_kind:     by_value
    .group_segment_fixed_size: 0
    .kernarg_segment_align: 8
    .kernarg_segment_size: 56
    .language:       OpenCL C
    .language_version:
      - 2
      - 0
    .max_flat_workgroup_size: 1024
    .name:           _Z33per_token_group_quant_8bit_kernelIN3c104HalfENS0_15Float8_e4m3fnuzELb0ELb1EfEvPKT_PvPT3_iiifffii
    .private_segment_fixed_size: 0
    .sgpr_count:     50
    .sgpr_spill_count: 0
    .symbol:         _Z33per_token_group_quant_8bit_kernelIN3c104HalfENS0_15Float8_e4m3fnuzELb0ELb1EfEvPKT_PvPT3_iiifffii.kd
    .uniform_work_group_size: 1
    .uses_dynamic_stack: false
    .vgpr_count:     61
    .vgpr_spill_count: 0
    .wavefront_size: 64
  - .agpr_count:     0
    .args:
      - .address_space:  global
        .offset:         0
        .size:           8
        .value_kind:     global_buffer
      - .actual_access:  write_only
        .address_space:  global
        .offset:         8
        .size:           8
        .value_kind:     global_buffer
      - .actual_access:  write_only
        .address_space:  global
        .offset:         16
        .size:           8
        .value_kind:     global_buffer
      - .offset:         24
        .size:           4
        .value_kind:     by_value
      - .offset:         28
        .size:           4
        .value_kind:     by_value
      - .offset:         32
        .size:           4
        .value_kind:     by_value
      - .offset:         36
        .size:           4
        .value_kind:     by_value
      - .offset:         40
        .size:           4
        .value_kind:     by_value
      - .offset:         44
        .size:           4
        .value_kind:     by_value
      - .offset:         48
        .size:           4
        .value_kind:     by_value
      - .offset:         52
        .size:           4
        .value_kind:     by_value
    .group_segment_fixed_size: 0
    .kernarg_segment_align: 8
    .kernarg_segment_size: 56
    .language:       OpenCL C
    .language_version:
      - 2
      - 0
    .max_flat_workgroup_size: 1024
    .name:           _Z33per_token_group_quant_8bit_kernelIN3c104HalfENS0_15Float8_e4m3fnuzELb0ELb0EfEvPKT_PvPT3_iiifffii
    .private_segment_fixed_size: 0
    .sgpr_count:     50
    .sgpr_spill_count: 0
    .symbol:         _Z33per_token_group_quant_8bit_kernelIN3c104HalfENS0_15Float8_e4m3fnuzELb0ELb0EfEvPKT_PvPT3_iiifffii.kd
    .uniform_work_group_size: 1
    .uses_dynamic_stack: false
    .vgpr_count:     61
    .vgpr_spill_count: 0
    .wavefront_size: 64
  - .agpr_count:     0
    .args:
      - .address_space:  global
        .offset:         0
        .size:           8
        .value_kind:     global_buffer
      - .actual_access:  write_only
        .address_space:  global
        .offset:         8
        .size:           8
        .value_kind:     global_buffer
      - .actual_access:  write_only
        .address_space:  global
        .offset:         16
        .size:           8
        .value_kind:     global_buffer
      - .offset:         24
        .size:           4
        .value_kind:     by_value
      - .offset:         28
        .size:           4
        .value_kind:     by_value
      - .offset:         32
        .size:           4
        .value_kind:     by_value
      - .offset:         36
        .size:           4
        .value_kind:     by_value
      - .offset:         40
        .size:           4
        .value_kind:     by_value
      - .offset:         44
        .size:           4
        .value_kind:     by_value
      - .offset:         48
        .size:           4
        .value_kind:     by_value
      - .offset:         52
        .size:           4
        .value_kind:     by_value
    .group_segment_fixed_size: 0
    .kernarg_segment_align: 8
    .kernarg_segment_size: 56
    .language:       OpenCL C
    .language_version:
      - 2
      - 0
    .max_flat_workgroup_size: 1024
    .name:           _Z33per_token_group_quant_8bit_kernelIN3c108BFloat16EaLb1ELb1EfEvPKT_PvPT3_iiifffii
    .private_segment_fixed_size: 0
    .sgpr_count:     25
    .sgpr_spill_count: 0
    .symbol:         _Z33per_token_group_quant_8bit_kernelIN3c108BFloat16EaLb1ELb1EfEvPKT_PvPT3_iiifffii.kd
    .uniform_work_group_size: 1
    .uses_dynamic_stack: false
    .vgpr_count:     56
    .vgpr_spill_count: 0
    .wavefront_size: 64
  - .agpr_count:     0
    .args:
      - .address_space:  global
        .offset:         0
        .size:           8
        .value_kind:     global_buffer
      - .actual_access:  write_only
        .address_space:  global
        .offset:         8
        .size:           8
        .value_kind:     global_buffer
      - .actual_access:  write_only
        .address_space:  global
        .offset:         16
        .size:           8
        .value_kind:     global_buffer
      - .offset:         24
        .size:           4
        .value_kind:     by_value
      - .offset:         28
        .size:           4
        .value_kind:     by_value
      - .offset:         32
        .size:           4
        .value_kind:     by_value
      - .offset:         36
        .size:           4
        .value_kind:     by_value
      - .offset:         40
        .size:           4
        .value_kind:     by_value
      - .offset:         44
        .size:           4
        .value_kind:     by_value
      - .offset:         48
        .size:           4
        .value_kind:     by_value
      - .offset:         52
        .size:           4
        .value_kind:     by_value
    .group_segment_fixed_size: 0
    .kernarg_segment_align: 8
    .kernarg_segment_size: 56
    .language:       OpenCL C
    .language_version:
      - 2
      - 0
    .max_flat_workgroup_size: 1024
    .name:           _Z33per_token_group_quant_8bit_kernelIN3c108BFloat16EaLb1ELb0EfEvPKT_PvPT3_iiifffii
    .private_segment_fixed_size: 0
    .sgpr_count:     25
    .sgpr_spill_count: 0
    .symbol:         _Z33per_token_group_quant_8bit_kernelIN3c108BFloat16EaLb1ELb0EfEvPKT_PvPT3_iiifffii.kd
    .uniform_work_group_size: 1
    .uses_dynamic_stack: false
    .vgpr_count:     56
    .vgpr_spill_count: 0
    .wavefront_size: 64
  - .agpr_count:     0
    .args:
      - .address_space:  global
        .offset:         0
        .size:           8
        .value_kind:     global_buffer
      - .actual_access:  write_only
        .address_space:  global
        .offset:         8
        .size:           8
        .value_kind:     global_buffer
      - .actual_access:  write_only
        .address_space:  global
        .offset:         16
        .size:           8
        .value_kind:     global_buffer
      - .offset:         24
        .size:           4
        .value_kind:     by_value
      - .offset:         28
        .size:           4
        .value_kind:     by_value
      - .offset:         32
        .size:           4
        .value_kind:     by_value
      - .offset:         36
        .size:           4
        .value_kind:     by_value
      - .offset:         40
        .size:           4
        .value_kind:     by_value
      - .offset:         44
        .size:           4
        .value_kind:     by_value
      - .offset:         48
        .size:           4
        .value_kind:     by_value
      - .offset:         52
        .size:           4
        .value_kind:     by_value
    .group_segment_fixed_size: 0
    .kernarg_segment_align: 8
    .kernarg_segment_size: 56
    .language:       OpenCL C
    .language_version:
      - 2
      - 0
    .max_flat_workgroup_size: 1024
    .name:           _Z33per_token_group_quant_8bit_kernelIN3c108BFloat16EaLb0ELb1EfEvPKT_PvPT3_iiifffii
    .private_segment_fixed_size: 0
    .sgpr_count:     25
    .sgpr_spill_count: 0
    .symbol:         _Z33per_token_group_quant_8bit_kernelIN3c108BFloat16EaLb0ELb1EfEvPKT_PvPT3_iiifffii.kd
    .uniform_work_group_size: 1
    .uses_dynamic_stack: false
    .vgpr_count:     56
    .vgpr_spill_count: 0
    .wavefront_size: 64
  - .agpr_count:     0
    .args:
      - .address_space:  global
        .offset:         0
        .size:           8
        .value_kind:     global_buffer
      - .actual_access:  write_only
        .address_space:  global
        .offset:         8
        .size:           8
        .value_kind:     global_buffer
      - .actual_access:  write_only
        .address_space:  global
        .offset:         16
        .size:           8
        .value_kind:     global_buffer
      - .offset:         24
        .size:           4
        .value_kind:     by_value
      - .offset:         28
        .size:           4
        .value_kind:     by_value
      - .offset:         32
        .size:           4
        .value_kind:     by_value
      - .offset:         36
        .size:           4
        .value_kind:     by_value
      - .offset:         40
        .size:           4
        .value_kind:     by_value
      - .offset:         44
        .size:           4
        .value_kind:     by_value
      - .offset:         48
        .size:           4
        .value_kind:     by_value
      - .offset:         52
        .size:           4
        .value_kind:     by_value
    .group_segment_fixed_size: 0
    .kernarg_segment_align: 8
    .kernarg_segment_size: 56
    .language:       OpenCL C
    .language_version:
      - 2
      - 0
    .max_flat_workgroup_size: 1024
    .name:           _Z33per_token_group_quant_8bit_kernelIN3c108BFloat16EaLb0ELb0EfEvPKT_PvPT3_iiifffii
    .private_segment_fixed_size: 0
    .sgpr_count:     25
    .sgpr_spill_count: 0
    .symbol:         _Z33per_token_group_quant_8bit_kernelIN3c108BFloat16EaLb0ELb0EfEvPKT_PvPT3_iiifffii.kd
    .uniform_work_group_size: 1
    .uses_dynamic_stack: false
    .vgpr_count:     56
    .vgpr_spill_count: 0
    .wavefront_size: 64
  - .agpr_count:     0
    .args:
      - .address_space:  global
        .offset:         0
        .size:           8
        .value_kind:     global_buffer
      - .actual_access:  write_only
        .address_space:  global
        .offset:         8
        .size:           8
        .value_kind:     global_buffer
      - .actual_access:  write_only
        .address_space:  global
        .offset:         16
        .size:           8
        .value_kind:     global_buffer
      - .offset:         24
        .size:           4
        .value_kind:     by_value
      - .offset:         28
        .size:           4
        .value_kind:     by_value
      - .offset:         32
        .size:           4
        .value_kind:     by_value
      - .offset:         36
        .size:           4
        .value_kind:     by_value
      - .offset:         40
        .size:           4
        .value_kind:     by_value
      - .offset:         44
        .size:           4
        .value_kind:     by_value
      - .offset:         48
        .size:           4
        .value_kind:     by_value
      - .offset:         52
        .size:           4
        .value_kind:     by_value
    .group_segment_fixed_size: 0
    .kernarg_segment_align: 8
    .kernarg_segment_size: 56
    .language:       OpenCL C
    .language_version:
      - 2
      - 0
    .max_flat_workgroup_size: 1024
    .name:           _Z33per_token_group_quant_8bit_kernelIN3c108BFloat16ENS0_13Float8_e4m3fnELb1ELb1EfEvPKT_PvPT3_iiifffii
    .private_segment_fixed_size: 0
    .sgpr_count:     30
    .sgpr_spill_count: 0
    .symbol:         _Z33per_token_group_quant_8bit_kernelIN3c108BFloat16ENS0_13Float8_e4m3fnELb1ELb1EfEvPKT_PvPT3_iiifffii.kd
    .uniform_work_group_size: 1
    .uses_dynamic_stack: false
    .vgpr_count:     60
    .vgpr_spill_count: 0
    .wavefront_size: 64
  - .agpr_count:     0
    .args:
      - .address_space:  global
        .offset:         0
        .size:           8
        .value_kind:     global_buffer
      - .actual_access:  write_only
        .address_space:  global
        .offset:         8
        .size:           8
        .value_kind:     global_buffer
      - .actual_access:  write_only
        .address_space:  global
        .offset:         16
        .size:           8
        .value_kind:     global_buffer
      - .offset:         24
        .size:           4
        .value_kind:     by_value
      - .offset:         28
        .size:           4
        .value_kind:     by_value
      - .offset:         32
        .size:           4
        .value_kind:     by_value
      - .offset:         36
        .size:           4
        .value_kind:     by_value
      - .offset:         40
        .size:           4
        .value_kind:     by_value
      - .offset:         44
        .size:           4
        .value_kind:     by_value
      - .offset:         48
        .size:           4
        .value_kind:     by_value
      - .offset:         52
        .size:           4
        .value_kind:     by_value
    .group_segment_fixed_size: 0
    .kernarg_segment_align: 8
    .kernarg_segment_size: 56
    .language:       OpenCL C
    .language_version:
      - 2
      - 0
    .max_flat_workgroup_size: 1024
    .name:           _Z33per_token_group_quant_8bit_kernelIN3c108BFloat16ENS0_13Float8_e4m3fnELb1ELb0EfEvPKT_PvPT3_iiifffii
    .private_segment_fixed_size: 0
    .sgpr_count:     30
    .sgpr_spill_count: 0
    .symbol:         _Z33per_token_group_quant_8bit_kernelIN3c108BFloat16ENS0_13Float8_e4m3fnELb1ELb0EfEvPKT_PvPT3_iiifffii.kd
    .uniform_work_group_size: 1
    .uses_dynamic_stack: false
    .vgpr_count:     60
    .vgpr_spill_count: 0
    .wavefront_size: 64
  - .agpr_count:     0
    .args:
      - .address_space:  global
        .offset:         0
        .size:           8
        .value_kind:     global_buffer
      - .actual_access:  write_only
        .address_space:  global
        .offset:         8
        .size:           8
        .value_kind:     global_buffer
      - .actual_access:  write_only
        .address_space:  global
        .offset:         16
        .size:           8
        .value_kind:     global_buffer
      - .offset:         24
        .size:           4
        .value_kind:     by_value
      - .offset:         28
        .size:           4
        .value_kind:     by_value
      - .offset:         32
        .size:           4
        .value_kind:     by_value
      - .offset:         36
        .size:           4
        .value_kind:     by_value
      - .offset:         40
        .size:           4
        .value_kind:     by_value
      - .offset:         44
        .size:           4
        .value_kind:     by_value
      - .offset:         48
        .size:           4
        .value_kind:     by_value
      - .offset:         52
        .size:           4
        .value_kind:     by_value
    .group_segment_fixed_size: 0
    .kernarg_segment_align: 8
    .kernarg_segment_size: 56
    .language:       OpenCL C
    .language_version:
      - 2
      - 0
    .max_flat_workgroup_size: 1024
    .name:           _Z33per_token_group_quant_8bit_kernelIN3c108BFloat16ENS0_13Float8_e4m3fnELb0ELb1EfEvPKT_PvPT3_iiifffii
    .private_segment_fixed_size: 0
    .sgpr_count:     30
    .sgpr_spill_count: 0
    .symbol:         _Z33per_token_group_quant_8bit_kernelIN3c108BFloat16ENS0_13Float8_e4m3fnELb0ELb1EfEvPKT_PvPT3_iiifffii.kd
    .uniform_work_group_size: 1
    .uses_dynamic_stack: false
    .vgpr_count:     60
    .vgpr_spill_count: 0
    .wavefront_size: 64
  - .agpr_count:     0
    .args:
      - .address_space:  global
        .offset:         0
        .size:           8
        .value_kind:     global_buffer
      - .actual_access:  write_only
        .address_space:  global
        .offset:         8
        .size:           8
        .value_kind:     global_buffer
      - .actual_access:  write_only
        .address_space:  global
        .offset:         16
        .size:           8
        .value_kind:     global_buffer
      - .offset:         24
        .size:           4
        .value_kind:     by_value
      - .offset:         28
        .size:           4
        .value_kind:     by_value
      - .offset:         32
        .size:           4
        .value_kind:     by_value
      - .offset:         36
        .size:           4
        .value_kind:     by_value
      - .offset:         40
        .size:           4
        .value_kind:     by_value
      - .offset:         44
        .size:           4
        .value_kind:     by_value
      - .offset:         48
        .size:           4
        .value_kind:     by_value
      - .offset:         52
        .size:           4
        .value_kind:     by_value
    .group_segment_fixed_size: 0
    .kernarg_segment_align: 8
    .kernarg_segment_size: 56
    .language:       OpenCL C
    .language_version:
      - 2
      - 0
    .max_flat_workgroup_size: 1024
    .name:           _Z33per_token_group_quant_8bit_kernelIN3c108BFloat16ENS0_13Float8_e4m3fnELb0ELb0EfEvPKT_PvPT3_iiifffii
    .private_segment_fixed_size: 0
    .sgpr_count:     30
    .sgpr_spill_count: 0
    .symbol:         _Z33per_token_group_quant_8bit_kernelIN3c108BFloat16ENS0_13Float8_e4m3fnELb0ELb0EfEvPKT_PvPT3_iiifffii.kd
    .uniform_work_group_size: 1
    .uses_dynamic_stack: false
    .vgpr_count:     60
    .vgpr_spill_count: 0
    .wavefront_size: 64
  - .agpr_count:     0
    .args:
      - .address_space:  global
        .offset:         0
        .size:           8
        .value_kind:     global_buffer
      - .actual_access:  write_only
        .address_space:  global
        .offset:         8
        .size:           8
        .value_kind:     global_buffer
      - .actual_access:  write_only
        .address_space:  global
        .offset:         16
        .size:           8
        .value_kind:     global_buffer
      - .offset:         24
        .size:           4
        .value_kind:     by_value
      - .offset:         28
        .size:           4
        .value_kind:     by_value
      - .offset:         32
        .size:           4
        .value_kind:     by_value
      - .offset:         36
        .size:           4
        .value_kind:     by_value
      - .offset:         40
        .size:           4
        .value_kind:     by_value
      - .offset:         44
        .size:           4
        .value_kind:     by_value
      - .offset:         48
        .size:           4
        .value_kind:     by_value
      - .offset:         52
        .size:           4
        .value_kind:     by_value
    .group_segment_fixed_size: 0
    .kernarg_segment_align: 8
    .kernarg_segment_size: 56
    .language:       OpenCL C
    .language_version:
      - 2
      - 0
    .max_flat_workgroup_size: 1024
    .name:           _Z33per_token_group_quant_8bit_kernelIN3c108BFloat16ENS0_15Float8_e4m3fnuzELb1ELb1EfEvPKT_PvPT3_iiifffii
    .private_segment_fixed_size: 0
    .sgpr_count:     50
    .sgpr_spill_count: 0
    .symbol:         _Z33per_token_group_quant_8bit_kernelIN3c108BFloat16ENS0_15Float8_e4m3fnuzELb1ELb1EfEvPKT_PvPT3_iiifffii.kd
    .uniform_work_group_size: 1
    .uses_dynamic_stack: false
    .vgpr_count:     61
    .vgpr_spill_count: 0
    .wavefront_size: 64
  - .agpr_count:     0
    .args:
      - .address_space:  global
        .offset:         0
        .size:           8
        .value_kind:     global_buffer
      - .actual_access:  write_only
        .address_space:  global
        .offset:         8
        .size:           8
        .value_kind:     global_buffer
      - .actual_access:  write_only
        .address_space:  global
        .offset:         16
        .size:           8
        .value_kind:     global_buffer
      - .offset:         24
        .size:           4
        .value_kind:     by_value
      - .offset:         28
        .size:           4
        .value_kind:     by_value
      - .offset:         32
        .size:           4
        .value_kind:     by_value
      - .offset:         36
        .size:           4
        .value_kind:     by_value
      - .offset:         40
        .size:           4
        .value_kind:     by_value
      - .offset:         44
        .size:           4
        .value_kind:     by_value
      - .offset:         48
        .size:           4
        .value_kind:     by_value
      - .offset:         52
        .size:           4
        .value_kind:     by_value
    .group_segment_fixed_size: 0
    .kernarg_segment_align: 8
    .kernarg_segment_size: 56
    .language:       OpenCL C
    .language_version:
      - 2
      - 0
    .max_flat_workgroup_size: 1024
    .name:           _Z33per_token_group_quant_8bit_kernelIN3c108BFloat16ENS0_15Float8_e4m3fnuzELb1ELb0EfEvPKT_PvPT3_iiifffii
    .private_segment_fixed_size: 0
    .sgpr_count:     50
    .sgpr_spill_count: 0
    .symbol:         _Z33per_token_group_quant_8bit_kernelIN3c108BFloat16ENS0_15Float8_e4m3fnuzELb1ELb0EfEvPKT_PvPT3_iiifffii.kd
    .uniform_work_group_size: 1
    .uses_dynamic_stack: false
    .vgpr_count:     61
    .vgpr_spill_count: 0
    .wavefront_size: 64
  - .agpr_count:     0
    .args:
      - .address_space:  global
        .offset:         0
        .size:           8
        .value_kind:     global_buffer
      - .actual_access:  write_only
        .address_space:  global
        .offset:         8
        .size:           8
        .value_kind:     global_buffer
      - .actual_access:  write_only
        .address_space:  global
        .offset:         16
        .size:           8
        .value_kind:     global_buffer
      - .offset:         24
        .size:           4
        .value_kind:     by_value
      - .offset:         28
        .size:           4
        .value_kind:     by_value
      - .offset:         32
        .size:           4
        .value_kind:     by_value
      - .offset:         36
        .size:           4
        .value_kind:     by_value
      - .offset:         40
        .size:           4
        .value_kind:     by_value
      - .offset:         44
        .size:           4
        .value_kind:     by_value
      - .offset:         48
        .size:           4
        .value_kind:     by_value
      - .offset:         52
        .size:           4
        .value_kind:     by_value
    .group_segment_fixed_size: 0
    .kernarg_segment_align: 8
    .kernarg_segment_size: 56
    .language:       OpenCL C
    .language_version:
      - 2
      - 0
    .max_flat_workgroup_size: 1024
    .name:           _Z33per_token_group_quant_8bit_kernelIN3c108BFloat16ENS0_15Float8_e4m3fnuzELb0ELb1EfEvPKT_PvPT3_iiifffii
    .private_segment_fixed_size: 0
    .sgpr_count:     50
    .sgpr_spill_count: 0
    .symbol:         _Z33per_token_group_quant_8bit_kernelIN3c108BFloat16ENS0_15Float8_e4m3fnuzELb0ELb1EfEvPKT_PvPT3_iiifffii.kd
    .uniform_work_group_size: 1
    .uses_dynamic_stack: false
    .vgpr_count:     61
    .vgpr_spill_count: 0
    .wavefront_size: 64
  - .agpr_count:     0
    .args:
      - .address_space:  global
        .offset:         0
        .size:           8
        .value_kind:     global_buffer
      - .actual_access:  write_only
        .address_space:  global
        .offset:         8
        .size:           8
        .value_kind:     global_buffer
      - .actual_access:  write_only
        .address_space:  global
        .offset:         16
        .size:           8
        .value_kind:     global_buffer
      - .offset:         24
        .size:           4
        .value_kind:     by_value
      - .offset:         28
        .size:           4
        .value_kind:     by_value
      - .offset:         32
        .size:           4
        .value_kind:     by_value
      - .offset:         36
        .size:           4
        .value_kind:     by_value
      - .offset:         40
        .size:           4
        .value_kind:     by_value
      - .offset:         44
        .size:           4
        .value_kind:     by_value
      - .offset:         48
        .size:           4
        .value_kind:     by_value
      - .offset:         52
        .size:           4
        .value_kind:     by_value
    .group_segment_fixed_size: 0
    .kernarg_segment_align: 8
    .kernarg_segment_size: 56
    .language:       OpenCL C
    .language_version:
      - 2
      - 0
    .max_flat_workgroup_size: 1024
    .name:           _Z33per_token_group_quant_8bit_kernelIN3c108BFloat16ENS0_15Float8_e4m3fnuzELb0ELb0EfEvPKT_PvPT3_iiifffii
    .private_segment_fixed_size: 0
    .sgpr_count:     50
    .sgpr_spill_count: 0
    .symbol:         _Z33per_token_group_quant_8bit_kernelIN3c108BFloat16ENS0_15Float8_e4m3fnuzELb0ELb0EfEvPKT_PvPT3_iiifffii.kd
    .uniform_work_group_size: 1
    .uses_dynamic_stack: false
    .vgpr_count:     61
    .vgpr_spill_count: 0
    .wavefront_size: 64
  - .agpr_count:     0
    .args:
      - .actual_access:  read_only
        .address_space:  global
        .offset:         0
        .size:           8
        .value_kind:     global_buffer
      - .actual_access:  write_only
        .address_space:  global
        .offset:         8
        .size:           8
        .value_kind:     global_buffer
      - .actual_access:  write_only
        .address_space:  global
        .offset:         16
        .size:           8
        .value_kind:     global_buffer
      - .offset:         24
        .size:           4
        .value_kind:     by_value
      - .offset:         28
        .size:           4
        .value_kind:     by_value
      - .offset:         32
        .size:           4
        .value_kind:     by_value
      - .offset:         36
        .size:           4
        .value_kind:     by_value
      - .offset:         40
        .size:           4
        .value_kind:     by_value
      - .offset:         48
        .size:           8
        .value_kind:     by_value
      - .offset:         56
        .size:           4
        .value_kind:     by_value
      - .offset:         60
        .size:           4
        .value_kind:     by_value
      - .offset:         64
        .size:           4
        .value_kind:     by_value
    .group_segment_fixed_size: 0
    .kernarg_segment_align: 8
    .kernarg_segment_size: 68
    .language:       OpenCL C
    .language_version:
      - 2
      - 0
    .max_flat_workgroup_size: 1024
    .name:           _Z49per_token_group_quant_8bit_packed_register_kernelIN3c104HalfEaLi128ELi16ELi1EEvPKT_PvPjiiiiilfff
    .private_segment_fixed_size: 0
    .sgpr_count:     28
    .sgpr_spill_count: 0
    .symbol:         _Z49per_token_group_quant_8bit_packed_register_kernelIN3c104HalfEaLi128ELi16ELi1EEvPKT_PvPjiiiiilfff.kd
    .uniform_work_group_size: 1
    .uses_dynamic_stack: false
    .vgpr_count:     40
    .vgpr_spill_count: 0
    .wavefront_size: 64
  - .agpr_count:     0
    .args:
      - .actual_access:  read_only
        .address_space:  global
        .offset:         0
        .size:           8
        .value_kind:     global_buffer
      - .actual_access:  write_only
        .address_space:  global
        .offset:         8
        .size:           8
        .value_kind:     global_buffer
      - .actual_access:  write_only
        .address_space:  global
        .offset:         16
        .size:           8
        .value_kind:     global_buffer
      - .offset:         24
        .size:           4
        .value_kind:     by_value
      - .offset:         28
        .size:           4
        .value_kind:     by_value
      - .offset:         32
        .size:           4
        .value_kind:     by_value
      - .offset:         36
        .size:           4
        .value_kind:     by_value
      - .offset:         40
        .size:           4
        .value_kind:     by_value
      - .offset:         48
        .size:           8
        .value_kind:     by_value
      - .offset:         56
        .size:           4
        .value_kind:     by_value
      - .offset:         60
        .size:           4
        .value_kind:     by_value
      - .offset:         64
        .size:           4
        .value_kind:     by_value
    .group_segment_fixed_size: 0
    .kernarg_segment_align: 8
    .kernarg_segment_size: 68
    .language:       OpenCL C
    .language_version:
      - 2
      - 0
    .max_flat_workgroup_size: 1024
    .name:           _Z49per_token_group_quant_8bit_packed_register_kernelIN3c104HalfEaLi128ELi8ELi2EEvPKT_PvPjiiiiilfff
    .private_segment_fixed_size: 0
    .sgpr_count:     28
    .sgpr_spill_count: 0
    .symbol:         _Z49per_token_group_quant_8bit_packed_register_kernelIN3c104HalfEaLi128ELi8ELi2EEvPKT_PvPjiiiiilfff.kd
    .uniform_work_group_size: 1
    .uses_dynamic_stack: false
    .vgpr_count:     40
    .vgpr_spill_count: 0
    .wavefront_size: 64
  - .agpr_count:     0
    .args:
      - .actual_access:  read_only
        .address_space:  global
        .offset:         0
        .size:           8
        .value_kind:     global_buffer
      - .actual_access:  write_only
        .address_space:  global
        .offset:         8
        .size:           8
        .value_kind:     global_buffer
      - .actual_access:  write_only
        .address_space:  global
        .offset:         16
        .size:           8
        .value_kind:     global_buffer
      - .offset:         24
        .size:           4
        .value_kind:     by_value
      - .offset:         28
        .size:           4
        .value_kind:     by_value
      - .offset:         32
        .size:           4
        .value_kind:     by_value
      - .offset:         36
        .size:           4
        .value_kind:     by_value
      - .offset:         40
        .size:           4
        .value_kind:     by_value
      - .offset:         48
        .size:           8
        .value_kind:     by_value
      - .offset:         56
        .size:           4
        .value_kind:     by_value
      - .offset:         60
        .size:           4
        .value_kind:     by_value
      - .offset:         64
        .size:           4
        .value_kind:     by_value
    .group_segment_fixed_size: 0
    .kernarg_segment_align: 8
    .kernarg_segment_size: 68
    .language:       OpenCL C
    .language_version:
      - 2
      - 0
    .max_flat_workgroup_size: 1024
    .name:           _Z49per_token_group_quant_8bit_packed_register_kernelIN3c104HalfEaLi128ELi4ELi4EEvPKT_PvPjiiiiilfff
    .private_segment_fixed_size: 0
    .sgpr_count:     28
    .sgpr_spill_count: 0
    .symbol:         _Z49per_token_group_quant_8bit_packed_register_kernelIN3c104HalfEaLi128ELi4ELi4EEvPKT_PvPjiiiiilfff.kd
    .uniform_work_group_size: 1
    .uses_dynamic_stack: false
    .vgpr_count:     40
    .vgpr_spill_count: 0
    .wavefront_size: 64
  - .agpr_count:     0
    .args:
      - .actual_access:  read_only
        .address_space:  global
        .offset:         0
        .size:           8
        .value_kind:     global_buffer
      - .actual_access:  write_only
        .address_space:  global
        .offset:         8
        .size:           8
        .value_kind:     global_buffer
      - .actual_access:  write_only
        .address_space:  global
        .offset:         16
        .size:           8
        .value_kind:     global_buffer
      - .offset:         24
        .size:           4
        .value_kind:     by_value
      - .offset:         28
        .size:           4
        .value_kind:     by_value
      - .offset:         32
        .size:           4
        .value_kind:     by_value
      - .offset:         36
        .size:           4
        .value_kind:     by_value
      - .offset:         40
        .size:           4
        .value_kind:     by_value
      - .offset:         48
        .size:           8
        .value_kind:     by_value
      - .offset:         56
        .size:           4
        .value_kind:     by_value
      - .offset:         60
        .size:           4
        .value_kind:     by_value
      - .offset:         64
        .size:           4
        .value_kind:     by_value
    .group_segment_fixed_size: 0
    .kernarg_segment_align: 8
    .kernarg_segment_size: 68
    .language:       OpenCL C
    .language_version:
      - 2
      - 0
    .max_flat_workgroup_size: 1024
    .name:           _Z49per_token_group_quant_8bit_packed_register_kernelIN3c104HalfENS0_13Float8_e4m3fnELi128ELi16ELi1EEvPKT_PvPjiiiiilfff
    .private_segment_fixed_size: 0
    .sgpr_count:     28
    .sgpr_spill_count: 0
    .symbol:         _Z49per_token_group_quant_8bit_packed_register_kernelIN3c104HalfENS0_13Float8_e4m3fnELi128ELi16ELi1EEvPKT_PvPjiiiiilfff.kd
    .uniform_work_group_size: 1
    .uses_dynamic_stack: false
    .vgpr_count:     40
    .vgpr_spill_count: 0
    .wavefront_size: 64
  - .agpr_count:     0
    .args:
      - .actual_access:  read_only
        .address_space:  global
        .offset:         0
        .size:           8
        .value_kind:     global_buffer
      - .actual_access:  write_only
        .address_space:  global
        .offset:         8
        .size:           8
        .value_kind:     global_buffer
      - .actual_access:  write_only
        .address_space:  global
        .offset:         16
        .size:           8
        .value_kind:     global_buffer
      - .offset:         24
        .size:           4
        .value_kind:     by_value
      - .offset:         28
        .size:           4
        .value_kind:     by_value
      - .offset:         32
        .size:           4
        .value_kind:     by_value
      - .offset:         36
        .size:           4
        .value_kind:     by_value
      - .offset:         40
        .size:           4
        .value_kind:     by_value
      - .offset:         48
        .size:           8
        .value_kind:     by_value
      - .offset:         56
        .size:           4
        .value_kind:     by_value
      - .offset:         60
        .size:           4
        .value_kind:     by_value
      - .offset:         64
        .size:           4
        .value_kind:     by_value
    .group_segment_fixed_size: 0
    .kernarg_segment_align: 8
    .kernarg_segment_size: 68
    .language:       OpenCL C
    .language_version:
      - 2
      - 0
    .max_flat_workgroup_size: 1024
    .name:           _Z49per_token_group_quant_8bit_packed_register_kernelIN3c104HalfENS0_13Float8_e4m3fnELi128ELi8ELi2EEvPKT_PvPjiiiiilfff
    .private_segment_fixed_size: 0
    .sgpr_count:     28
    .sgpr_spill_count: 0
    .symbol:         _Z49per_token_group_quant_8bit_packed_register_kernelIN3c104HalfENS0_13Float8_e4m3fnELi128ELi8ELi2EEvPKT_PvPjiiiiilfff.kd
    .uniform_work_group_size: 1
    .uses_dynamic_stack: false
    .vgpr_count:     40
    .vgpr_spill_count: 0
    .wavefront_size: 64
  - .agpr_count:     0
    .args:
      - .actual_access:  read_only
        .address_space:  global
        .offset:         0
        .size:           8
        .value_kind:     global_buffer
      - .actual_access:  write_only
        .address_space:  global
        .offset:         8
        .size:           8
        .value_kind:     global_buffer
      - .actual_access:  write_only
        .address_space:  global
        .offset:         16
        .size:           8
        .value_kind:     global_buffer
      - .offset:         24
        .size:           4
        .value_kind:     by_value
      - .offset:         28
        .size:           4
        .value_kind:     by_value
      - .offset:         32
        .size:           4
        .value_kind:     by_value
      - .offset:         36
        .size:           4
        .value_kind:     by_value
      - .offset:         40
        .size:           4
        .value_kind:     by_value
      - .offset:         48
        .size:           8
        .value_kind:     by_value
      - .offset:         56
        .size:           4
        .value_kind:     by_value
      - .offset:         60
        .size:           4
        .value_kind:     by_value
      - .offset:         64
        .size:           4
        .value_kind:     by_value
    .group_segment_fixed_size: 0
    .kernarg_segment_align: 8
    .kernarg_segment_size: 68
    .language:       OpenCL C
    .language_version:
      - 2
      - 0
    .max_flat_workgroup_size: 1024
    .name:           _Z49per_token_group_quant_8bit_packed_register_kernelIN3c104HalfENS0_13Float8_e4m3fnELi128ELi4ELi4EEvPKT_PvPjiiiiilfff
    .private_segment_fixed_size: 0
    .sgpr_count:     28
    .sgpr_spill_count: 0
    .symbol:         _Z49per_token_group_quant_8bit_packed_register_kernelIN3c104HalfENS0_13Float8_e4m3fnELi128ELi4ELi4EEvPKT_PvPjiiiiilfff.kd
    .uniform_work_group_size: 1
    .uses_dynamic_stack: false
    .vgpr_count:     40
    .vgpr_spill_count: 0
    .wavefront_size: 64
  - .agpr_count:     0
    .args:
      - .actual_access:  read_only
        .address_space:  global
        .offset:         0
        .size:           8
        .value_kind:     global_buffer
      - .actual_access:  write_only
        .address_space:  global
        .offset:         8
        .size:           8
        .value_kind:     global_buffer
      - .actual_access:  write_only
        .address_space:  global
        .offset:         16
        .size:           8
        .value_kind:     global_buffer
      - .offset:         24
        .size:           4
        .value_kind:     by_value
      - .offset:         28
        .size:           4
        .value_kind:     by_value
      - .offset:         32
        .size:           4
        .value_kind:     by_value
      - .offset:         36
        .size:           4
        .value_kind:     by_value
      - .offset:         40
        .size:           4
        .value_kind:     by_value
      - .offset:         48
        .size:           8
        .value_kind:     by_value
      - .offset:         56
        .size:           4
        .value_kind:     by_value
      - .offset:         60
        .size:           4
        .value_kind:     by_value
      - .offset:         64
        .size:           4
        .value_kind:     by_value
    .group_segment_fixed_size: 0
    .kernarg_segment_align: 8
    .kernarg_segment_size: 68
    .language:       OpenCL C
    .language_version:
      - 2
      - 0
    .max_flat_workgroup_size: 1024
    .name:           _Z49per_token_group_quant_8bit_packed_register_kernelIN3c104HalfENS0_15Float8_e4m3fnuzELi128ELi16ELi1EEvPKT_PvPjiiiiilfff
    .private_segment_fixed_size: 0
    .sgpr_count:     28
    .sgpr_spill_count: 0
    .symbol:         _Z49per_token_group_quant_8bit_packed_register_kernelIN3c104HalfENS0_15Float8_e4m3fnuzELi128ELi16ELi1EEvPKT_PvPjiiiiilfff.kd
    .uniform_work_group_size: 1
    .uses_dynamic_stack: false
    .vgpr_count:     36
    .vgpr_spill_count: 0
    .wavefront_size: 64
  - .agpr_count:     0
    .args:
      - .actual_access:  read_only
        .address_space:  global
        .offset:         0
        .size:           8
        .value_kind:     global_buffer
      - .actual_access:  write_only
        .address_space:  global
        .offset:         8
        .size:           8
        .value_kind:     global_buffer
      - .actual_access:  write_only
        .address_space:  global
        .offset:         16
        .size:           8
        .value_kind:     global_buffer
      - .offset:         24
        .size:           4
        .value_kind:     by_value
      - .offset:         28
        .size:           4
        .value_kind:     by_value
      - .offset:         32
        .size:           4
        .value_kind:     by_value
      - .offset:         36
        .size:           4
        .value_kind:     by_value
      - .offset:         40
        .size:           4
        .value_kind:     by_value
      - .offset:         48
        .size:           8
        .value_kind:     by_value
      - .offset:         56
        .size:           4
        .value_kind:     by_value
      - .offset:         60
        .size:           4
        .value_kind:     by_value
      - .offset:         64
        .size:           4
        .value_kind:     by_value
    .group_segment_fixed_size: 0
    .kernarg_segment_align: 8
    .kernarg_segment_size: 68
    .language:       OpenCL C
    .language_version:
      - 2
      - 0
    .max_flat_workgroup_size: 1024
    .name:           _Z49per_token_group_quant_8bit_packed_register_kernelIN3c104HalfENS0_15Float8_e4m3fnuzELi128ELi8ELi2EEvPKT_PvPjiiiiilfff
    .private_segment_fixed_size: 0
    .sgpr_count:     28
    .sgpr_spill_count: 0
    .symbol:         _Z49per_token_group_quant_8bit_packed_register_kernelIN3c104HalfENS0_15Float8_e4m3fnuzELi128ELi8ELi2EEvPKT_PvPjiiiiilfff.kd
    .uniform_work_group_size: 1
    .uses_dynamic_stack: false
    .vgpr_count:     36
    .vgpr_spill_count: 0
    .wavefront_size: 64
  - .agpr_count:     0
    .args:
      - .actual_access:  read_only
        .address_space:  global
        .offset:         0
        .size:           8
        .value_kind:     global_buffer
      - .actual_access:  write_only
        .address_space:  global
        .offset:         8
        .size:           8
        .value_kind:     global_buffer
      - .actual_access:  write_only
        .address_space:  global
        .offset:         16
        .size:           8
        .value_kind:     global_buffer
      - .offset:         24
        .size:           4
        .value_kind:     by_value
      - .offset:         28
        .size:           4
        .value_kind:     by_value
      - .offset:         32
        .size:           4
        .value_kind:     by_value
      - .offset:         36
        .size:           4
        .value_kind:     by_value
      - .offset:         40
        .size:           4
        .value_kind:     by_value
      - .offset:         48
        .size:           8
        .value_kind:     by_value
      - .offset:         56
        .size:           4
        .value_kind:     by_value
      - .offset:         60
        .size:           4
        .value_kind:     by_value
      - .offset:         64
        .size:           4
        .value_kind:     by_value
    .group_segment_fixed_size: 0
    .kernarg_segment_align: 8
    .kernarg_segment_size: 68
    .language:       OpenCL C
    .language_version:
      - 2
      - 0
    .max_flat_workgroup_size: 1024
    .name:           _Z49per_token_group_quant_8bit_packed_register_kernelIN3c104HalfENS0_15Float8_e4m3fnuzELi128ELi4ELi4EEvPKT_PvPjiiiiilfff
    .private_segment_fixed_size: 0
    .sgpr_count:     28
    .sgpr_spill_count: 0
    .symbol:         _Z49per_token_group_quant_8bit_packed_register_kernelIN3c104HalfENS0_15Float8_e4m3fnuzELi128ELi4ELi4EEvPKT_PvPjiiiiilfff.kd
    .uniform_work_group_size: 1
    .uses_dynamic_stack: false
    .vgpr_count:     36
    .vgpr_spill_count: 0
    .wavefront_size: 64
  - .agpr_count:     0
    .args:
      - .actual_access:  read_only
        .address_space:  global
        .offset:         0
        .size:           8
        .value_kind:     global_buffer
      - .actual_access:  write_only
        .address_space:  global
        .offset:         8
        .size:           8
        .value_kind:     global_buffer
      - .actual_access:  write_only
        .address_space:  global
        .offset:         16
        .size:           8
        .value_kind:     global_buffer
      - .offset:         24
        .size:           4
        .value_kind:     by_value
      - .offset:         28
        .size:           4
        .value_kind:     by_value
      - .offset:         32
        .size:           4
        .value_kind:     by_value
      - .offset:         36
        .size:           4
        .value_kind:     by_value
      - .offset:         40
        .size:           4
        .value_kind:     by_value
      - .offset:         48
        .size:           8
        .value_kind:     by_value
      - .offset:         56
        .size:           4
        .value_kind:     by_value
      - .offset:         60
        .size:           4
        .value_kind:     by_value
      - .offset:         64
        .size:           4
        .value_kind:     by_value
    .group_segment_fixed_size: 0
    .kernarg_segment_align: 8
    .kernarg_segment_size: 68
    .language:       OpenCL C
    .language_version:
      - 2
      - 0
    .max_flat_workgroup_size: 1024
    .name:           _Z49per_token_group_quant_8bit_packed_register_kernelIN3c108BFloat16EaLi128ELi16ELi1EEvPKT_PvPjiiiiilfff
    .private_segment_fixed_size: 0
    .sgpr_count:     28
    .sgpr_spill_count: 0
    .symbol:         _Z49per_token_group_quant_8bit_packed_register_kernelIN3c108BFloat16EaLi128ELi16ELi1EEvPKT_PvPjiiiiilfff.kd
    .uniform_work_group_size: 1
    .uses_dynamic_stack: false
    .vgpr_count:     28
    .vgpr_spill_count: 0
    .wavefront_size: 64
  - .agpr_count:     0
    .args:
      - .actual_access:  read_only
        .address_space:  global
        .offset:         0
        .size:           8
        .value_kind:     global_buffer
      - .actual_access:  write_only
        .address_space:  global
        .offset:         8
        .size:           8
        .value_kind:     global_buffer
      - .actual_access:  write_only
        .address_space:  global
        .offset:         16
        .size:           8
        .value_kind:     global_buffer
      - .offset:         24
        .size:           4
        .value_kind:     by_value
      - .offset:         28
        .size:           4
        .value_kind:     by_value
      - .offset:         32
        .size:           4
        .value_kind:     by_value
      - .offset:         36
        .size:           4
        .value_kind:     by_value
      - .offset:         40
        .size:           4
        .value_kind:     by_value
      - .offset:         48
        .size:           8
        .value_kind:     by_value
      - .offset:         56
        .size:           4
        .value_kind:     by_value
      - .offset:         60
        .size:           4
        .value_kind:     by_value
      - .offset:         64
        .size:           4
        .value_kind:     by_value
    .group_segment_fixed_size: 0
    .kernarg_segment_align: 8
    .kernarg_segment_size: 68
    .language:       OpenCL C
    .language_version:
      - 2
      - 0
    .max_flat_workgroup_size: 1024
    .name:           _Z49per_token_group_quant_8bit_packed_register_kernelIN3c108BFloat16EaLi128ELi8ELi2EEvPKT_PvPjiiiiilfff
    .private_segment_fixed_size: 0
    .sgpr_count:     28
    .sgpr_spill_count: 0
    .symbol:         _Z49per_token_group_quant_8bit_packed_register_kernelIN3c108BFloat16EaLi128ELi8ELi2EEvPKT_PvPjiiiiilfff.kd
    .uniform_work_group_size: 1
    .uses_dynamic_stack: false
    .vgpr_count:     28
    .vgpr_spill_count: 0
    .wavefront_size: 64
  - .agpr_count:     0
    .args:
      - .actual_access:  read_only
        .address_space:  global
        .offset:         0
        .size:           8
        .value_kind:     global_buffer
      - .actual_access:  write_only
        .address_space:  global
        .offset:         8
        .size:           8
        .value_kind:     global_buffer
      - .actual_access:  write_only
        .address_space:  global
        .offset:         16
        .size:           8
        .value_kind:     global_buffer
      - .offset:         24
        .size:           4
        .value_kind:     by_value
      - .offset:         28
        .size:           4
        .value_kind:     by_value
      - .offset:         32
        .size:           4
        .value_kind:     by_value
      - .offset:         36
        .size:           4
        .value_kind:     by_value
      - .offset:         40
        .size:           4
        .value_kind:     by_value
      - .offset:         48
        .size:           8
        .value_kind:     by_value
      - .offset:         56
        .size:           4
        .value_kind:     by_value
      - .offset:         60
        .size:           4
        .value_kind:     by_value
      - .offset:         64
        .size:           4
        .value_kind:     by_value
    .group_segment_fixed_size: 0
    .kernarg_segment_align: 8
    .kernarg_segment_size: 68
    .language:       OpenCL C
    .language_version:
      - 2
      - 0
    .max_flat_workgroup_size: 1024
    .name:           _Z49per_token_group_quant_8bit_packed_register_kernelIN3c108BFloat16EaLi128ELi4ELi4EEvPKT_PvPjiiiiilfff
    .private_segment_fixed_size: 0
    .sgpr_count:     28
    .sgpr_spill_count: 0
    .symbol:         _Z49per_token_group_quant_8bit_packed_register_kernelIN3c108BFloat16EaLi128ELi4ELi4EEvPKT_PvPjiiiiilfff.kd
    .uniform_work_group_size: 1
    .uses_dynamic_stack: false
    .vgpr_count:     28
    .vgpr_spill_count: 0
    .wavefront_size: 64
  - .agpr_count:     0
    .args:
      - .actual_access:  read_only
        .address_space:  global
        .offset:         0
        .size:           8
        .value_kind:     global_buffer
      - .actual_access:  write_only
        .address_space:  global
        .offset:         8
        .size:           8
        .value_kind:     global_buffer
      - .actual_access:  write_only
        .address_space:  global
        .offset:         16
        .size:           8
        .value_kind:     global_buffer
      - .offset:         24
        .size:           4
        .value_kind:     by_value
      - .offset:         28
        .size:           4
        .value_kind:     by_value
      - .offset:         32
        .size:           4
        .value_kind:     by_value
      - .offset:         36
        .size:           4
        .value_kind:     by_value
      - .offset:         40
        .size:           4
        .value_kind:     by_value
      - .offset:         48
        .size:           8
        .value_kind:     by_value
      - .offset:         56
        .size:           4
        .value_kind:     by_value
      - .offset:         60
        .size:           4
        .value_kind:     by_value
      - .offset:         64
        .size:           4
        .value_kind:     by_value
    .group_segment_fixed_size: 0
    .kernarg_segment_align: 8
    .kernarg_segment_size: 68
    .language:       OpenCL C
    .language_version:
      - 2
      - 0
    .max_flat_workgroup_size: 1024
    .name:           _Z49per_token_group_quant_8bit_packed_register_kernelIN3c108BFloat16ENS0_13Float8_e4m3fnELi128ELi16ELi1EEvPKT_PvPjiiiiilfff
    .private_segment_fixed_size: 0
    .sgpr_count:     28
    .sgpr_spill_count: 0
    .symbol:         _Z49per_token_group_quant_8bit_packed_register_kernelIN3c108BFloat16ENS0_13Float8_e4m3fnELi128ELi16ELi1EEvPKT_PvPjiiiiilfff.kd
    .uniform_work_group_size: 1
    .uses_dynamic_stack: false
    .vgpr_count:     40
    .vgpr_spill_count: 0
    .wavefront_size: 64
  - .agpr_count:     0
    .args:
      - .actual_access:  read_only
        .address_space:  global
        .offset:         0
        .size:           8
        .value_kind:     global_buffer
      - .actual_access:  write_only
        .address_space:  global
        .offset:         8
        .size:           8
        .value_kind:     global_buffer
      - .actual_access:  write_only
        .address_space:  global
        .offset:         16
        .size:           8
        .value_kind:     global_buffer
      - .offset:         24
        .size:           4
        .value_kind:     by_value
      - .offset:         28
        .size:           4
        .value_kind:     by_value
      - .offset:         32
        .size:           4
        .value_kind:     by_value
      - .offset:         36
        .size:           4
        .value_kind:     by_value
      - .offset:         40
        .size:           4
        .value_kind:     by_value
      - .offset:         48
        .size:           8
        .value_kind:     by_value
      - .offset:         56
        .size:           4
        .value_kind:     by_value
      - .offset:         60
        .size:           4
        .value_kind:     by_value
      - .offset:         64
        .size:           4
        .value_kind:     by_value
    .group_segment_fixed_size: 0
    .kernarg_segment_align: 8
    .kernarg_segment_size: 68
    .language:       OpenCL C
    .language_version:
      - 2
      - 0
    .max_flat_workgroup_size: 1024
    .name:           _Z49per_token_group_quant_8bit_packed_register_kernelIN3c108BFloat16ENS0_13Float8_e4m3fnELi128ELi8ELi2EEvPKT_PvPjiiiiilfff
    .private_segment_fixed_size: 0
    .sgpr_count:     28
    .sgpr_spill_count: 0
    .symbol:         _Z49per_token_group_quant_8bit_packed_register_kernelIN3c108BFloat16ENS0_13Float8_e4m3fnELi128ELi8ELi2EEvPKT_PvPjiiiiilfff.kd
    .uniform_work_group_size: 1
    .uses_dynamic_stack: false
    .vgpr_count:     40
    .vgpr_spill_count: 0
    .wavefront_size: 64
  - .agpr_count:     0
    .args:
      - .actual_access:  read_only
        .address_space:  global
        .offset:         0
        .size:           8
        .value_kind:     global_buffer
      - .actual_access:  write_only
        .address_space:  global
        .offset:         8
        .size:           8
        .value_kind:     global_buffer
      - .actual_access:  write_only
        .address_space:  global
        .offset:         16
        .size:           8
        .value_kind:     global_buffer
      - .offset:         24
        .size:           4
        .value_kind:     by_value
      - .offset:         28
        .size:           4
        .value_kind:     by_value
      - .offset:         32
        .size:           4
        .value_kind:     by_value
      - .offset:         36
        .size:           4
        .value_kind:     by_value
      - .offset:         40
        .size:           4
        .value_kind:     by_value
      - .offset:         48
        .size:           8
        .value_kind:     by_value
      - .offset:         56
        .size:           4
        .value_kind:     by_value
      - .offset:         60
        .size:           4
        .value_kind:     by_value
      - .offset:         64
        .size:           4
        .value_kind:     by_value
    .group_segment_fixed_size: 0
    .kernarg_segment_align: 8
    .kernarg_segment_size: 68
    .language:       OpenCL C
    .language_version:
      - 2
      - 0
    .max_flat_workgroup_size: 1024
    .name:           _Z49per_token_group_quant_8bit_packed_register_kernelIN3c108BFloat16ENS0_13Float8_e4m3fnELi128ELi4ELi4EEvPKT_PvPjiiiiilfff
    .private_segment_fixed_size: 0
    .sgpr_count:     28
    .sgpr_spill_count: 0
    .symbol:         _Z49per_token_group_quant_8bit_packed_register_kernelIN3c108BFloat16ENS0_13Float8_e4m3fnELi128ELi4ELi4EEvPKT_PvPjiiiiilfff.kd
    .uniform_work_group_size: 1
    .uses_dynamic_stack: false
    .vgpr_count:     40
    .vgpr_spill_count: 0
    .wavefront_size: 64
  - .agpr_count:     0
    .args:
      - .actual_access:  read_only
        .address_space:  global
        .offset:         0
        .size:           8
        .value_kind:     global_buffer
      - .actual_access:  write_only
        .address_space:  global
        .offset:         8
        .size:           8
        .value_kind:     global_buffer
      - .actual_access:  write_only
        .address_space:  global
        .offset:         16
        .size:           8
        .value_kind:     global_buffer
      - .offset:         24
        .size:           4
        .value_kind:     by_value
      - .offset:         28
        .size:           4
        .value_kind:     by_value
      - .offset:         32
        .size:           4
        .value_kind:     by_value
      - .offset:         36
        .size:           4
        .value_kind:     by_value
      - .offset:         40
        .size:           4
        .value_kind:     by_value
      - .offset:         48
        .size:           8
        .value_kind:     by_value
      - .offset:         56
        .size:           4
        .value_kind:     by_value
      - .offset:         60
        .size:           4
        .value_kind:     by_value
      - .offset:         64
        .size:           4
        .value_kind:     by_value
    .group_segment_fixed_size: 0
    .kernarg_segment_align: 8
    .kernarg_segment_size: 68
    .language:       OpenCL C
    .language_version:
      - 2
      - 0
    .max_flat_workgroup_size: 1024
    .name:           _Z49per_token_group_quant_8bit_packed_register_kernelIN3c108BFloat16ENS0_15Float8_e4m3fnuzELi128ELi16ELi1EEvPKT_PvPjiiiiilfff
    .private_segment_fixed_size: 0
    .sgpr_count:     28
    .sgpr_spill_count: 0
    .symbol:         _Z49per_token_group_quant_8bit_packed_register_kernelIN3c108BFloat16ENS0_15Float8_e4m3fnuzELi128ELi16ELi1EEvPKT_PvPjiiiiilfff.kd
    .uniform_work_group_size: 1
    .uses_dynamic_stack: false
    .vgpr_count:     36
    .vgpr_spill_count: 0
    .wavefront_size: 64
  - .agpr_count:     0
    .args:
      - .actual_access:  read_only
        .address_space:  global
        .offset:         0
        .size:           8
        .value_kind:     global_buffer
      - .actual_access:  write_only
        .address_space:  global
        .offset:         8
        .size:           8
        .value_kind:     global_buffer
      - .actual_access:  write_only
        .address_space:  global
        .offset:         16
        .size:           8
        .value_kind:     global_buffer
      - .offset:         24
        .size:           4
        .value_kind:     by_value
      - .offset:         28
        .size:           4
        .value_kind:     by_value
      - .offset:         32
        .size:           4
        .value_kind:     by_value
      - .offset:         36
        .size:           4
        .value_kind:     by_value
      - .offset:         40
        .size:           4
        .value_kind:     by_value
      - .offset:         48
        .size:           8
        .value_kind:     by_value
      - .offset:         56
        .size:           4
        .value_kind:     by_value
      - .offset:         60
        .size:           4
        .value_kind:     by_value
      - .offset:         64
        .size:           4
        .value_kind:     by_value
    .group_segment_fixed_size: 0
    .kernarg_segment_align: 8
    .kernarg_segment_size: 68
    .language:       OpenCL C
    .language_version:
      - 2
      - 0
    .max_flat_workgroup_size: 1024
    .name:           _Z49per_token_group_quant_8bit_packed_register_kernelIN3c108BFloat16ENS0_15Float8_e4m3fnuzELi128ELi8ELi2EEvPKT_PvPjiiiiilfff
    .private_segment_fixed_size: 0
    .sgpr_count:     28
    .sgpr_spill_count: 0
    .symbol:         _Z49per_token_group_quant_8bit_packed_register_kernelIN3c108BFloat16ENS0_15Float8_e4m3fnuzELi128ELi8ELi2EEvPKT_PvPjiiiiilfff.kd
    .uniform_work_group_size: 1
    .uses_dynamic_stack: false
    .vgpr_count:     36
    .vgpr_spill_count: 0
    .wavefront_size: 64
  - .agpr_count:     0
    .args:
      - .actual_access:  read_only
        .address_space:  global
        .offset:         0
        .size:           8
        .value_kind:     global_buffer
      - .actual_access:  write_only
        .address_space:  global
        .offset:         8
        .size:           8
        .value_kind:     global_buffer
      - .actual_access:  write_only
        .address_space:  global
        .offset:         16
        .size:           8
        .value_kind:     global_buffer
      - .offset:         24
        .size:           4
        .value_kind:     by_value
      - .offset:         28
        .size:           4
        .value_kind:     by_value
      - .offset:         32
        .size:           4
        .value_kind:     by_value
      - .offset:         36
        .size:           4
        .value_kind:     by_value
      - .offset:         40
        .size:           4
        .value_kind:     by_value
      - .offset:         48
        .size:           8
        .value_kind:     by_value
      - .offset:         56
        .size:           4
        .value_kind:     by_value
      - .offset:         60
        .size:           4
        .value_kind:     by_value
      - .offset:         64
        .size:           4
        .value_kind:     by_value
    .group_segment_fixed_size: 0
    .kernarg_segment_align: 8
    .kernarg_segment_size: 68
    .language:       OpenCL C
    .language_version:
      - 2
      - 0
    .max_flat_workgroup_size: 1024
    .name:           _Z49per_token_group_quant_8bit_packed_register_kernelIN3c108BFloat16ENS0_15Float8_e4m3fnuzELi128ELi4ELi4EEvPKT_PvPjiiiiilfff
    .private_segment_fixed_size: 0
    .sgpr_count:     28
    .sgpr_spill_count: 0
    .symbol:         _Z49per_token_group_quant_8bit_packed_register_kernelIN3c108BFloat16ENS0_15Float8_e4m3fnuzELi128ELi4ELi4EEvPKT_PvPjiiiiilfff.kd
    .uniform_work_group_size: 1
    .uses_dynamic_stack: false
    .vgpr_count:     36
    .vgpr_spill_count: 0
    .wavefront_size: 64
amdhsa.target:   amdgcn-amd-amdhsa--gfx90a
amdhsa.version:
  - 1
  - 2
...

	.end_amdgpu_metadata
